;; amdgpu-corpus repo=zjin-lcf/HeCBench kind=compiled arch=gfx1030 opt=O3
	.amdgcn_target "amdgcn-amd-amdhsa--gfx1030"
	.amdhsa_code_object_version 6
	.section	.text._Z11ratt_kernelIfEvPKT_PS0_S0_,"axG",@progbits,_Z11ratt_kernelIfEvPKT_PS0_S0_,comdat
	.protected	_Z11ratt_kernelIfEvPKT_PS0_S0_ ; -- Begin function _Z11ratt_kernelIfEvPKT_PS0_S0_
	.globl	_Z11ratt_kernelIfEvPKT_PS0_S0_
	.p2align	8
	.type	_Z11ratt_kernelIfEvPKT_PS0_S0_,@function
_Z11ratt_kernelIfEvPKT_PS0_S0_:         ; @_Z11ratt_kernelIfEvPKT_PS0_S0_
; %bb.0:
	s_clause 0x3
	s_load_dwordx4 s[0:3], s[4:5], 0x0
	s_load_dword s7, s[4:5], 0x10
	s_load_dword s8, s[4:5], 0x18
	;; [unrolled: 1-line block ×3, first 2 shown]
	s_mov_b32 s5, 0x3fc00000
	s_waitcnt lgkmcnt(0)
	s_and_b32 s4, s4, 0xffff
	v_mad_u64_u32 v[0:1], null, s6, s4, v[0:1]
	v_mov_b32_e32 v1, 0
	s_mov_b32 s6, 0x4381940b
	v_lshlrev_b64 v[5:6], 2, v[0:1]
	v_add_co_u32 v2, vcc_lo, s0, v5
	v_add_co_ci_u32_e64 v3, null, s1, v6, vcc_lo
	s_mov_b32 s1, 0x3fc147ae
	global_load_dword v2, v[2:3], off
	s_waitcnt vmcnt(0)
	v_mul_f32_e32 v3, s7, v2
	s_mov_b32 s7, 0xc662728f
	v_cmp_gt_f32_e32 vcc_lo, 0x800000, v3
	v_cndmask_b32_e64 v2, 0, 32, vcc_lo
	v_ldexp_f32 v2, v3, v2
	v_log_f32_e32 v2, v2
	v_mul_f32_e32 v4, 0x3f317217, v2
	v_cmp_gt_f32_e64 s0, 0x7f800000, |v2|
	v_fma_f32 v4, 0x3f317217, v2, -v4
	v_fmamk_f32 v4, v2, 0x3377d1cf, v4
	v_fmac_f32_e32 v4, 0x3f317217, v2
	v_cndmask_b32_e64 v2, v2, v4, s0
	v_cndmask_b32_e64 v4, 0, 0x41b17218, vcc_lo
	s_mov_b32 s0, 0xc5e2a6e5
	v_sub_f32_e32 v2, v2, v4
	v_div_scale_f32 v4, null, v3, v3, 1.0
	v_rcp_f32_e32 v7, v4
	v_fma_f32 v8, -v4, v7, 1.0
	v_fmac_f32_e32 v7, v8, v7
	v_div_scale_f32 v8, vcc_lo, 1.0, v3, 1.0
	v_mul_f32_e32 v9, v8, v7
	v_fma_f32 v10, -v4, v9, v8
	v_fmac_f32_e32 v9, v10, v7
	v_fma_f32 v4, -v4, v9, v8
	v_div_fmas_f32 v4, v4, v7, v9
	v_div_fixup_f32 v3, v4, v3, 1.0
	v_fmaak_f32 v7, s0, v3, 0x4200330f
	s_mov_b32 s0, 0x402ae148
	v_mul_f32_e32 v4, v3, v3
	v_mul_f32_e32 v8, 0x3fb8aa3b, v7
	v_cmp_ngt_f32_e32 vcc_lo, 0xc2ce8ed0, v7
	v_fma_f32 v9, 0x3fb8aa3b, v7, -v8
	v_rndne_f32_e32 v10, v8
	v_fmac_f32_e32 v9, 0x32a5705f, v7
	v_sub_f32_e32 v8, v8, v10
	v_add_f32_e32 v8, v8, v9
	v_cvt_i32_f32_e32 v9, v10
	v_exp_f32_e32 v8, v8
	v_ldexp_f32 v8, v8, v9
	v_cndmask_b32_e32 v8, 0, v8, vcc_lo
	v_cmp_nlt_f32_e32 vcc_lo, 0x42b17218, v7
	v_cndmask_b32_e32 v7, 0x7f800000, v8, vcc_lo
	v_add_co_u32 v5, vcc_lo, s2, v5
	v_add_co_ci_u32_e64 v6, null, s3, v6, vcc_lo
	global_store_dword v[5:6], v7, off
	v_fmaak_f32 v5, s0, v2, 0x412d1dd0
	s_mul_i32 s0, s8, s4
	s_mov_b32 s4, 0x3ee872b0
	v_add_nc_u32_e32 v0, s0, v0
	v_fmamk_f32 v5, v3, 0xc545d3ba, v5
	v_mul_f32_e32 v6, 0x3fb8aa3b, v5
	v_cmp_ngt_f32_e32 vcc_lo, 0xc2ce8ed0, v5
	v_fma_f32 v7, 0x3fb8aa3b, v5, -v6
	v_rndne_f32_e32 v8, v6
	v_fmac_f32_e32 v7, 0x32a5705f, v5
	v_sub_f32_e32 v6, v6, v8
	v_add_f32_e32 v6, v6, v7
	v_cvt_i32_f32_e32 v7, v8
	v_exp_f32_e32 v6, v6
	v_ldexp_f32 v6, v6, v7
	v_cndmask_b32_e32 v6, 0, v6, vcc_lo
	v_cmp_nlt_f32_e32 vcc_lo, 0x42b17218, v5
	v_cndmask_b32_e32 v7, 0x7f800000, v6, vcc_lo
	v_lshlrev_b64 v[5:6], 2, v[0:1]
	v_add_nc_u32_e32 v0, s0, v0
	v_add_co_u32 v5, vcc_lo, s2, v5
	v_add_co_ci_u32_e64 v6, null, s3, v6, vcc_lo
	global_store_dword v[5:6], v7, off
	v_fmaak_f32 v5, s1, v2, 0x419986bc
	s_mov_b32 s1, 0x4019999a
	v_fmamk_f32 v5, v3, 0xc4d7c110, v5
	v_mul_f32_e32 v6, 0x3fb8aa3b, v5
	v_cmp_ngt_f32_e32 vcc_lo, 0xc2ce8ed0, v5
	v_fma_f32 v7, 0x3fb8aa3b, v5, -v6
	v_rndne_f32_e32 v8, v6
	v_fmac_f32_e32 v7, 0x32a5705f, v5
	v_sub_f32_e32 v6, v6, v8
	v_add_f32_e32 v6, v6, v7
	v_cvt_i32_f32_e32 v7, v8
	v_exp_f32_e32 v6, v6
	v_ldexp_f32 v6, v6, v7
	v_cndmask_b32_e32 v6, 0, v6, vcc_lo
	v_cmp_nlt_f32_e32 vcc_lo, 0x42b17218, v5
	v_cndmask_b32_e32 v7, 0x7f800000, v6, vcc_lo
	v_lshlrev_b64 v[5:6], 2, v[0:1]
	v_add_nc_u32_e32 v0, s0, v0
	v_add_co_u32 v5, vcc_lo, s2, v5
	v_add_co_ci_u32_e64 v6, null, s3, v6, vcc_lo
	global_store_dword v[5:6], v7, off
	v_fmaak_f32 v5, s1, v2, 0x4127b9fc
	s_mov_b32 s1, 0xbf19999a
	v_fmamk_f32 v5, v3, 0x4484b930, v5
	v_mul_f32_e32 v6, 0x3fb8aa3b, v5
	v_cmp_ngt_f32_e32 vcc_lo, 0xc2ce8ed0, v5
	v_fma_f32 v7, 0x3fb8aa3b, v5, -v6
	v_rndne_f32_e32 v8, v6
	v_fmac_f32_e32 v7, 0x32a5705f, v5
	v_sub_f32_e32 v6, v6, v8
	v_add_f32_e32 v6, v6, v7
	v_cvt_i32_f32_e32 v7, v8
	v_exp_f32_e32 v6, v6
	v_ldexp_f32 v6, v6, v7
	v_cndmask_b32_e32 v6, 0, v6, vcc_lo
	v_cmp_nlt_f32_e32 vcc_lo, 0x42b17218, v5
	v_cndmask_b32_e32 v7, 0x7f800000, v6, vcc_lo
	v_lshlrev_b64 v[5:6], 2, v[0:1]
	v_add_nc_u32_e32 v0, s0, v0
	v_add_co_u32 v5, vcc_lo, s2, v5
	v_add_co_ci_u32_e64 v6, null, s3, v6, vcc_lo
	global_store_dword v[5:6], v7, off
	v_lshlrev_b64 v[5:6], 2, v[0:1]
	v_mul_f32_e32 v7, 0x5d5e0b6b, v3
	v_add_nc_u32_e32 v0, s0, v0
	v_add_co_u32 v5, vcc_lo, s2, v5
	v_add_co_ci_u32_e64 v6, null, s3, v6, vcc_lo
	global_store_dword v[5:6], v7, off
	v_fmaak_f32 v5, s1, v2, 0x421c2783
	s_mov_b32 s1, 0xbfa00000
	v_mul_f32_e32 v6, 0x3fb8aa3b, v5
	v_cmp_ngt_f32_e32 vcc_lo, 0xc2ce8ed0, v5
	v_fma_f32 v7, 0x3fb8aa3b, v5, -v6
	v_rndne_f32_e32 v8, v6
	v_fmac_f32_e32 v7, 0x32a5705f, v5
	v_sub_f32_e32 v6, v6, v8
	v_add_f32_e32 v6, v6, v7
	v_cvt_i32_f32_e32 v7, v8
	v_exp_f32_e32 v6, v6
	v_ldexp_f32 v6, v6, v7
	v_cndmask_b32_e32 v6, 0, v6, vcc_lo
	v_cmp_nlt_f32_e32 vcc_lo, 0x42b17218, v5
	v_cndmask_b32_e32 v7, 0x7f800000, v6, vcc_lo
	v_lshlrev_b64 v[5:6], 2, v[0:1]
	v_add_nc_u32_e32 v0, s0, v0
	v_add_co_u32 v5, vcc_lo, s2, v5
	v_add_co_ci_u32_e64 v6, null, s3, v6, vcc_lo
	global_store_dword v[5:6], v7, off
	v_fmaak_f32 v5, s1, v2, 0x423629db
	s_mov_b32 s1, 0xbf5c28f6
	v_mul_f32_e32 v6, 0x3fb8aa3b, v5
	v_cmp_ngt_f32_e32 vcc_lo, 0xc2ce8ed0, v5
	v_fma_f32 v7, 0x3fb8aa3b, v5, -v6
	v_rndne_f32_e32 v8, v6
	v_fmac_f32_e32 v7, 0x32a5705f, v5
	v_sub_f32_e32 v6, v6, v8
	v_add_f32_e32 v6, v6, v7
	v_cvt_i32_f32_e32 v7, v8
	v_exp_f32_e32 v6, v6
	v_ldexp_f32 v6, v6, v7
	v_cndmask_b32_e32 v6, 0, v6, vcc_lo
	v_cmp_nlt_f32_e32 vcc_lo, 0x42b17218, v5
	v_cndmask_b32_e32 v7, 0x7f800000, v6, vcc_lo
	v_lshlrev_b64 v[5:6], 2, v[0:1]
	v_add_nc_u32_e32 v0, s0, v0
	v_add_co_u32 v5, vcc_lo, s2, v5
	v_add_co_ci_u32_e64 v6, null, s3, v6, vcc_lo
	global_store_dword v[5:6], v7, off
	v_lshlrev_b64 v[5:6], 2, v[0:1]
	v_mul_f32_e32 v7, 0x61ee8644, v4
	v_add_nc_u32_e32 v0, s0, v0
	v_add_co_u32 v5, vcc_lo, s2, v5
	v_add_co_ci_u32_e64 v6, null, s3, v6, vcc_lo
	global_store_dword v[5:6], v7, off
	v_mul_f32_e32 v6, 0x649513eb, v4
	v_lshlrev_b64 v[4:5], 2, v[0:1]
	v_add_nc_u32_e32 v0, s0, v0
	v_add_co_u32 v4, vcc_lo, s2, v4
	v_add_co_ci_u32_e64 v5, null, s3, v5, vcc_lo
	global_store_dword v[4:5], v6, off
	v_lshlrev_b64 v[4:5], 2, v[0:1]
	v_mul_f32_e32 v6, 0x5cde0b6b, v3
	v_add_nc_u32_e32 v0, s0, v0
	v_add_co_u32 v4, vcc_lo, s2, v4
	v_add_co_ci_u32_e64 v5, null, s3, v5, vcc_lo
	global_store_dword v[4:5], v6, off
	v_lshlrev_b64 v[4:5], 2, v[0:1]
	v_mul_f32_e32 v6, 0x5bd529af, v3
	v_add_nc_u32_e32 v0, s0, v0
	v_add_co_u32 v4, vcc_lo, s2, v4
	v_add_co_ci_u32_e64 v5, null, s3, v5, vcc_lo
	global_store_dword v[4:5], v6, off
	v_fmaak_f32 v4, s1, v2, 0x4229e794
	s_mov_b32 s1, 0xbfdc28f6
	v_mul_f32_e32 v5, 0x3fb8aa3b, v4
	v_cmp_ngt_f32_e32 vcc_lo, 0xc2ce8ed0, v4
	v_fma_f32 v6, 0x3fb8aa3b, v4, -v5
	v_rndne_f32_e32 v7, v5
	v_fmac_f32_e32 v6, 0x32a5705f, v4
	v_sub_f32_e32 v5, v5, v7
	v_add_f32_e32 v5, v5, v6
	v_cvt_i32_f32_e32 v6, v7
	v_exp_f32_e32 v5, v5
	v_ldexp_f32 v5, v5, v6
	v_cndmask_b32_e32 v5, 0, v5, vcc_lo
	v_cmp_nlt_f32_e32 vcc_lo, 0x42b17218, v4
	v_cndmask_b32_e32 v6, 0x7f800000, v5, vcc_lo
	v_lshlrev_b64 v[4:5], 2, v[0:1]
	v_add_nc_u32_e32 v0, s0, v0
	v_add_co_u32 v4, vcc_lo, s2, v4
	v_add_co_ci_u32_e64 v5, null, s3, v5, vcc_lo
	global_store_dword v[4:5], v6, off
	v_fmaak_f32 v4, s1, v2, 0x423c99ec
	s_mov_b32 s1, 0xbf428f5c
	v_mul_f32_e32 v5, 0x3fb8aa3b, v4
	v_cmp_ngt_f32_e32 vcc_lo, 0xc2ce8ed0, v4
	v_fma_f32 v6, 0x3fb8aa3b, v4, -v5
	v_rndne_f32_e32 v7, v5
	v_fmac_f32_e32 v6, 0x32a5705f, v4
	v_sub_f32_e32 v5, v5, v7
	v_add_f32_e32 v5, v5, v6
	v_cvt_i32_f32_e32 v6, v7
	v_exp_f32_e32 v5, v5
	v_ldexp_f32 v5, v5, v6
	v_cndmask_b32_e32 v5, 0, v5, vcc_lo
	v_cmp_nlt_f32_e32 vcc_lo, 0x42b17218, v4
	v_cndmask_b32_e32 v6, 0x7f800000, v5, vcc_lo
	v_lshlrev_b64 v[4:5], 2, v[0:1]
	;; [unrolled: 20-line block ×8, first 2 shown]
	v_add_nc_u32_e32 v0, s0, v0
	v_add_co_u32 v4, vcc_lo, s2, v4
	v_add_co_ci_u32_e64 v5, null, s3, v5, vcc_lo
	global_store_dword v[4:5], v6, off
	v_lshlrev_b64 v[4:5], 2, v[0:1]
	v_add_nc_u32_e32 v0, s0, v0
	v_add_co_u32 v6, vcc_lo, s2, v4
	v_add_co_ci_u32_e64 v7, null, s3, v5, vcc_lo
	v_mov_b32_e32 v5, 0x559184e7
	v_fmaak_f32 v4, s1, v3, 0x41fbbf1f
	s_mov_b32 s1, 0x444d0f90
	global_store_dword v[6:7], v5, off
	v_mul_f32_e32 v6, 0x3fb8aa3b, v4
	v_cmp_ngt_f32_e32 vcc_lo, 0xc2ce8ed0, v4
	v_fma_f32 v7, 0x3fb8aa3b, v4, -v6
	v_rndne_f32_e32 v8, v6
	v_fmac_f32_e32 v7, 0x32a5705f, v4
	v_sub_f32_e32 v6, v6, v8
	v_add_f32_e32 v6, v6, v7
	v_cvt_i32_f32_e32 v7, v8
	v_exp_f32_e32 v6, v6
	v_ldexp_f32 v6, v6, v7
	v_cndmask_b32_e32 v6, 0, v6, vcc_lo
	v_cmp_nlt_f32_e32 vcc_lo, 0x42b17218, v4
	v_cndmask_b32_e32 v4, 0x7f800000, v6, vcc_lo
	v_lshlrev_b64 v[6:7], 2, v[0:1]
	v_add_nc_u32_e32 v0, s0, v0
	v_add_co_u32 v6, vcc_lo, s2, v6
	v_add_co_ci_u32_e64 v7, null, s3, v7, vcc_lo
	global_store_dword v[6:7], v4, off
	v_fmaak_f32 v4, s1, v3, 0x41ccb9f6
	s_mov_b32 s1, 0xc5bcb4cd
	v_mul_f32_e32 v6, 0x3fb8aa3b, v4
	v_cmp_ngt_f32_e32 vcc_lo, 0xc2ce8ed0, v4
	v_fma_f32 v7, 0x3fb8aa3b, v4, -v6
	v_rndne_f32_e32 v8, v6
	v_fmac_f32_e32 v7, 0x32a5705f, v4
	v_sub_f32_e32 v6, v6, v8
	v_add_f32_e32 v6, v6, v7
	v_cvt_i32_f32_e32 v7, v8
	v_exp_f32_e32 v6, v6
	v_ldexp_f32 v6, v6, v7
	v_cndmask_b32_e32 v6, 0, v6, vcc_lo
	v_cmp_nlt_f32_e32 vcc_lo, 0x42b17218, v4
	v_cndmask_b32_e32 v4, 0x7f800000, v6, vcc_lo
	v_lshlrev_b64 v[6:7], 2, v[0:1]
	v_add_nc_u32_e32 v0, s0, v0
	v_add_co_u32 v6, vcc_lo, s2, v6
	v_add_co_ci_u32_e64 v7, null, s3, v7, vcc_lo
	global_store_dword v[6:7], v4, off
	v_fmaak_f32 v4, s1, v3, 0x4206af63
	s_mov_b32 s1, 0xc4e2728f
	v_mul_f32_e32 v6, 0x3fb8aa3b, v4
	v_cmp_ngt_f32_e32 vcc_lo, 0xc2ce8ed0, v4
	v_fma_f32 v7, 0x3fb8aa3b, v4, -v6
	v_rndne_f32_e32 v8, v6
	v_fmac_f32_e32 v7, 0x32a5705f, v4
	v_sub_f32_e32 v6, v6, v8
	v_add_f32_e32 v6, v6, v7
	v_cvt_i32_f32_e32 v7, v8
	v_exp_f32_e32 v6, v6
	v_ldexp_f32 v6, v6, v7
	v_cndmask_b32_e32 v6, 0, v6, vcc_lo
	v_cmp_nlt_f32_e32 vcc_lo, 0x42b17218, v4
	v_cndmask_b32_e32 v4, 0x7f800000, v6, vcc_lo
	v_lshlrev_b64 v[6:7], 2, v[0:1]
	v_add_nc_u32_e32 v0, s0, v0
	v_add_co_u32 v6, vcc_lo, s2, v6
	v_add_co_ci_u32_e64 v7, null, s3, v7, vcc_lo
	global_store_dword v[6:7], v4, off
	v_fmaak_f32 v4, 2.0, v2, 0x41827840
	v_add_f32_e32 v7, v2, v2
	v_fmamk_f32 v4, v3, 0xc5238ba0, v4
	v_fmamk_f32 v7, v3, 0xc46f0726, v7
	v_mul_f32_e32 v6, 0x3fb8aa3b, v4
	v_cmp_ngt_f32_e32 vcc_lo, 0xc2ce8ed0, v4
	v_fma_f32 v8, 0x3fb8aa3b, v4, -v6
	v_rndne_f32_e32 v9, v6
	v_fmac_f32_e32 v8, 0x32a5705f, v4
	v_sub_f32_e32 v6, v6, v9
	v_add_f32_e32 v6, v6, v8
	v_cvt_i32_f32_e32 v8, v9
	v_exp_f32_e32 v6, v6
	v_ldexp_f32 v6, v6, v8
	v_lshlrev_b64 v[8:9], 2, v[0:1]
	v_add_nc_u32_e32 v0, s0, v0
	v_cndmask_b32_e32 v6, 0, v6, vcc_lo
	v_cmp_nlt_f32_e32 vcc_lo, 0x42b17218, v4
	v_cndmask_b32_e32 v4, 0x7f800000, v6, vcc_lo
	v_add_co_u32 v8, vcc_lo, s2, v8
	v_add_co_ci_u32_e64 v9, null, s3, v9, vcc_lo
	global_store_dword v[8:9], v4, off
	v_fmaak_f32 v4, s1, v3, 0x41ef7807
	s_mov_b32 s1, 0xc3210782
	v_mul_f32_e32 v6, 0x3fb8aa3b, v4
	v_cmp_ngt_f32_e32 vcc_lo, 0xc2ce8ed0, v4
	v_fma_f32 v8, 0x3fb8aa3b, v4, -v6
	v_rndne_f32_e32 v9, v6
	v_fmac_f32_e32 v8, 0x32a5705f, v4
	v_sub_f32_e32 v6, v6, v9
	v_add_f32_e32 v6, v6, v8
	v_cvt_i32_f32_e32 v8, v9
	v_exp_f32_e32 v6, v6
	v_ldexp_f32 v6, v6, v8
	v_lshlrev_b64 v[8:9], 2, v[0:1]
	v_add_nc_u32_e32 v0, s0, v0
	v_cndmask_b32_e32 v6, 0, v6, vcc_lo
	v_cmp_nlt_f32_e32 vcc_lo, 0x42b17218, v4
	v_cndmask_b32_e32 v4, 0x7f800000, v6, vcc_lo
	v_add_co_u32 v8, vcc_lo, s2, v8
	v_add_co_ci_u32_e64 v9, null, s3, v9, vcc_lo
	global_store_dword v[8:9], v4, off
	v_fmaak_f32 v4, 2.0, v2, 0x4180a4a6
	v_fmac_f32_e32 v4, 0xc4fb9bbc, v3
	v_mul_f32_e32 v6, 0x3fb8aa3b, v4
	v_cmp_ngt_f32_e32 vcc_lo, 0xc2ce8ed0, v4
	v_fma_f32 v8, 0x3fb8aa3b, v4, -v6
	v_rndne_f32_e32 v9, v6
	v_fmac_f32_e32 v8, 0x32a5705f, v4
	v_sub_f32_e32 v6, v6, v9
	v_add_f32_e32 v6, v6, v8
	v_cvt_i32_f32_e32 v8, v9
	v_exp_f32_e32 v6, v6
	v_ldexp_f32 v6, v6, v8
	v_lshlrev_b64 v[8:9], 2, v[0:1]
	v_add_nc_u32_e32 v0, s0, v0
	v_cndmask_b32_e32 v6, 0, v6, vcc_lo
	v_cmp_nlt_f32_e32 vcc_lo, 0x42b17218, v4
	v_cndmask_b32_e32 v4, 0x7f800000, v6, vcc_lo
	v_add_co_u32 v8, vcc_lo, s2, v8
	v_add_co_ci_u32_e64 v9, null, s3, v9, vcc_lo
	global_store_dword v[8:9], v4, off
	v_fmaak_f32 v4, s1, v3, 0x41e1866d
	s_mov_b32 s1, 0xc5965603
	v_mul_f32_e32 v6, 0x3fb8aa3b, v4
	v_cmp_ngt_f32_e32 vcc_lo, 0xc2ce8ed0, v4
	v_fma_f32 v8, 0x3fb8aa3b, v4, -v6
	v_rndne_f32_e32 v9, v6
	v_fmac_f32_e32 v8, 0x32a5705f, v4
	v_sub_f32_e32 v6, v6, v9
	v_add_f32_e32 v6, v6, v8
	v_cvt_i32_f32_e32 v8, v9
	v_exp_f32_e32 v6, v6
	v_ldexp_f32 v6, v6, v8
	v_lshlrev_b64 v[8:9], 2, v[0:1]
	v_add_nc_u32_e32 v0, s0, v0
	v_cndmask_b32_e32 v6, 0, v6, vcc_lo
	v_cmp_nlt_f32_e32 vcc_lo, 0x42b17218, v4
	v_cndmask_b32_e32 v4, 0x7f800000, v6, vcc_lo
	v_add_co_u32 v8, vcc_lo, s2, v8
	v_add_co_ci_u32_e64 v9, null, s3, v9, vcc_lo
	global_store_dword v[8:9], v4, off
	v_fmaak_f32 v4, s1, v3, 0x4207f9e8
	s_mov_b32 s1, 0xc4bcb4cd
	;; [unrolled: 20-line block ×4, first 2 shown]
	v_fmamk_f32 v4, v3, 0xc20ce692, v4
	v_mul_f32_e32 v6, 0x3fb8aa3b, v4
	v_cmp_ngt_f32_e32 vcc_lo, 0xc2ce8ed0, v4
	v_fma_f32 v8, 0x3fb8aa3b, v4, -v6
	v_rndne_f32_e32 v9, v6
	v_fmac_f32_e32 v8, 0x32a5705f, v4
	v_sub_f32_e32 v6, v6, v9
	v_add_f32_e32 v6, v6, v8
	v_cvt_i32_f32_e32 v8, v9
	v_exp_f32_e32 v6, v6
	v_ldexp_f32 v6, v6, v8
	v_lshlrev_b64 v[8:9], 2, v[0:1]
	v_add_nc_u32_e32 v0, s0, v0
	v_cndmask_b32_e32 v6, 0, v6, vcc_lo
	v_cmp_nlt_f32_e32 vcc_lo, 0x42b17218, v4
	v_cndmask_b32_e32 v4, 0x7f800000, v6, vcc_lo
	v_add_co_u32 v8, vcc_lo, s2, v8
	v_add_co_ci_u32_e64 v9, null, s3, v9, vcc_lo
	global_store_dword v[8:9], v4, off
	v_fmaak_f32 v4, s5, v2, 0x418c9d1a
	v_fmamk_f32 v4, v3, 0xc71c780c, v4
	v_mul_f32_e32 v6, 0x3fb8aa3b, v4
	v_cmp_ngt_f32_e32 vcc_lo, 0xc2ce8ed0, v4
	v_fma_f32 v8, 0x3fb8aa3b, v4, -v6
	v_rndne_f32_e32 v9, v6
	v_fmac_f32_e32 v8, 0x32a5705f, v4
	v_sub_f32_e32 v6, v6, v9
	v_add_f32_e32 v6, v6, v8
	v_cvt_i32_f32_e32 v8, v9
	v_exp_f32_e32 v6, v6
	v_ldexp_f32 v6, v6, v8
	v_lshlrev_b64 v[8:9], 2, v[0:1]
	v_add_nc_u32_e32 v0, s0, v0
	v_cndmask_b32_e32 v6, 0, v6, vcc_lo
	v_cmp_nlt_f32_e32 vcc_lo, 0x42b17218, v4
	v_cndmask_b32_e32 v4, 0x7f800000, v6, vcc_lo
	v_add_co_u32 v8, vcc_lo, s2, v8
	v_add_co_ci_u32_e64 v9, null, s3, v9, vcc_lo
	global_store_dword v[8:9], v4, off
	v_fmaak_f32 v4, s1, v3, 0x41e460e5
	s_mov_b32 s1, 0xc6398fa7
	v_mul_f32_e32 v6, 0x3fb8aa3b, v4
	v_cmp_ngt_f32_e32 vcc_lo, 0xc2ce8ed0, v4
	v_fma_f32 v8, 0x3fb8aa3b, v4, -v6
	v_rndne_f32_e32 v9, v6
	v_fmac_f32_e32 v8, 0x32a5705f, v4
	v_sub_f32_e32 v6, v6, v9
	v_add_f32_e32 v6, v6, v8
	v_cvt_i32_f32_e32 v8, v9
	v_exp_f32_e32 v6, v6
	v_ldexp_f32 v6, v6, v8
	v_lshlrev_b64 v[8:9], 2, v[0:1]
	v_add_nc_u32_e32 v0, s0, v0
	v_cndmask_b32_e32 v6, 0, v6, vcc_lo
	v_cmp_nlt_f32_e32 vcc_lo, 0x42b17218, v4
	v_cndmask_b32_e32 v4, 0x7f800000, v6, vcc_lo
	v_add_co_u32 v8, vcc_lo, s2, v8
	v_add_co_ci_u32_e64 v9, null, s3, v9, vcc_lo
	global_store_dword v[8:9], v4, off
	v_fmaak_f32 v4, s1, v3, 0x4202910e
	s_mov_b32 s1, 0x3fe51eb8
	v_mul_f32_e32 v6, 0x3fb8aa3b, v4
	v_cmp_ngt_f32_e32 vcc_lo, 0xc2ce8ed0, v4
	v_fma_f32 v8, 0x3fb8aa3b, v4, -v6
	v_rndne_f32_e32 v9, v6
	v_fmac_f32_e32 v8, 0x32a5705f, v4
	v_sub_f32_e32 v6, v6, v9
	v_add_f32_e32 v6, v6, v8
	v_cvt_i32_f32_e32 v8, v9
	v_exp_f32_e32 v6, v6
	v_ldexp_f32 v6, v6, v8
	v_lshlrev_b64 v[8:9], 2, v[0:1]
	v_add_nc_u32_e32 v0, s0, v0
	v_cndmask_b32_e32 v6, 0, v6, vcc_lo
	v_cmp_nlt_f32_e32 vcc_lo, 0x42b17218, v4
	v_cndmask_b32_e32 v4, 0x7f800000, v6, vcc_lo
	v_add_co_u32 v8, vcc_lo, s2, v8
	v_add_co_ci_u32_e64 v9, null, s3, v9, vcc_lo
	v_mov_b32_e32 v6, 0x55da475b
	global_store_dword v[8:9], v4, off
	v_lshlrev_b64 v[8:9], 2, v[0:1]
	v_mov_b32_e32 v4, 0x564f5d63
	v_add_nc_u32_e32 v0, s0, v0
	v_add_co_u32 v8, vcc_lo, s2, v8
	v_add_co_ci_u32_e64 v9, null, s3, v9, vcc_lo
	global_store_dword v[8:9], v4, off
	v_lshlrev_b64 v[8:9], 2, v[0:1]
	v_fmaak_f32 v4, s1, v2, 0x41942dbe
	v_add_nc_u32_e32 v0, s0, v0
	s_mov_b32 s1, 0x43bdf6dc
	v_add_co_u32 v8, vcc_lo, s2, v8
	v_add_co_ci_u32_e64 v9, null, s3, v9, vcc_lo
	v_fmamk_f32 v4, v3, 0xc45217cc, v4
	global_store_dword v[8:9], v6, off
	v_mul_f32_e32 v8, 0x3fb8aa3b, v4
	v_cmp_ngt_f32_e32 vcc_lo, 0xc2ce8ed0, v4
	v_fma_f32 v9, 0x3fb8aa3b, v4, -v8
	v_rndne_f32_e32 v10, v8
	v_fmac_f32_e32 v9, 0x32a5705f, v4
	v_sub_f32_e32 v8, v8, v10
	v_add_f32_e32 v8, v8, v9
	v_cvt_i32_f32_e32 v9, v10
	v_exp_f32_e32 v8, v8
	v_ldexp_f32 v8, v8, v9
	v_cndmask_b32_e32 v8, 0, v8, vcc_lo
	v_cmp_nlt_f32_e32 vcc_lo, 0x42b17218, v4
	v_cndmask_b32_e32 v4, 0x7f800000, v8, vcc_lo
	v_lshlrev_b64 v[8:9], 2, v[0:1]
	v_add_nc_u32_e32 v0, s0, v0
	v_add_co_u32 v8, vcc_lo, s2, v8
	v_add_co_ci_u32_e64 v9, null, s3, v9, vcc_lo
	global_store_dword v[8:9], v4, off
	v_fmaak_f32 v4, s1, v3, 0x41eafc65
	s_mov_b32 s1, 0xc3ad9c19
	v_mul_f32_e32 v8, 0x3fb8aa3b, v4
	v_cmp_ngt_f32_e32 vcc_lo, 0xc2ce8ed0, v4
	v_fma_f32 v9, 0x3fb8aa3b, v4, -v8
	v_rndne_f32_e32 v10, v8
	v_fmac_f32_e32 v9, 0x32a5705f, v4
	v_sub_f32_e32 v8, v8, v10
	v_add_f32_e32 v8, v8, v9
	v_cvt_i32_f32_e32 v9, v10
	v_exp_f32_e32 v8, v8
	v_ldexp_f32 v8, v8, v9
	v_cndmask_b32_e32 v8, 0, v8, vcc_lo
	v_cmp_nlt_f32_e32 vcc_lo, 0x42b17218, v4
	v_cndmask_b32_e32 v4, 0x7f800000, v8, vcc_lo
	v_lshlrev_b64 v[8:9], 2, v[0:1]
	v_add_nc_u32_e32 v0, s0, v0
	v_add_co_u32 v8, vcc_lo, s2, v8
	v_add_co_ci_u32_e64 v9, null, s3, v9, vcc_lo
	global_store_dword v[8:9], v4, off
	v_lshlrev_b64 v[8:9], 2, v[0:1]
	v_mov_b32_e32 v4, 0x55f01b4a
	v_add_nc_u32_e32 v0, s0, v0
	v_add_co_u32 v8, vcc_lo, s2, v8
	v_add_co_ci_u32_e64 v9, null, s3, v9, vcc_lo
	global_store_dword v[8:9], v4, off
	v_lshlrev_b64 v[8:9], 2, v[0:1]
	v_mov_b32_e32 v4, 0x5635e621
	v_add_nc_u32_e32 v0, s0, v0
	v_add_co_u32 v8, vcc_lo, s2, v8
	v_add_co_ci_u32_e64 v9, null, s3, v9, vcc_lo
	global_store_dword v[8:9], v4, off
	v_fmaak_f32 v8, s1, v3, 0x41e6d6a0
	s_mov_b32 s1, 0x3ef5c28f
	v_mul_f32_e32 v9, 0x3fb8aa3b, v8
	v_cmp_ngt_f32_e32 vcc_lo, 0xc2ce8ed0, v8
	v_fma_f32 v10, 0x3fb8aa3b, v8, -v9
	v_rndne_f32_e32 v11, v9
	v_fmac_f32_e32 v10, 0x32a5705f, v8
	v_sub_f32_e32 v9, v9, v11
	v_add_f32_e32 v9, v9, v10
	v_cvt_i32_f32_e32 v10, v11
	v_exp_f32_e32 v9, v9
	v_ldexp_f32 v9, v9, v10
	v_cndmask_b32_e32 v9, 0, v9, vcc_lo
	v_cmp_nlt_f32_e32 vcc_lo, 0x42b17218, v8
	v_cndmask_b32_e32 v10, 0x7f800000, v9, vcc_lo
	v_lshlrev_b64 v[8:9], 2, v[0:1]
	v_add_nc_u32_e32 v0, s0, v0
	v_add_co_u32 v8, vcc_lo, s2, v8
	v_add_co_ci_u32_e64 v9, null, s3, v9, vcc_lo
	global_store_dword v[8:9], v10, off
	v_fmaak_f32 v8, s1, v2, 0x41ddbcd3
	s_mov_b32 s1, 0xc3494963
	v_fmamk_f32 v8, v3, 0x4302d61a, v8
	v_mul_f32_e32 v9, 0x3fb8aa3b, v8
	v_cmp_ngt_f32_e32 vcc_lo, 0xc2ce8ed0, v8
	v_fma_f32 v10, 0x3fb8aa3b, v8, -v9
	v_rndne_f32_e32 v11, v9
	v_fmac_f32_e32 v10, 0x32a5705f, v8
	v_sub_f32_e32 v9, v9, v11
	v_add_f32_e32 v9, v9, v10
	v_cvt_i32_f32_e32 v10, v11
	v_exp_f32_e32 v9, v9
	v_ldexp_f32 v9, v9, v10
	v_cndmask_b32_e32 v9, 0, v9, vcc_lo
	v_cmp_nlt_f32_e32 vcc_lo, 0x42b17218, v8
	v_cndmask_b32_e32 v10, 0x7f800000, v9, vcc_lo
	v_lshlrev_b64 v[8:9], 2, v[0:1]
	v_add_nc_u32_e32 v0, s0, v0
	v_add_co_u32 v8, vcc_lo, s2, v8
	v_add_co_ci_u32_e64 v9, null, s3, v9, vcc_lo
	global_store_dword v[8:9], v10, off
	v_lshlrev_b64 v[8:9], 2, v[0:1]
	v_mov_b32_e32 v10, 0x5685838a
	v_add_nc_u32_e32 v0, s0, v0
	v_add_co_u32 v8, vcc_lo, s2, v8
	v_add_co_ci_u32_e64 v9, null, s3, v9, vcc_lo
	global_store_dword v[8:9], v10, off
	v_lshlrev_b64 v[8:9], 2, v[0:1]
	v_add_nc_u32_e32 v0, s0, v0
	v_add_co_u32 v8, vcc_lo, s2, v8
	v_add_co_ci_u32_e64 v9, null, s3, v9, vcc_lo
	global_store_dword v[8:9], v6, off
	v_lshlrev_b64 v[8:9], 2, v[0:1]
	;; [unrolled: 5-line block ×3, first 2 shown]
	v_add_nc_u32_e32 v0, s0, v0
	v_add_co_u32 v8, vcc_lo, s2, v8
	v_add_co_ci_u32_e64 v9, null, s3, v9, vcc_lo
	global_store_dword v[8:9], v4, off
	v_sub_f32_e32 v8, 0x421f145d, v2
	v_fmamk_f32 v8, v3, 0xc605aabc, v8
	v_mul_f32_e32 v9, 0x3fb8aa3b, v8
	v_cmp_ngt_f32_e32 vcc_lo, 0xc2ce8ed0, v8
	v_fma_f32 v10, 0x3fb8aa3b, v8, -v9
	v_rndne_f32_e32 v11, v9
	v_fmac_f32_e32 v10, 0x32a5705f, v8
	v_sub_f32_e32 v9, v9, v11
	v_add_f32_e32 v9, v9, v10
	v_cvt_i32_f32_e32 v10, v11
	v_exp_f32_e32 v9, v9
	v_ldexp_f32 v9, v9, v10
	v_cndmask_b32_e32 v9, 0, v9, vcc_lo
	v_cmp_nlt_f32_e32 vcc_lo, 0x42b17218, v8
	v_cndmask_b32_e32 v10, 0x7f800000, v9, vcc_lo
	v_lshlrev_b64 v[8:9], 2, v[0:1]
	v_add_nc_u32_e32 v0, s0, v0
	v_add_co_u32 v8, vcc_lo, s2, v8
	v_add_co_ci_u32_e64 v9, null, s3, v9, vcc_lo
	global_store_dword v[8:9], v10, off
	v_fmaak_f32 v8, s1, v3, 0x41ed45fb
	s_mov_b32 s1, 0xbf4ccccd
	v_mul_f32_e32 v9, 0x3fb8aa3b, v8
	v_cmp_ngt_f32_e32 vcc_lo, 0xc2ce8ed0, v8
	v_fma_f32 v10, 0x3fb8aa3b, v8, -v9
	v_rndne_f32_e32 v11, v9
	v_fmac_f32_e32 v10, 0x32a5705f, v8
	v_sub_f32_e32 v9, v9, v11
	v_add_f32_e32 v9, v9, v10
	v_cvt_i32_f32_e32 v10, v11
	v_exp_f32_e32 v9, v9
	v_ldexp_f32 v9, v9, v10
	v_cndmask_b32_e32 v9, 0, v9, vcc_lo
	v_cmp_nlt_f32_e32 vcc_lo, 0x42b17218, v8
	v_cndmask_b32_e32 v10, 0x7f800000, v9, vcc_lo
	v_lshlrev_b64 v[8:9], 2, v[0:1]
	v_add_nc_u32_e32 v0, s0, v0
	v_add_co_u32 v8, vcc_lo, s2, v8
	v_add_co_ci_u32_e64 v9, null, s3, v9, vcc_lo
	global_store_dword v[8:9], v10, off
	v_fmaak_f32 v8, s1, v2, 0x421707d6
	s_mov_b32 s1, 0xc396f70a
	v_mul_f32_e32 v9, 0x3fb8aa3b, v8
	v_cmp_ngt_f32_e32 vcc_lo, 0xc2ce8ed0, v8
	v_fma_f32 v10, 0x3fb8aa3b, v8, -v9
	v_rndne_f32_e32 v11, v9
	v_fmac_f32_e32 v10, 0x32a5705f, v8
	v_sub_f32_e32 v9, v9, v11
	v_add_f32_e32 v9, v9, v10
	v_cvt_i32_f32_e32 v10, v11
	v_exp_f32_e32 v9, v9
	v_ldexp_f32 v9, v9, v10
	v_cndmask_b32_e32 v9, 0, v9, vcc_lo
	v_cmp_nlt_f32_e32 vcc_lo, 0x42b17218, v8
	v_cndmask_b32_e32 v10, 0x7f800000, v9, vcc_lo
	v_lshlrev_b64 v[8:9], 2, v[0:1]
	v_add_nc_u32_e32 v0, s0, v0
	v_add_co_u32 v8, vcc_lo, s2, v8
	v_add_co_ci_u32_e64 v9, null, s3, v9, vcc_lo
	global_store_dword v[8:9], v10, off
	v_fmaak_f32 v8, 2.0, v2, 0x4151f533
	v_fmamk_f32 v8, v3, 0xc563641b, v8
	v_mul_f32_e32 v9, 0x3fb8aa3b, v8
	v_cmp_ngt_f32_e32 vcc_lo, 0xc2ce8ed0, v8
	v_fma_f32 v10, 0x3fb8aa3b, v8, -v9
	v_rndne_f32_e32 v11, v9
	v_fmac_f32_e32 v10, 0x32a5705f, v8
	v_sub_f32_e32 v9, v9, v11
	v_add_f32_e32 v9, v9, v10
	v_cvt_i32_f32_e32 v10, v11
	v_exp_f32_e32 v9, v9
	v_ldexp_f32 v9, v9, v10
	v_cndmask_b32_e32 v9, 0, v9, vcc_lo
	v_cmp_nlt_f32_e32 vcc_lo, 0x42b17218, v8
	v_cndmask_b32_e32 v10, 0x7f800000, v9, vcc_lo
	v_lshlrev_b64 v[8:9], 2, v[0:1]
	v_add_nc_u32_e32 v0, s0, v0
	v_add_co_u32 v8, vcc_lo, s2, v8
	v_add_co_ci_u32_e64 v9, null, s3, v9, vcc_lo
	global_store_dword v[8:9], v10, off
	v_lshlrev_b64 v[8:9], 2, v[0:1]
	v_mov_b32_e32 v10, 0x569184e7
	v_add_nc_u32_e32 v0, s0, v0
	v_add_co_u32 v8, vcc_lo, s2, v8
	v_add_co_ci_u32_e64 v9, null, s3, v9, vcc_lo
	global_store_dword v[8:9], v10, off
	v_mul_f32_e32 v8, 0xc43cb4cd, v3
	v_mul_f32_e32 v9, 0x3fb8aa3b, v8
	v_cmp_ngt_f32_e32 vcc_lo, 0xc2ce8ed0, v8
	v_fma_f32 v10, 0x3fb8aa3b, v8, -v9
	v_rndne_f32_e32 v11, v9
	v_fmac_f32_e32 v10, 0x32a5705f, v8
	v_sub_f32_e32 v9, v9, v11
	v_add_f32_e32 v9, v9, v10
	v_cvt_i32_f32_e32 v10, v11
	v_exp_f32_e32 v9, v9
	v_ldexp_f32 v9, v9, v10
	v_cndmask_b32_e32 v9, 0, v9, vcc_lo
	v_cmp_nlt_f32_e32 vcc_lo, 0x42b17218, v8
	v_cndmask_b32_e32 v10, 0x7f800000, v9, vcc_lo
	v_lshlrev_b64 v[8:9], 2, v[0:1]
	v_add_nc_u32_e32 v0, s0, v0
	v_mul_f32_e32 v11, 0x5519ab11, v10
	v_mul_f32_e32 v10, 0x5419ab11, v10
	v_add_co_u32 v8, vcc_lo, s2, v8
	v_add_co_ci_u32_e64 v9, null, s3, v9, vcc_lo
	global_store_dword v[8:9], v11, off
	v_lshlrev_b64 v[8:9], 2, v[0:1]
	v_add_nc_u32_e32 v0, s0, v0
	v_add_co_u32 v8, vcc_lo, s2, v8
	v_add_co_ci_u32_e64 v9, null, s3, v9, vcc_lo
	global_store_dword v[8:9], v10, off
	v_lshlrev_b64 v[8:9], 2, v[0:1]
	v_add_nc_u32_e32 v0, s0, v0
	v_add_co_u32 v8, vcc_lo, s2, v8
	v_add_co_ci_u32_e64 v9, null, s3, v9, vcc_lo
	global_store_dword v[8:9], v5, off
	v_fmaak_f32 v8, 2.0, v2, 0x4181ec29
	v_fmac_f32_e32 v8, 0xc4bcb4cd, v3
	v_mul_f32_e32 v9, 0x3fb8aa3b, v8
	v_cmp_ngt_f32_e32 vcc_lo, 0xc2ce8ed0, v8
	v_fma_f32 v10, 0x3fb8aa3b, v8, -v9
	v_rndne_f32_e32 v11, v9
	v_fmac_f32_e32 v10, 0x32a5705f, v8
	v_sub_f32_e32 v9, v9, v11
	v_add_f32_e32 v9, v9, v10
	v_cvt_i32_f32_e32 v10, v11
	v_exp_f32_e32 v9, v9
	v_ldexp_f32 v9, v9, v10
	v_cndmask_b32_e32 v9, 0, v9, vcc_lo
	v_cmp_nlt_f32_e32 vcc_lo, 0x42b17218, v8
	v_cndmask_b32_e32 v10, 0x7f800000, v9, vcc_lo
	v_lshlrev_b64 v[8:9], 2, v[0:1]
	v_add_nc_u32_e32 v0, s0, v0
	v_add_co_u32 v8, vcc_lo, s2, v8
	v_add_co_ci_u32_e64 v9, null, s3, v9, vcc_lo
	global_store_dword v[8:9], v10, off
	v_lshlrev_b64 v[8:9], 2, v[0:1]
	v_add_nc_u32_e32 v0, s0, v0
	v_add_co_u32 v8, vcc_lo, s2, v8
	v_add_co_ci_u32_e64 v9, null, s3, v9, vcc_lo
	global_store_dword v[8:9], v5, off
	v_fmaak_f32 v8, 0.5, v2, 0x41db5cc6
	v_fmamk_f32 v8, v3, 0xc50dd81d, v8
	v_mul_f32_e32 v9, 0x3fb8aa3b, v8
	v_cmp_ngt_f32_e32 vcc_lo, 0xc2ce8ed0, v8
	v_fma_f32 v10, 0x3fb8aa3b, v8, -v9
	v_rndne_f32_e32 v11, v9
	v_fmac_f32_e32 v10, 0x32a5705f, v8
	v_sub_f32_e32 v9, v9, v11
	v_add_f32_e32 v9, v9, v10
	v_cvt_i32_f32_e32 v10, v11
	v_exp_f32_e32 v9, v9
	v_ldexp_f32 v9, v9, v10
	v_cndmask_b32_e32 v9, 0, v9, vcc_lo
	v_cmp_nlt_f32_e32 vcc_lo, 0x42b17218, v8
	v_cndmask_b32_e32 v10, 0x7f800000, v9, vcc_lo
	v_lshlrev_b64 v[8:9], 2, v[0:1]
	v_add_nc_u32_e32 v0, s0, v0
	v_add_co_u32 v8, vcc_lo, s2, v8
	v_add_co_ci_u32_e64 v9, null, s3, v9, vcc_lo
	global_store_dword v[8:9], v10, off
	v_lshlrev_b64 v[8:9], 2, v[0:1]
	v_add_nc_u32_e32 v0, s0, v0
	v_add_co_u32 v10, vcc_lo, s2, v8
	v_add_co_ci_u32_e64 v11, null, s3, v9, vcc_lo
	v_mov_b32_e32 v9, 0x561184e7
	v_mov_b32_e32 v8, 0x55e8d4a5
	global_store_dword v[10:11], v9, off
	v_lshlrev_b64 v[10:11], 2, v[0:1]
	v_add_nc_u32_e32 v0, s0, v0
	v_add_co_u32 v10, vcc_lo, s2, v10
	v_add_co_ci_u32_e64 v11, null, s3, v11, vcc_lo
	global_store_dword v[10:11], v8, off
	v_fmaak_f32 v10, s1, v3, 0x41f2b66b
	s_mov_b32 s1, 0x3f866666
	v_mul_f32_e32 v11, 0x3fb8aa3b, v10
	v_cmp_ngt_f32_e32 vcc_lo, 0xc2ce8ed0, v10
	v_fma_f32 v12, 0x3fb8aa3b, v10, -v11
	v_rndne_f32_e32 v13, v11
	v_fmac_f32_e32 v12, 0x32a5705f, v10
	v_sub_f32_e32 v11, v11, v13
	v_add_f32_e32 v11, v11, v12
	v_cvt_i32_f32_e32 v12, v13
	v_exp_f32_e32 v11, v11
	v_ldexp_f32 v11, v11, v12
	v_cndmask_b32_e32 v11, 0, v11, vcc_lo
	v_cmp_nlt_f32_e32 vcc_lo, 0x42b17218, v10
	v_cndmask_b32_e32 v12, 0x7f800000, v11, vcc_lo
	v_lshlrev_b64 v[10:11], 2, v[0:1]
	v_add_nc_u32_e32 v0, s0, v0
	v_add_co_u32 v10, vcc_lo, s2, v10
	v_add_co_ci_u32_e64 v11, null, s3, v11, vcc_lo
	global_store_dword v[10:11], v12, off
	v_lshlrev_b64 v[10:11], 2, v[0:1]
	v_add_nc_u32_e32 v0, s0, v0
	v_mov_b32_e32 v12, 0x555a475b
	v_add_co_u32 v10, vcc_lo, s2, v10
	v_add_co_ci_u32_e64 v11, null, s3, v11, vcc_lo
	global_store_dword v[10:11], v6, off
	v_lshlrev_b64 v[10:11], 2, v[0:1]
	v_add_nc_u32_e32 v0, s0, v0
	v_add_co_u32 v10, vcc_lo, s2, v10
	v_add_co_ci_u32_e64 v11, null, s3, v11, vcc_lo
	global_store_dword v[10:11], v12, off
	v_lshlrev_b64 v[10:11], 2, v[0:1]
	v_add_nc_u32_e32 v0, s0, v0
	;; [unrolled: 5-line block ×3, first 2 shown]
	v_mov_b32_e32 v12, 0x567ea895
	v_add_co_u32 v10, vcc_lo, s2, v10
	v_add_co_ci_u32_e64 v11, null, s3, v11, vcc_lo
	global_store_dword v[10:11], v6, off
	v_lshlrev_b64 v[10:11], 2, v[0:1]
	v_add_nc_u32_e32 v0, s0, v0
	v_add_co_u32 v10, vcc_lo, s2, v10
	v_add_co_ci_u32_e64 v11, null, s3, v11, vcc_lo
	global_store_dword v[10:11], v12, off
	v_lshlrev_b64 v[10:11], 2, v[0:1]
	v_mov_b32_e32 v12, 0x55cbba10
	v_add_nc_u32_e32 v0, s0, v0
	v_add_co_u32 v10, vcc_lo, s2, v10
	v_add_co_ci_u32_e64 v11, null, s3, v11, vcc_lo
	global_store_dword v[10:11], v12, off
	v_lshlrev_b64 v[10:11], 2, v[0:1]
	v_mov_b32_e32 v12, 0x552e9f7c
	v_add_nc_u32_e32 v0, s0, v0
	v_add_co_u32 v10, vcc_lo, s2, v10
	v_add_co_ci_u32_e64 v11, null, s3, v11, vcc_lo
	global_store_dword v[10:11], v12, off
	v_lshlrev_b64 v[10:11], 2, v[0:1]
	v_add_nc_u32_e32 v0, s0, v0
	v_mov_b32_e32 v12, 0x5502f79d
	v_add_co_u32 v10, vcc_lo, s2, v10
	v_add_co_ci_u32_e64 v11, null, s3, v11, vcc_lo
	global_store_dword v[10:11], v6, off
	v_lshlrev_b64 v[10:11], 2, v[0:1]
	v_add_nc_u32_e32 v0, s0, v0
	v_add_co_u32 v10, vcc_lo, s2, v10
	v_add_co_ci_u32_e64 v11, null, s3, v11, vcc_lo
	global_store_dword v[10:11], v12, off
	v_lshlrev_b64 v[10:11], 2, v[0:1]
	v_mov_b32_e32 v12, 0x54cbba10
	v_add_nc_u32_e32 v0, s0, v0
	v_add_co_u32 v10, vcc_lo, s2, v10
	v_add_co_ci_u32_e64 v11, null, s3, v11, vcc_lo
	global_store_dword v[10:11], v12, off
	v_lshlrev_b64 v[10:11], 2, v[0:1]
	v_mov_b32_e32 v12, 0x554bba10
	v_add_nc_u32_e32 v0, s0, v0
	v_add_co_u32 v10, vcc_lo, s2, v10
	v_add_co_ci_u32_e64 v11, null, s3, v11, vcc_lo
	global_store_dword v[10:11], v12, off
	v_fmaak_f32 v10, s4, v2, 0x41d81e62
	v_fmamk_f32 v10, v3, 0xc4a38ba0, v10
	v_mul_f32_e32 v11, 0x3fb8aa3b, v10
	v_cmp_ngt_f32_e32 vcc_lo, 0xc2ce8ed0, v10
	v_fma_f32 v12, 0x3fb8aa3b, v10, -v11
	v_rndne_f32_e32 v13, v11
	v_fmac_f32_e32 v12, 0x32a5705f, v10
	v_sub_f32_e32 v11, v11, v13
	v_add_f32_e32 v11, v11, v12
	v_cvt_i32_f32_e32 v12, v13
	v_exp_f32_e32 v11, v11
	v_ldexp_f32 v11, v11, v12
	v_cndmask_b32_e32 v11, 0, v11, vcc_lo
	v_cmp_nlt_f32_e32 vcc_lo, 0x42b17218, v10
	v_cndmask_b32_e32 v12, 0x7f800000, v11, vcc_lo
	v_lshlrev_b64 v[10:11], 2, v[0:1]
	v_add_nc_u32_e32 v0, s0, v0
	v_add_co_u32 v10, vcc_lo, s2, v10
	v_add_co_ci_u32_e64 v11, null, s3, v11, vcc_lo
	global_store_dword v[10:11], v12, off
	v_fmaak_f32 v10, s1, v2, 0x41bedebe
	s_mov_b32 s1, 0xc4deac62
	v_fmamk_f32 v10, v3, 0xc4ce011b, v10
	v_mul_f32_e32 v11, 0x3fb8aa3b, v10
	v_cmp_ngt_f32_e32 vcc_lo, 0xc2ce8ed0, v10
	v_fma_f32 v12, 0x3fb8aa3b, v10, -v11
	v_rndne_f32_e32 v13, v11
	v_fmac_f32_e32 v12, 0x32a5705f, v10
	v_sub_f32_e32 v11, v11, v13
	v_add_f32_e32 v11, v11, v12
	v_cvt_i32_f32_e32 v12, v13
	v_exp_f32_e32 v11, v11
	v_ldexp_f32 v11, v11, v12
	v_cndmask_b32_e32 v11, 0, v11, vcc_lo
	v_cmp_nlt_f32_e32 vcc_lo, 0x42b17218, v10
	v_cndmask_b32_e32 v12, 0x7f800000, v11, vcc_lo
	v_lshlrev_b64 v[10:11], 2, v[0:1]
	v_add_nc_u32_e32 v0, s0, v0
	v_add_co_u32 v10, vcc_lo, s2, v10
	v_add_co_ci_u32_e64 v11, null, s3, v11, vcc_lo
	global_store_dword v[10:11], v12, off
	v_fmaak_f32 v10, s1, v3, 0x41fa5b4e
	s_mov_b32 s1, 0x3f970a3d
	v_mul_f32_e32 v11, 0x3fb8aa3b, v10
	v_cmp_ngt_f32_e32 vcc_lo, 0xc2ce8ed0, v10
	v_fma_f32 v12, 0x3fb8aa3b, v10, -v11
	v_rndne_f32_e32 v13, v11
	v_fmac_f32_e32 v12, 0x32a5705f, v10
	v_sub_f32_e32 v11, v11, v13
	v_add_f32_e32 v11, v11, v12
	v_cvt_i32_f32_e32 v12, v13
	v_exp_f32_e32 v11, v11
	v_ldexp_f32 v11, v11, v12
	v_cndmask_b32_e32 v11, 0, v11, vcc_lo
	v_cmp_nlt_f32_e32 vcc_lo, 0x42b17218, v10
	v_cndmask_b32_e32 v12, 0x7f800000, v11, vcc_lo
	v_lshlrev_b64 v[10:11], 2, v[0:1]
	v_add_nc_u32_e32 v0, s0, v0
	v_add_co_u32 v10, vcc_lo, s2, v10
	v_add_co_ci_u32_e64 v11, null, s3, v11, vcc_lo
	global_store_dword v[10:11], v12, off
	v_fmaak_f32 v10, s1, v2, 0x41afa588
	s_mov_b32 s1, 0xc69d4155
	v_fmamk_f32 v10, v3, 0x4360f017, v10
	v_mul_f32_e32 v11, 0x3fb8aa3b, v10
	v_cmp_ngt_f32_e32 vcc_lo, 0xc2ce8ed0, v10
	v_fma_f32 v12, 0x3fb8aa3b, v10, -v11
	v_rndne_f32_e32 v13, v11
	v_fmac_f32_e32 v12, 0x32a5705f, v10
	v_sub_f32_e32 v11, v11, v13
	v_add_f32_e32 v11, v11, v12
	v_cvt_i32_f32_e32 v12, v13
	v_exp_f32_e32 v11, v11
	v_ldexp_f32 v11, v11, v12
	v_cndmask_b32_e32 v11, 0, v11, vcc_lo
	v_cmp_nlt_f32_e32 vcc_lo, 0x42b17218, v10
	v_cndmask_b32_e32 v12, 0x7f800000, v11, vcc_lo
	v_lshlrev_b64 v[10:11], 2, v[0:1]
	v_add_nc_u32_e32 v0, s0, v0
	v_add_co_u32 v10, vcc_lo, s2, v10
	v_add_co_ci_u32_e64 v11, null, s3, v11, vcc_lo
	global_store_dword v[10:11], v12, off
	v_fmaak_f32 v10, s1, v3, 0x4200f1dc
	s_lshl_b32 s1, s0, 1
	v_mul_f32_e32 v11, 0x3fb8aa3b, v10
	v_cmp_ngt_f32_e32 vcc_lo, 0xc2ce8ed0, v10
	v_fma_f32 v12, 0x3fb8aa3b, v10, -v11
	v_rndne_f32_e32 v13, v11
	v_fmac_f32_e32 v12, 0x32a5705f, v10
	v_sub_f32_e32 v11, v11, v13
	v_add_f32_e32 v11, v11, v12
	v_cvt_i32_f32_e32 v12, v13
	v_exp_f32_e32 v11, v11
	v_ldexp_f32 v11, v11, v12
	v_cndmask_b32_e32 v11, 0, v11, vcc_lo
	v_cmp_nlt_f32_e32 vcc_lo, 0x42b17218, v10
	v_cndmask_b32_e32 v12, 0x7f800000, v11, vcc_lo
	v_lshlrev_b64 v[10:11], 2, v[0:1]
	v_add_nc_u32_e32 v0, s0, v0
	v_add_co_u32 v10, vcc_lo, s2, v10
	v_add_co_ci_u32_e64 v11, null, s3, v11, vcc_lo
	global_store_dword v[10:11], v12, off
	v_mul_f32_e32 v10, 0xc57b9bbc, v3
	v_mul_f32_e32 v11, 0x3fb8aa3b, v10
	v_cmp_ngt_f32_e32 vcc_lo, 0xc2ce8ed0, v10
	v_fma_f32 v12, 0x3fb8aa3b, v10, -v11
	v_rndne_f32_e32 v13, v11
	v_fmac_f32_e32 v12, 0x32a5705f, v10
	v_sub_f32_e32 v11, v11, v13
	v_add_f32_e32 v11, v11, v12
	v_cvt_i32_f32_e32 v12, v13
	v_exp_f32_e32 v11, v11
	v_ldexp_f32 v11, v11, v12
	v_cndmask_b32_e32 v11, 0, v11, vcc_lo
	v_cmp_nlt_f32_e32 vcc_lo, 0x42b17218, v10
	v_cndmask_b32_e32 v13, 0x7f800000, v11, vcc_lo
	v_lshlrev_b64 v[10:11], 2, v[0:1]
	v_mul_f32_e32 v12, 0x5368d4a5, v13
	v_mul_f32_e32 v14, 0x5635e621, v13
	v_add_co_u32 v10, vcc_lo, s2, v10
	v_add_co_ci_u32_e64 v11, null, s3, v11, vcc_lo
	global_store_dword v[10:11], v12, off
	v_mad_u64_u32 v[10:11], null, s0, 51, v[0:1]
	v_mov_b32_e32 v11, v1
	v_lshlrev_b64 v[11:12], 2, v[10:11]
	v_add_nc_u32_e32 v0, s1, v10
	v_add_co_u32 v11, vcc_lo, s2, v11
	v_add_co_ci_u32_e64 v12, null, s3, v12, vcc_lo
	global_store_dword v[11:12], v14, off
	v_lshlrev_b64 v[10:11], 2, v[0:1]
	v_mul_f32_e32 v12, 0x551184e7, v13
	v_add_co_u32 v10, vcc_lo, s2, v10
	v_add_co_ci_u32_e64 v11, null, s3, v11, vcc_lo
	global_store_dword v[10:11], v12, off
	v_fmaak_f32 v10, s6, v3, 0x4200b904
	s_mov_b32 s6, 0xbf2147ae
	v_mul_f32_e32 v11, 0x3fb8aa3b, v10
	v_cmp_ngt_f32_e32 vcc_lo, 0xc2ce8ed0, v10
	v_fma_f32 v12, 0x3fb8aa3b, v10, -v11
	v_rndne_f32_e32 v13, v11
	v_fmac_f32_e32 v12, 0x32a5705f, v10
	v_sub_f32_e32 v11, v11, v13
	v_add_f32_e32 v11, v11, v12
	v_cvt_i32_f32_e32 v12, v13
	v_exp_f32_e32 v11, v11
	v_ldexp_f32 v11, v11, v12
	v_cndmask_b32_e32 v11, 0, v11, vcc_lo
	v_cmp_nlt_f32_e32 vcc_lo, 0x42b17218, v10
	v_cndmask_b32_e32 v13, 0x7f800000, v11, vcc_lo
	v_mad_u64_u32 v[10:11], null, 0xffffffcc, s0, v[0:1]
	v_mov_b32_e32 v11, v1
	v_fmaak_f32 v0, s6, v2, 0x4214524f
	s_mov_b32 s6, 0x3fcccccd
	v_lshlrev_b64 v[11:12], 2, v[10:11]
	v_fmamk_f32 v0, v3, 0xc340bb63, v0
	v_add_co_u32 v11, vcc_lo, s2, v11
	v_add_co_ci_u32_e64 v12, null, s3, v12, vcc_lo
	v_cmp_ngt_f32_e32 vcc_lo, 0xc2ce8ed0, v0
	global_store_dword v[11:12], v13, off
	v_mul_f32_e32 v11, 0x3fb8aa3b, v0
	v_fma_f32 v12, 0x3fb8aa3b, v0, -v11
	v_rndne_f32_e32 v13, v11
	v_fmac_f32_e32 v12, 0x32a5705f, v0
	v_sub_f32_e32 v11, v11, v13
	v_add_f32_e32 v11, v11, v12
	v_cvt_i32_f32_e32 v12, v13
	v_exp_f32_e32 v11, v11
	v_ldexp_f32 v11, v11, v12
	v_cndmask_b32_e32 v11, 0, v11, vcc_lo
	v_cmp_nlt_f32_e32 vcc_lo, 0x42b17218, v0
	v_add_nc_u32_e32 v0, s0, v10
	v_cndmask_b32_e32 v12, 0x7f800000, v11, vcc_lo
	v_lshlrev_b64 v[10:11], 2, v[0:1]
	v_add_nc_u32_e32 v0, s0, v0
	v_add_co_u32 v10, vcc_lo, s2, v10
	v_add_co_ci_u32_e64 v11, null, s3, v11, vcc_lo
	global_store_dword v[10:11], v12, off
	v_lshlrev_b64 v[10:11], 2, v[0:1]
	v_mov_b32_e32 v12, 0x5699573f
	v_add_nc_u32_e32 v0, s0, v0
	v_add_co_u32 v10, vcc_lo, s2, v10
	v_add_co_ci_u32_e64 v11, null, s3, v11, vcc_lo
	global_store_dword v[10:11], v12, off
	v_fmaak_f32 v10, s6, v2, 0x418eba16
	v_fmamk_f32 v10, v3, 0xc52a76f3, v10
	v_mul_f32_e32 v11, 0x3fb8aa3b, v10
	v_cmp_ngt_f32_e32 vcc_lo, 0xc2ce8ed0, v10
	v_fma_f32 v12, 0x3fb8aa3b, v10, -v11
	v_rndne_f32_e32 v13, v11
	v_fmac_f32_e32 v12, 0x32a5705f, v10
	v_sub_f32_e32 v11, v11, v13
	v_add_f32_e32 v11, v11, v12
	v_cvt_i32_f32_e32 v12, v13
	v_exp_f32_e32 v11, v11
	v_ldexp_f32 v11, v11, v12
	v_cndmask_b32_e32 v11, 0, v11, vcc_lo
	v_cmp_nlt_f32_e32 vcc_lo, 0x42b17218, v10
	v_cndmask_b32_e32 v12, 0x7f800000, v11, vcc_lo
	v_lshlrev_b64 v[10:11], 2, v[0:1]
	v_add_nc_u32_e32 v0, s0, v0
	v_add_co_u32 v10, vcc_lo, s2, v10
	v_add_co_ci_u32_e64 v11, null, s3, v11, vcc_lo
	global_store_dword v[10:11], v12, off
	v_lshlrev_b64 v[10:11], 2, v[0:1]
	v_mov_b32_e32 v12, 0x55b5f8c1
	v_add_nc_u32_e32 v0, s0, v0
	v_add_co_u32 v10, vcc_lo, s2, v10
	v_add_co_ci_u32_e64 v11, null, s3, v11, vcc_lo
	global_store_dword v[10:11], v12, off
	v_fmaak_f32 v10, s7, v3, 0x41f879e0
	s_mov_b32 s7, 0xc58c960e
	v_mul_f32_e32 v11, 0x3fb8aa3b, v10
	v_cmp_ngt_f32_e32 vcc_lo, 0xc2ce8ed0, v10
	v_fma_f32 v12, 0x3fb8aa3b, v10, -v11
	v_rndne_f32_e32 v13, v11
	v_fmac_f32_e32 v12, 0x32a5705f, v10
	v_sub_f32_e32 v11, v11, v13
	v_add_f32_e32 v11, v11, v12
	v_cvt_i32_f32_e32 v12, v13
	v_exp_f32_e32 v11, v11
	v_ldexp_f32 v11, v11, v12
	v_cndmask_b32_e32 v11, 0, v11, vcc_lo
	v_cmp_nlt_f32_e32 vcc_lo, 0x42b17218, v10
	v_cndmask_b32_e32 v12, 0x7f800000, v11, vcc_lo
	v_lshlrev_b64 v[10:11], 2, v[0:1]
	v_add_nc_u32_e32 v0, s0, v0
	v_add_co_u32 v10, vcc_lo, s2, v10
	v_add_co_ci_u32_e64 v11, null, s3, v11, vcc_lo
	global_store_dword v[10:11], v12, off
	v_fmaak_f32 v10, s7, v3, 0x41c2744c
	s_mov_b32 s7, 0x401e147b
	v_mul_f32_e32 v11, 0x3fb8aa3b, v10
	v_cmp_ngt_f32_e32 vcc_lo, 0xc2ce8ed0, v10
	v_fma_f32 v12, 0x3fb8aa3b, v10, -v11
	v_rndne_f32_e32 v13, v11
	v_fmac_f32_e32 v12, 0x32a5705f, v10
	v_sub_f32_e32 v11, v11, v13
	v_add_f32_e32 v11, v11, v12
	v_cvt_i32_f32_e32 v12, v13
	v_exp_f32_e32 v11, v11
	v_ldexp_f32 v11, v11, v12
	v_cndmask_b32_e32 v11, 0, v11, vcc_lo
	v_cmp_nlt_f32_e32 vcc_lo, 0x42b17218, v10
	v_cndmask_b32_e32 v12, 0x7f800000, v11, vcc_lo
	v_lshlrev_b64 v[10:11], 2, v[0:1]
	v_add_nc_u32_e32 v0, s0, v0
	v_add_co_u32 v10, vcc_lo, s2, v10
	v_add_co_ci_u32_e64 v11, null, s3, v11, vcc_lo
	global_store_dword v[10:11], v12, off
	v_lshlrev_b64 v[10:11], 2, v[0:1]
	v_mov_b32_e32 v12, 0x5368d4a5
	v_add_nc_u32_e32 v0, s0, v0
	v_add_co_u32 v10, vcc_lo, s2, v10
	v_add_co_ci_u32_e64 v11, null, s3, v11, vcc_lo
	global_store_dword v[10:11], v12, off
	v_lshlrev_b64 v[10:11], 2, v[0:1]
	v_mov_b32_e32 v12, 0x5542fee4
	v_add_nc_u32_e32 v0, s0, v0
	v_add_co_u32 v10, vcc_lo, s2, v10
	v_add_co_ci_u32_e64 v11, null, s3, v11, vcc_lo
	global_store_dword v[10:11], v12, off
	v_fmaak_f32 v10, s7, v2, 0x4121b3ee
	s_mov_b32 s7, 0x4033d70a
	v_fmamk_f32 v10, v3, 0xc522ea99, v10
	v_mul_f32_e32 v11, 0x3fb8aa3b, v10
	v_cmp_ngt_f32_e32 vcc_lo, 0xc2ce8ed0, v10
	v_fma_f32 v12, 0x3fb8aa3b, v10, -v11
	v_rndne_f32_e32 v13, v11
	v_fmac_f32_e32 v12, 0x32a5705f, v10
	v_sub_f32_e32 v11, v11, v13
	v_add_f32_e32 v11, v11, v12
	v_cvt_i32_f32_e32 v12, v13
	v_exp_f32_e32 v11, v11
	v_ldexp_f32 v11, v11, v12
	v_cndmask_b32_e32 v11, 0, v11, vcc_lo
	v_cmp_nlt_f32_e32 vcc_lo, 0x42b17218, v10
	v_cndmask_b32_e32 v12, 0x7f800000, v11, vcc_lo
	v_lshlrev_b64 v[10:11], 2, v[0:1]
	v_add_nc_u32_e32 v0, s0, v0
	v_add_co_u32 v10, vcc_lo, s2, v10
	v_add_co_ci_u32_e64 v11, null, s3, v11, vcc_lo
	global_store_dword v[10:11], v12, off
	v_lshlrev_b64 v[10:11], 2, v[0:1]
	v_add_nc_u32_e32 v0, s0, v0
	v_mov_b32_e32 v12, 0x54f6ccec
	v_add_co_u32 v10, vcc_lo, s2, v10
	v_add_co_ci_u32_e64 v11, null, s3, v11, vcc_lo
	global_store_dword v[10:11], v6, off
	v_lshlrev_b64 v[10:11], 2, v[0:1]
	v_add_nc_u32_e32 v0, s0, v0
	v_add_co_u32 v10, vcc_lo, s2, v10
	v_add_co_ci_u32_e64 v11, null, s3, v11, vcc_lo
	global_store_dword v[10:11], v12, off
	v_lshlrev_b64 v[10:11], 2, v[0:1]
	v_mov_b32_e32 v12, 0x5582f79d
	v_add_nc_u32_e32 v0, s0, v0
	v_add_co_u32 v10, vcc_lo, s2, v10
	v_add_co_ci_u32_e64 v11, null, s3, v11, vcc_lo
	global_store_dword v[10:11], v12, off
	v_fmaak_f32 v10, s7, v2, 0x4101b939
	s_mov_b32 s7, 0xbf7851ec
	v_fmamk_f32 v10, v3, 0xc5384d98, v10
	v_mul_f32_e32 v11, 0x3fb8aa3b, v10
	v_cmp_ngt_f32_e32 vcc_lo, 0xc2ce8ed0, v10
	v_fma_f32 v12, 0x3fb8aa3b, v10, -v11
	v_rndne_f32_e32 v13, v11
	v_fmac_f32_e32 v12, 0x32a5705f, v10
	v_sub_f32_e32 v11, v11, v13
	v_add_f32_e32 v11, v11, v12
	v_cvt_i32_f32_e32 v12, v13
	v_exp_f32_e32 v11, v11
	v_ldexp_f32 v11, v11, v12
	v_cndmask_b32_e32 v11, 0, v11, vcc_lo
	v_cmp_nlt_f32_e32 vcc_lo, 0x42b17218, v10
	v_cndmask_b32_e32 v12, 0x7f800000, v11, vcc_lo
	v_lshlrev_b64 v[10:11], 2, v[0:1]
	v_add_nc_u32_e32 v0, s0, v0
	v_add_co_u32 v10, vcc_lo, s2, v10
	v_add_co_ci_u32_e64 v11, null, s3, v11, vcc_lo
	global_store_dword v[10:11], v12, off
	v_lshlrev_b64 v[10:11], 2, v[0:1]
	v_add_nc_u32_e32 v0, s0, v0
	v_add_co_u32 v10, vcc_lo, s2, v10
	v_add_co_ci_u32_e64 v11, null, s3, v11, vcc_lo
	global_store_dword v[10:11], v9, off
	v_mul_f32_e32 v9, 0x438f6ab0, v3
	v_mul_f32_e32 v10, 0x3fb8aa3b, v9
	v_cmp_ngt_f32_e32 vcc_lo, 0xc2ce8ed0, v9
	v_fma_f32 v11, 0x3fb8aa3b, v9, -v10
	v_rndne_f32_e32 v12, v10
	v_fmac_f32_e32 v11, 0x32a5705f, v9
	v_sub_f32_e32 v10, v10, v12
	v_add_f32_e32 v10, v10, v11
	v_cvt_i32_f32_e32 v11, v12
	v_exp_f32_e32 v10, v10
	v_ldexp_f32 v10, v10, v11
	v_cndmask_b32_e32 v10, 0, v10, vcc_lo
	v_cmp_nlt_f32_e32 vcc_lo, 0x42b17218, v9
	v_cndmask_b32_e32 v11, 0x7f800000, v10, vcc_lo
	v_lshlrev_b64 v[9:10], 2, v[0:1]
	v_mul_f32_e32 v12, 0x552e9f7c, v11
	v_add_co_u32 v9, vcc_lo, s2, v9
	v_add_co_ci_u32_e64 v10, null, s3, v10, vcc_lo
	global_store_dword v[9:10], v12, off
	v_mad_u64_u32 v[9:10], null, s0, 15, v[0:1]
	v_mov_b32_e32 v10, v1
	v_mul_f32_e32 v12, 0x5568d4a5, v11
	v_fmaak_f32 v0, s7, v2, 0x42165f01
	s_mov_b32 s7, 0x3dcccccd
	v_lshlrev_b64 v[10:11], 2, v[9:10]
	v_fmamk_f32 v0, v3, 0xc39bff46, v0
	v_add_co_u32 v10, vcc_lo, s2, v10
	v_add_co_ci_u32_e64 v11, null, s3, v11, vcc_lo
	v_cmp_ngt_f32_e32 vcc_lo, 0xc2ce8ed0, v0
	global_store_dword v[10:11], v12, off
	v_mul_f32_e32 v10, 0x3fb8aa3b, v0
	v_fma_f32 v11, 0x3fb8aa3b, v0, -v10
	v_rndne_f32_e32 v12, v10
	v_fmac_f32_e32 v11, 0x32a5705f, v0
	v_sub_f32_e32 v10, v10, v12
	v_add_f32_e32 v10, v10, v11
	v_cvt_i32_f32_e32 v11, v12
	v_exp_f32_e32 v10, v10
	v_ldexp_f32 v10, v10, v11
	v_cndmask_b32_e32 v10, 0, v10, vcc_lo
	v_cmp_nlt_f32_e32 vcc_lo, 0x42b17218, v0
	v_cndmask_b32_e32 v0, 0x7f800000, v10, vcc_lo
	v_mad_u64_u32 v[9:10], null, s0, -14, v[9:10]
	v_mov_b32_e32 v10, v1
	v_lshlrev_b64 v[10:11], 2, v[9:10]
	v_add_co_u32 v10, vcc_lo, s2, v10
	v_add_co_ci_u32_e64 v11, null, s3, v11, vcc_lo
	global_store_dword v[10:11], v0, off
	v_fmaak_f32 v0, s7, v2, 0x41e9e85c
	s_mov_b32 s7, 0x40f33333
	v_fmamk_f32 v0, v3, 0xc5a6b0c6, v0
	v_mul_f32_e32 v10, 0x3fb8aa3b, v0
	v_cmp_ngt_f32_e32 vcc_lo, 0xc2ce8ed0, v0
	v_fma_f32 v11, 0x3fb8aa3b, v0, -v10
	v_rndne_f32_e32 v12, v10
	v_fmac_f32_e32 v11, 0x32a5705f, v0
	v_sub_f32_e32 v10, v10, v12
	v_add_f32_e32 v10, v10, v11
	v_cvt_i32_f32_e32 v11, v12
	v_exp_f32_e32 v10, v10
	v_ldexp_f32 v10, v10, v11
	v_cndmask_b32_e32 v10, 0, v10, vcc_lo
	v_cmp_nlt_f32_e32 vcc_lo, 0x42b17218, v0
	v_add_nc_u32_e32 v0, s0, v9
	v_cndmask_b32_e32 v11, 0x7f800000, v10, vcc_lo
	v_lshlrev_b64 v[9:10], 2, v[0:1]
	v_add_nc_u32_e32 v0, s0, v0
	v_add_co_u32 v9, vcc_lo, s2, v9
	v_add_co_ci_u32_e64 v10, null, s3, v10, vcc_lo
	global_store_dword v[9:10], v11, off
	v_lshlrev_b64 v[9:10], 2, v[0:1]
	v_add_nc_u32_e32 v0, s0, v0
	v_add_co_u32 v9, vcc_lo, s2, v9
	v_add_co_ci_u32_e64 v10, null, s3, v10, vcc_lo
	global_store_dword v[9:10], v4, off
	;; [unrolled: 5-line block ×4, first 2 shown]
	v_lshlrev_b64 v[8:9], 2, v[0:1]
	v_mov_b32_e32 v10, 0x5568d4a5
	v_add_nc_u32_e32 v0, s0, v0
	v_add_co_u32 v8, vcc_lo, s2, v8
	v_add_co_ci_u32_e64 v9, null, s3, v9, vcc_lo
	global_store_dword v[8:9], v10, off
	v_lshlrev_b64 v[8:9], 2, v[0:1]
	v_add_nc_u32_e32 v0, s0, v0
	v_add_co_u32 v10, vcc_lo, s2, v8
	v_add_co_ci_u32_e64 v11, null, s3, v9, vcc_lo
	v_mov_b32_e32 v9, 0x551184e7
	v_mov_b32_e32 v8, 0x549184e7
	global_store_dword v[10:11], v9, off
	v_lshlrev_b64 v[10:11], 2, v[0:1]
	v_add_nc_u32_e32 v0, s0, v0
	v_add_co_u32 v10, vcc_lo, s2, v10
	v_add_co_ci_u32_e64 v11, null, s3, v11, vcc_lo
	global_store_dword v[10:11], v8, off
	v_fmaak_f32 v8, s7, v2, 0xc1e3d654
	s_mov_b32 s7, 0x3fcf5c29
	v_fmamk_f32 v8, v3, 0x44de0b5b, v8
	v_mul_f32_e32 v10, 0x3fb8aa3b, v8
	v_cmp_ngt_f32_e32 vcc_lo, 0xc2ce8ed0, v8
	v_fma_f32 v11, 0x3fb8aa3b, v8, -v10
	v_rndne_f32_e32 v12, v10
	v_fmac_f32_e32 v11, 0x32a5705f, v8
	v_sub_f32_e32 v10, v10, v12
	v_add_f32_e32 v10, v10, v11
	v_cvt_i32_f32_e32 v11, v12
	v_exp_f32_e32 v10, v10
	v_ldexp_f32 v10, v10, v11
	v_cndmask_b32_e32 v10, 0, v10, vcc_lo
	v_cmp_nlt_f32_e32 vcc_lo, 0x42b17218, v8
	v_cndmask_b32_e32 v8, 0x7f800000, v10, vcc_lo
	v_lshlrev_b64 v[10:11], 2, v[0:1]
	v_add_nc_u32_e32 v0, s0, v0
	v_add_co_u32 v10, vcc_lo, s2, v10
	v_add_co_ci_u32_e64 v11, null, s3, v11, vcc_lo
	global_store_dword v[10:11], v8, off
	v_fmaak_f32 v8, s7, v2, 0x41a27646
	v_fmamk_f32 v8, v3, 0xc5aa76f3, v8
	v_mul_f32_e32 v10, 0x3fb8aa3b, v8
	v_cmp_ngt_f32_e32 vcc_lo, 0xc2ce8ed0, v8
	v_fma_f32 v11, 0x3fb8aa3b, v8, -v10
	v_rndne_f32_e32 v12, v10
	v_fmac_f32_e32 v11, 0x32a5705f, v8
	v_sub_f32_e32 v10, v10, v12
	v_add_f32_e32 v10, v10, v11
	v_cvt_i32_f32_e32 v11, v12
	v_exp_f32_e32 v10, v10
	v_ldexp_f32 v10, v10, v11
	v_cndmask_b32_e32 v10, 0, v10, vcc_lo
	v_cmp_nlt_f32_e32 vcc_lo, 0x42b17218, v8
	v_cndmask_b32_e32 v8, 0x7f800000, v10, vcc_lo
	v_lshlrev_b64 v[10:11], 2, v[0:1]
	v_add_nc_u32_e32 v0, s0, v0
	v_add_co_u32 v10, vcc_lo, s2, v10
	v_add_co_ci_u32_e64 v11, null, s3, v11, vcc_lo
	global_store_dword v[10:11], v8, off
	v_fmaak_f32 v8, s5, v2, 0x41a5f1ce
	s_mov_b32 s5, 0xc3d6df9f
	v_fmamk_f32 v8, v3, 0xc5873d4f, v8
	v_mul_f32_e32 v10, 0x3fb8aa3b, v8
	v_cmp_ngt_f32_e32 vcc_lo, 0xc2ce8ed0, v8
	v_fma_f32 v11, 0x3fb8aa3b, v8, -v10
	v_rndne_f32_e32 v12, v10
	v_fmac_f32_e32 v11, 0x32a5705f, v8
	v_sub_f32_e32 v10, v10, v12
	v_add_f32_e32 v10, v10, v11
	v_cvt_i32_f32_e32 v11, v12
	v_exp_f32_e32 v10, v10
	v_ldexp_f32 v10, v10, v11
	v_cndmask_b32_e32 v10, 0, v10, vcc_lo
	v_cmp_nlt_f32_e32 vcc_lo, 0x42b17218, v8
	v_cndmask_b32_e32 v8, 0x7f800000, v10, vcc_lo
	v_lshlrev_b64 v[10:11], 2, v[0:1]
	v_add_nc_u32_e32 v0, s0, v0
	v_add_co_u32 v10, vcc_lo, s2, v10
	v_add_co_ci_u32_e64 v11, null, s3, v11, vcc_lo
	global_store_dword v[10:11], v8, off
	v_fmaak_f32 v8, s6, v2, 0x41935d8e
	s_mov_b32 s6, 0xc13d1eb8
	v_fmamk_f32 v8, v3, 0xc4c44127, v8
	v_mul_f32_e32 v10, 0x3fb8aa3b, v8
	v_cmp_ngt_f32_e32 vcc_lo, 0xc2ce8ed0, v8
	v_fma_f32 v11, 0x3fb8aa3b, v8, -v10
	v_rndne_f32_e32 v12, v10
	v_fmac_f32_e32 v11, 0x32a5705f, v8
	v_sub_f32_e32 v10, v10, v12
	v_add_f32_e32 v10, v10, v11
	v_cvt_i32_f32_e32 v11, v12
	v_exp_f32_e32 v10, v10
	v_ldexp_f32 v10, v10, v11
	v_cndmask_b32_e32 v10, 0, v10, vcc_lo
	v_cmp_nlt_f32_e32 vcc_lo, 0x42b17218, v8
	v_cndmask_b32_e32 v8, 0x7f800000, v10, vcc_lo
	v_lshlrev_b64 v[10:11], 2, v[0:1]
	v_add_nc_u32_e32 v0, s0, v0
	v_add_co_u32 v10, vcc_lo, s2, v10
	v_add_co_ci_u32_e64 v11, null, s3, v11, vcc_lo
	global_store_dword v[10:11], v8, off
	v_lshlrev_b64 v[10:11], 2, v[0:1]
	v_mov_b32_e32 v8, 0x565a475b
	v_add_nc_u32_e32 v0, s0, v0
	v_add_co_u32 v10, vcc_lo, s2, v10
	v_add_co_ci_u32_e64 v11, null, s3, v11, vcc_lo
	global_store_dword v[10:11], v8, off
	v_fmaak_f32 v10, 2.0, v2, 0x416b7364
	v_fmamk_f32 v10, v3, 0xc5820cd1, v10
	v_mul_f32_e32 v11, 0x3fb8aa3b, v10
	v_cmp_ngt_f32_e32 vcc_lo, 0xc2ce8ed0, v10
	v_fma_f32 v12, 0x3fb8aa3b, v10, -v11
	v_rndne_f32_e32 v13, v11
	v_fmac_f32_e32 v12, 0x32a5705f, v10
	v_sub_f32_e32 v11, v11, v13
	v_add_f32_e32 v11, v11, v12
	v_cvt_i32_f32_e32 v12, v13
	v_exp_f32_e32 v11, v11
	v_ldexp_f32 v11, v11, v12
	v_cndmask_b32_e32 v11, 0, v11, vcc_lo
	v_cmp_nlt_f32_e32 vcc_lo, 0x42b17218, v10
	v_cndmask_b32_e32 v12, 0x7f800000, v11, vcc_lo
	v_lshlrev_b64 v[10:11], 2, v[0:1]
	v_add_nc_u32_e32 v0, s1, v0
	v_add_co_u32 v10, vcc_lo, s2, v10
	v_add_co_ci_u32_e64 v11, null, s3, v11, vcc_lo
	global_store_dword v[10:11], v12, off
	v_lshlrev_b64 v[10:11], 2, v[0:1]
	v_add_nc_u32_e32 v0, s0, v0
	v_add_co_u32 v12, vcc_lo, s2, v10
	v_add_co_ci_u32_e64 v13, null, s3, v11, vcc_lo
	v_mov_b32_e32 v10, 0x56b5e621
	global_store_dword v[12:13], v10, off
	v_lshlrev_b64 v[11:12], 2, v[0:1]
	v_add_nc_u32_e32 v0, s0, v0
	v_add_co_u32 v11, vcc_lo, s2, v11
	v_add_co_ci_u32_e64 v12, null, s3, v12, vcc_lo
	global_store_dword v[11:12], v10, off
	v_fmaak_f32 v11, s5, v3, 0x41e0cee6
	s_mov_b32 s5, 0xbf051eb8
	v_mul_f32_e32 v12, 0x3fb8aa3b, v11
	v_cmp_ngt_f32_e32 vcc_lo, 0xc2ce8ed0, v11
	v_fma_f32 v13, 0x3fb8aa3b, v11, -v12
	v_rndne_f32_e32 v14, v12
	v_fmac_f32_e32 v13, 0x32a5705f, v11
	v_sub_f32_e32 v12, v12, v14
	v_add_f32_e32 v12, v12, v13
	v_cvt_i32_f32_e32 v13, v14
	v_exp_f32_e32 v12, v12
	v_ldexp_f32 v12, v12, v13
	v_cndmask_b32_e32 v12, 0, v12, vcc_lo
	v_cmp_nlt_f32_e32 vcc_lo, 0x42b17218, v11
	v_cndmask_b32_e32 v13, 0x7f800000, v12, vcc_lo
	v_lshlrev_b64 v[11:12], 2, v[0:1]
	v_add_nc_u32_e32 v0, s0, v0
	v_add_co_u32 v11, vcc_lo, s2, v11
	v_add_co_ci_u32_e64 v12, null, s3, v12, vcc_lo
	global_store_dword v[11:12], v13, off
	v_lshlrev_b64 v[11:12], 2, v[0:1]
	v_add_nc_u32_e32 v0, s0, v0
	v_add_co_u32 v11, vcc_lo, s2, v11
	v_add_co_ci_u32_e64 v12, null, s3, v12, vcc_lo
	global_store_dword v[11:12], v4, off
	v_lshlrev_b64 v[11:12], 2, v[0:1]
	v_add_nc_u32_e32 v0, s0, v0
	v_add_co_u32 v11, vcc_lo, s2, v11
	v_add_co_ci_u32_e64 v12, null, s3, v12, vcc_lo
	global_store_dword v[11:12], v6, off
	v_lshlrev_b64 v[11:12], 2, v[0:1]
	v_add_nc_u32_e32 v0, s0, v0
	v_add_co_u32 v11, vcc_lo, s2, v11
	v_add_co_ci_u32_e64 v12, null, s3, v12, vcc_lo
	global_store_dword v[11:12], v9, off
	v_fmaak_f32 v11, s5, v2, 0x42094335
	s_mov_b32 s5, 0x40900000
	v_fmamk_f32 v11, v3, 0xc6c7847e, v11
	v_mul_f32_e32 v12, 0x3fb8aa3b, v11
	v_cmp_ngt_f32_e32 vcc_lo, 0xc2ce8ed0, v11
	v_fma_f32 v13, 0x3fb8aa3b, v11, -v12
	v_rndne_f32_e32 v14, v12
	v_fmac_f32_e32 v13, 0x32a5705f, v11
	v_sub_f32_e32 v12, v12, v14
	v_add_f32_e32 v12, v12, v13
	v_cvt_i32_f32_e32 v13, v14
	v_exp_f32_e32 v12, v12
	v_ldexp_f32 v12, v12, v13
	v_cndmask_b32_e32 v12, 0, v12, vcc_lo
	v_cmp_nlt_f32_e32 vcc_lo, 0x42b17218, v11
	v_cndmask_b32_e32 v13, 0x7f800000, v12, vcc_lo
	v_lshlrev_b64 v[11:12], 2, v[0:1]
	v_add_nc_u32_e32 v0, s0, v0
	v_add_co_u32 v11, vcc_lo, s2, v11
	v_add_co_ci_u32_e64 v12, null, s3, v12, vcc_lo
	global_store_dword v[11:12], v13, off
	v_fmaak_f32 v11, s7, v2, 0x419e2bb8
	v_fmamk_f32 v11, v3, 0xc691a690, v11
	v_mul_f32_e32 v12, 0x3fb8aa3b, v11
	v_cmp_ngt_f32_e32 vcc_lo, 0xc2ce8ed0, v11
	v_fma_f32 v13, 0x3fb8aa3b, v11, -v12
	v_rndne_f32_e32 v14, v12
	v_fmac_f32_e32 v13, 0x32a5705f, v11
	v_sub_f32_e32 v12, v12, v14
	v_add_f32_e32 v12, v12, v13
	v_cvt_i32_f32_e32 v13, v14
	v_exp_f32_e32 v12, v12
	v_ldexp_f32 v12, v12, v13
	v_cndmask_b32_e32 v12, 0, v12, vcc_lo
	v_cmp_nlt_f32_e32 vcc_lo, 0x42b17218, v11
	v_cndmask_b32_e32 v13, 0x7f800000, v12, vcc_lo
	v_lshlrev_b64 v[11:12], 2, v[0:1]
	v_add_nc_u32_e32 v0, s0, v0
	v_add_co_u32 v11, vcc_lo, s2, v11
	v_add_co_ci_u32_e64 v12, null, s3, v12, vcc_lo
	v_cmp_ngt_f32_e32 vcc_lo, 0xc2ce8ed0, v7
	global_store_dword v[11:12], v13, off
	v_mul_f32_e32 v11, 0x3fb8aa3b, v7
	v_fma_f32 v12, 0x3fb8aa3b, v7, -v11
	v_rndne_f32_e32 v13, v11
	v_fmac_f32_e32 v12, 0x32a5705f, v7
	v_sub_f32_e32 v11, v11, v13
	v_add_f32_e32 v11, v11, v12
	v_cvt_i32_f32_e32 v12, v13
	v_exp_f32_e32 v11, v11
	v_ldexp_f32 v11, v11, v12
	v_cndmask_b32_e32 v11, 0, v11, vcc_lo
	v_cmp_nlt_f32_e32 vcc_lo, 0x42b17218, v7
	v_cndmask_b32_e32 v7, 0x7f800000, v11, vcc_lo
	v_lshlrev_b64 v[11:12], 2, v[0:1]
	v_add_nc_u32_e32 v0, s0, v0
	v_mul_f32_e32 v13, 0x4b790600, v7
	v_mul_f32_e32 v7, 0x4a790600, v7
	v_add_co_u32 v11, vcc_lo, s2, v11
	v_add_co_ci_u32_e64 v12, null, s3, v12, vcc_lo
	global_store_dword v[11:12], v13, off
	v_lshlrev_b64 v[11:12], 2, v[0:1]
	v_add_nc_u32_e32 v0, s0, v0
	v_add_co_u32 v11, vcc_lo, s2, v11
	v_add_co_ci_u32_e64 v12, null, s3, v12, vcc_lo
	global_store_dword v[11:12], v7, off
	v_fmaak_f32 v7, s5, v2, 0xc106e571
	s_mov_b32 s5, 0xc53cb4cd
	v_fmamk_f32 v7, v3, 0x43fb9bbc, v7
	v_mul_f32_e32 v11, 0x3fb8aa3b, v7
	v_cmp_ngt_f32_e32 vcc_lo, 0xc2ce8ed0, v7
	v_fma_f32 v12, 0x3fb8aa3b, v7, -v11
	v_rndne_f32_e32 v13, v11
	v_fmac_f32_e32 v12, 0x32a5705f, v7
	v_sub_f32_e32 v11, v11, v13
	v_add_f32_e32 v11, v11, v12
	v_cvt_i32_f32_e32 v12, v13
	v_exp_f32_e32 v11, v11
	v_ldexp_f32 v11, v11, v12
	v_cndmask_b32_e32 v11, 0, v11, vcc_lo
	v_cmp_nlt_f32_e32 vcc_lo, 0x42b17218, v7
	v_cndmask_b32_e32 v7, 0x7f800000, v11, vcc_lo
	v_lshlrev_b64 v[11:12], 2, v[0:1]
	v_add_nc_u32_e32 v0, s0, v0
	v_add_co_u32 v11, vcc_lo, s2, v11
	v_add_co_ci_u32_e64 v12, null, s3, v12, vcc_lo
	global_store_dword v[11:12], v7, off
	v_fmaak_f32 v7, 4.0, v2, 0xc0f455f7
	v_fmamk_f32 v7, v3, 0x447b9bbc, v7
	v_mul_f32_e32 v11, 0x3fb8aa3b, v7
	v_cmp_ngt_f32_e32 vcc_lo, 0xc2ce8ed0, v7
	v_fma_f32 v12, 0x3fb8aa3b, v7, -v11
	v_rndne_f32_e32 v13, v11
	v_fmac_f32_e32 v12, 0x32a5705f, v7
	v_sub_f32_e32 v11, v11, v13
	v_add_f32_e32 v11, v11, v12
	v_cvt_i32_f32_e32 v12, v13
	v_exp_f32_e32 v11, v11
	v_ldexp_f32 v11, v11, v12
	v_cndmask_b32_e32 v11, 0, v11, vcc_lo
	v_cmp_nlt_f32_e32 vcc_lo, 0x42b17218, v7
	v_cndmask_b32_e32 v7, 0x7f800000, v11, vcc_lo
	v_lshlrev_b64 v[11:12], 2, v[0:1]
	v_add_nc_u32_e32 v0, s0, v0
	v_add_co_u32 v11, vcc_lo, s2, v11
	v_add_co_ci_u32_e64 v12, null, s3, v12, vcc_lo
	global_store_dword v[11:12], v7, off
	v_fmaak_f32 v7, 2.0, v2, 0x4180f1dc
	v_fmamk_f32 v11, v3, 0xc53cb4cd, v7
	v_fmac_f32_e32 v7, 0xc57b9bbc, v3
	v_mul_f32_e32 v12, 0x3fb8aa3b, v11
	v_cmp_ngt_f32_e32 vcc_lo, 0xc2ce8ed0, v11
	v_fma_f32 v13, 0x3fb8aa3b, v11, -v12
	v_rndne_f32_e32 v14, v12
	v_fmac_f32_e32 v13, 0x32a5705f, v11
	v_sub_f32_e32 v12, v12, v14
	v_add_f32_e32 v12, v12, v13
	v_cvt_i32_f32_e32 v13, v14
	v_exp_f32_e32 v12, v12
	v_ldexp_f32 v12, v12, v13
	v_cndmask_b32_e32 v12, 0, v12, vcc_lo
	v_cmp_nlt_f32_e32 vcc_lo, 0x42b17218, v11
	v_cndmask_b32_e32 v13, 0x7f800000, v12, vcc_lo
	v_lshlrev_b64 v[11:12], 2, v[0:1]
	v_add_nc_u32_e32 v0, s0, v0
	v_add_co_u32 v11, vcc_lo, s2, v11
	v_add_co_ci_u32_e64 v12, null, s3, v12, vcc_lo
	global_store_dword v[11:12], v13, off
	v_fmaak_f32 v11, s6, v2, 0x42fedc7c
	s_mov_b32 s6, 0xbd75c28f
	v_fmamk_f32 v11, v3, 0xc68c77dd, v11
	v_mul_f32_e32 v12, 0x3fb8aa3b, v11
	v_cmp_ngt_f32_e32 vcc_lo, 0xc2ce8ed0, v11
	v_fma_f32 v13, 0x3fb8aa3b, v11, -v12
	v_rndne_f32_e32 v14, v12
	v_fmac_f32_e32 v13, 0x32a5705f, v11
	v_sub_f32_e32 v12, v12, v14
	v_add_f32_e32 v12, v12, v13
	v_cvt_i32_f32_e32 v13, v14
	v_exp_f32_e32 v12, v12
	v_ldexp_f32 v12, v12, v13
	v_cndmask_b32_e32 v12, 0, v12, vcc_lo
	v_cmp_nlt_f32_e32 vcc_lo, 0x42b17218, v11
	v_cndmask_b32_e32 v13, 0x7f800000, v12, vcc_lo
	v_lshlrev_b64 v[11:12], 2, v[0:1]
	v_add_nc_u32_e32 v0, s0, v0
	v_add_co_u32 v11, vcc_lo, s2, v11
	v_add_co_ci_u32_e64 v12, null, s3, v12, vcc_lo
	global_store_dword v[11:12], v13, off
	v_lshlrev_b64 v[11:12], 2, v[0:1]
	v_add_nc_u32_e32 v0, s0, v0
	v_add_co_u32 v11, vcc_lo, s2, v11
	v_add_co_ci_u32_e64 v12, null, s3, v12, vcc_lo
	global_store_dword v[11:12], v10, off
	;; [unrolled: 5-line block ×4, first 2 shown]
	v_lshlrev_b64 v[11:12], 2, v[0:1]
	v_fmaak_f32 v5, s6, v2, 0x4205b870
	v_add_nc_u32_e32 v0, s0, v0
	s_mov_b32 s6, 0x3fb70a3d
	v_add_co_u32 v11, vcc_lo, s2, v11
	v_add_co_ci_u32_e64 v12, null, s3, v12, vcc_lo
	v_fmamk_f32 v5, v3, 0xc585aabc, v5
	global_store_dword v[11:12], v9, off
	v_mul_f32_e32 v11, 0x3fb8aa3b, v5
	v_cmp_ngt_f32_e32 vcc_lo, 0xc2ce8ed0, v5
	v_fma_f32 v12, 0x3fb8aa3b, v5, -v11
	v_rndne_f32_e32 v13, v11
	v_fmac_f32_e32 v12, 0x32a5705f, v5
	v_sub_f32_e32 v11, v11, v13
	v_add_f32_e32 v11, v11, v12
	v_cvt_i32_f32_e32 v12, v13
	v_exp_f32_e32 v11, v11
	v_ldexp_f32 v11, v11, v12
	v_cndmask_b32_e32 v11, 0, v11, vcc_lo
	v_cmp_nlt_f32_e32 vcc_lo, 0x42b17218, v5
	v_cndmask_b32_e32 v5, 0x7f800000, v11, vcc_lo
	v_lshlrev_b64 v[11:12], 2, v[0:1]
	v_add_nc_u32_e32 v0, s1, v0
	v_add_co_u32 v11, vcc_lo, s2, v11
	v_add_co_ci_u32_e64 v12, null, s3, v12, vcc_lo
	global_store_dword v[11:12], v5, off
	v_fmaak_f32 v5, s6, v2, 0x41a907a4
	s_mov_b32 s6, 0xc429d5ec
	v_fmamk_f32 v5, v3, 0xc4a934e4, v5
	v_mul_f32_e32 v11, 0x3fb8aa3b, v5
	v_cmp_ngt_f32_e32 vcc_lo, 0xc2ce8ed0, v5
	v_fma_f32 v12, 0x3fb8aa3b, v5, -v11
	v_rndne_f32_e32 v13, v11
	v_fmac_f32_e32 v12, 0x32a5705f, v5
	v_sub_f32_e32 v11, v11, v13
	v_add_f32_e32 v11, v11, v12
	v_cvt_i32_f32_e32 v12, v13
	v_exp_f32_e32 v11, v11
	v_ldexp_f32 v11, v11, v12
	v_cndmask_b32_e32 v11, 0, v11, vcc_lo
	v_cmp_nlt_f32_e32 vcc_lo, 0x42b17218, v5
	v_cndmask_b32_e32 v5, 0x7f800000, v11, vcc_lo
	v_lshlrev_b64 v[11:12], 2, v[0:1]
	v_add_nc_u32_e32 v0, s1, v0
	v_add_co_u32 v11, vcc_lo, s2, v11
	v_add_co_ci_u32_e64 v12, null, s3, v12, vcc_lo
	global_store_dword v[11:12], v5, off
	v_fmaak_f32 v5, s6, v3, 0x41e1866d
	s_mov_b32 s6, 0x3e8a3d71
	v_mul_f32_e32 v11, 0x3fb8aa3b, v5
	v_cmp_ngt_f32_e32 vcc_lo, 0xc2ce8ed0, v5
	v_fma_f32 v12, 0x3fb8aa3b, v5, -v11
	v_rndne_f32_e32 v13, v11
	v_fmac_f32_e32 v12, 0x32a5705f, v5
	v_sub_f32_e32 v11, v11, v13
	v_add_f32_e32 v11, v11, v12
	v_cvt_i32_f32_e32 v12, v13
	v_exp_f32_e32 v11, v11
	v_ldexp_f32 v11, v11, v12
	v_cndmask_b32_e32 v11, 0, v11, vcc_lo
	v_cmp_nlt_f32_e32 vcc_lo, 0x42b17218, v5
	v_cndmask_b32_e32 v5, 0x7f800000, v11, vcc_lo
	v_lshlrev_b64 v[11:12], 2, v[0:1]
	v_add_nc_u32_e32 v0, s0, v0
	v_add_co_u32 v11, vcc_lo, s2, v11
	v_add_co_ci_u32_e64 v12, null, s3, v12, vcc_lo
	global_store_dword v[11:12], v5, off
	v_mul_f32_e32 v5, 0xc47b9bbc, v3
	v_mul_f32_e32 v11, 0x3fb8aa3b, v5
	v_cmp_ngt_f32_e32 vcc_lo, 0xc2ce8ed0, v5
	v_fma_f32 v12, 0x3fb8aa3b, v5, -v11
	v_rndne_f32_e32 v13, v11
	v_fmac_f32_e32 v12, 0x32a5705f, v5
	v_sub_f32_e32 v11, v11, v13
	v_add_f32_e32 v11, v11, v12
	v_cvt_i32_f32_e32 v12, v13
	v_exp_f32_e32 v11, v11
	v_ldexp_f32 v11, v11, v12
	v_cndmask_b32_e32 v11, 0, v11, vcc_lo
	v_cmp_nlt_f32_e32 vcc_lo, 0x42b17218, v5
	v_cndmask_b32_e32 v5, 0x7f800000, v11, vcc_lo
	v_lshlrev_b64 v[11:12], 2, v[0:1]
	v_mul_f32_e32 v13, 0x54da475b, v5
	v_mul_f32_e32 v14, 0x551184e7, v5
	v_add_co_u32 v11, vcc_lo, s2, v11
	v_add_co_ci_u32_e64 v12, null, s3, v12, vcc_lo
	global_store_dword v[11:12], v13, off
	v_mad_u64_u32 v[11:12], null, s0, 21, v[0:1]
	v_mov_b32_e32 v12, v1
	v_mul_f32_e32 v0, 0x559184e7, v5
	v_lshlrev_b64 v[12:13], 2, v[11:12]
	v_add_co_u32 v12, vcc_lo, s2, v12
	v_add_co_ci_u32_e64 v13, null, s3, v13, vcc_lo
	global_store_dword v[12:13], v14, off
	v_mad_u64_u32 v[11:12], null, s0, 34, v[11:12]
	v_mov_b32_e32 v12, v1
	v_lshlrev_b64 v[12:13], 2, v[11:12]
	v_add_co_u32 v12, vcc_lo, s2, v12
	v_add_co_ci_u32_e64 v13, null, s3, v13, vcc_lo
	global_store_dword v[12:13], v0, off
	v_fmaak_f32 v0, s6, v2, 0x41eb7cfb
	s_mov_b32 s6, 0x3fce147b
	v_fmamk_f32 v0, v3, 0xc30ce692, v0
	v_mul_f32_e32 v5, 0x3fb8aa3b, v0
	v_cmp_ngt_f32_e32 vcc_lo, 0xc2ce8ed0, v0
	v_fma_f32 v12, 0x3fb8aa3b, v0, -v5
	v_rndne_f32_e32 v13, v5
	v_fmac_f32_e32 v12, 0x32a5705f, v0
	v_sub_f32_e32 v5, v5, v13
	v_add_f32_e32 v5, v5, v12
	v_cvt_i32_f32_e32 v12, v13
	v_exp_f32_e32 v5, v5
	v_ldexp_f32 v5, v5, v12
	v_mad_u64_u32 v[11:12], null, 0xffffffca, s0, v[11:12]
	v_mov_b32_e32 v12, v1
	v_cndmask_b32_e32 v5, 0, v5, vcc_lo
	v_cmp_nlt_f32_e32 vcc_lo, 0x42b17218, v0
	v_lshlrev_b64 v[12:13], 2, v[11:12]
	v_cndmask_b32_e32 v0, 0x7f800000, v5, vcc_lo
	v_add_co_u32 v12, vcc_lo, s2, v12
	v_add_co_ci_u32_e64 v13, null, s3, v13, vcc_lo
	global_store_dword v[12:13], v0, off
	v_add_nc_u32_e32 v0, s0, v11
	v_lshlrev_b64 v[11:12], 2, v[0:1]
	v_add_nc_u32_e32 v0, s0, v0
	v_add_co_u32 v11, vcc_lo, s2, v11
	v_add_co_ci_u32_e64 v12, null, s3, v12, vcc_lo
	global_store_dword v[11:12], v6, off
	v_lshlrev_b64 v[5:6], 2, v[0:1]
	v_add_nc_u32_e32 v0, s0, v0
	v_mov_b32_e32 v11, 0x562e9f7c
	v_add_co_u32 v5, vcc_lo, s2, v5
	v_add_co_ci_u32_e64 v6, null, s3, v6, vcc_lo
	global_store_dword v[5:6], v8, off
	v_lshlrev_b64 v[5:6], 2, v[0:1]
	v_add_nc_u32_e32 v0, s0, v0
	v_add_co_u32 v5, vcc_lo, s2, v5
	v_add_co_ci_u32_e64 v6, null, s3, v6, vcc_lo
	global_store_dword v[5:6], v11, off
	v_lshlrev_b64 v[5:6], 2, v[0:1]
	v_add_nc_u32_e32 v0, s0, v0
	v_add_co_u32 v5, vcc_lo, s2, v5
	v_add_co_ci_u32_e64 v6, null, s3, v6, vcc_lo
	global_store_dword v[5:6], v11, off
	v_lshlrev_b64 v[5:6], 2, v[0:1]
	v_mov_b32_e32 v11, 0x55db143f
	v_add_nc_u32_e32 v0, s0, v0
	v_add_co_u32 v5, vcc_lo, s2, v5
	v_add_co_ci_u32_e64 v6, null, s3, v6, vcc_lo
	global_store_dword v[5:6], v11, off
	v_fmaak_f32 v5, s6, v2, 0x4161bb1b
	s_mov_b32 s6, 0x3e947ae1
	v_fmamk_f32 v5, v3, 0x4340eeeb, v5
	v_mul_f32_e32 v6, 0x3fb8aa3b, v5
	v_cmp_ngt_f32_e32 vcc_lo, 0xc2ce8ed0, v5
	v_fma_f32 v11, 0x3fb8aa3b, v5, -v6
	v_rndne_f32_e32 v12, v6
	v_fmac_f32_e32 v11, 0x32a5705f, v5
	v_sub_f32_e32 v6, v6, v12
	v_add_f32_e32 v6, v6, v11
	v_cvt_i32_f32_e32 v11, v12
	v_exp_f32_e32 v6, v6
	v_ldexp_f32 v6, v6, v11
	v_cndmask_b32_e32 v6, 0, v6, vcc_lo
	v_cmp_nlt_f32_e32 vcc_lo, 0x42b17218, v5
	v_cndmask_b32_e32 v11, 0x7f800000, v6, vcc_lo
	v_lshlrev_b64 v[5:6], 2, v[0:1]
	v_add_nc_u32_e32 v0, s0, v0
	v_add_co_u32 v5, vcc_lo, s2, v5
	v_add_co_ci_u32_e64 v6, null, s3, v6, vcc_lo
	global_store_dword v[5:6], v11, off
	v_fmaak_f32 v5, s6, v2, 0x41d36a98
	s_mov_b32 s6, 0xbfb1eb85
	v_fmamk_f32 v5, v3, 0xc0b121dc, v5
	v_mul_f32_e32 v6, 0x3fb8aa3b, v5
	v_cmp_ngt_f32_e32 vcc_lo, 0xc2ce8ed0, v5
	v_fma_f32 v11, 0x3fb8aa3b, v5, -v6
	v_rndne_f32_e32 v12, v6
	v_fmac_f32_e32 v11, 0x32a5705f, v5
	v_sub_f32_e32 v6, v6, v12
	v_add_f32_e32 v6, v6, v11
	v_cvt_i32_f32_e32 v11, v12
	v_exp_f32_e32 v6, v6
	v_ldexp_f32 v6, v6, v11
	v_cndmask_b32_e32 v6, 0, v6, vcc_lo
	v_cmp_nlt_f32_e32 vcc_lo, 0x42b17218, v5
	v_cndmask_b32_e32 v11, 0x7f800000, v6, vcc_lo
	v_lshlrev_b64 v[5:6], 2, v[0:1]
	;; [unrolled: 21-line block ×3, first 2 shown]
	v_add_nc_u32_e32 v0, s0, v0
	v_add_co_u32 v5, vcc_lo, s2, v5
	v_add_co_ci_u32_e64 v6, null, s3, v6, vcc_lo
	global_store_dword v[5:6], v11, off
	v_lshlrev_b64 v[5:6], 2, v[0:1]
	v_add_nc_u32_e32 v0, s0, v0
	v_add_co_u32 v5, vcc_lo, s2, v5
	v_add_co_ci_u32_e64 v6, null, s3, v6, vcc_lo
	global_store_dword v[5:6], v9, off
	v_fmaak_f32 v5, s6, v3, 0x41b9bb55
	s_mov_b32 s6, 0xc0351eb8
	v_mul_f32_e32 v6, 0x3fb8aa3b, v5
	v_cmp_ngt_f32_e32 vcc_lo, 0xc2ce8ed0, v5
	v_fma_f32 v9, 0x3fb8aa3b, v5, -v6
	v_rndne_f32_e32 v11, v6
	v_fmac_f32_e32 v9, 0x32a5705f, v5
	v_sub_f32_e32 v6, v6, v11
	v_add_f32_e32 v6, v6, v9
	v_cvt_i32_f32_e32 v9, v11
	v_exp_f32_e32 v6, v6
	v_ldexp_f32 v6, v6, v9
	v_cndmask_b32_e32 v6, 0, v6, vcc_lo
	v_cmp_nlt_f32_e32 vcc_lo, 0x42b17218, v5
	v_cndmask_b32_e32 v9, 0x7f800000, v6, vcc_lo
	v_lshlrev_b64 v[5:6], 2, v[0:1]
	v_add_nc_u32_e32 v0, s0, v0
	v_add_co_u32 v5, vcc_lo, s2, v5
	v_add_co_ci_u32_e64 v6, null, s3, v6, vcc_lo
	global_store_dword v[5:6], v9, off
	v_lshlrev_b64 v[5:6], 2, v[0:1]
	v_mov_b32_e32 v9, 0x56a44f2f
	v_add_nc_u32_e32 v0, s0, v0
	v_add_co_u32 v5, vcc_lo, s2, v5
	v_add_co_ci_u32_e64 v6, null, s3, v6, vcc_lo
	global_store_dword v[5:6], v9, off
	v_lshlrev_b64 v[5:6], 2, v[0:1]
	v_mov_b32_e32 v9, 0x52b68a0b
	;; [unrolled: 6-line block ×3, first 2 shown]
	v_add_nc_u32_e32 v0, s0, v0
	v_add_co_u32 v5, vcc_lo, s2, v5
	v_add_co_ci_u32_e64 v6, null, s3, v6, vcc_lo
	global_store_dword v[5:6], v9, off
	v_fmaak_f32 v5, s6, v2, 0x425eab87
	s_mov_b32 s6, 0xc1125a1d
	v_fmamk_f32 v5, v3, 0xc612638d, v5
	v_mul_f32_e32 v6, 0x3fb8aa3b, v5
	v_cmp_ngt_f32_e32 vcc_lo, 0xc2ce8ed0, v5
	v_fma_f32 v9, 0x3fb8aa3b, v5, -v6
	v_rndne_f32_e32 v11, v6
	v_fmac_f32_e32 v9, 0x32a5705f, v5
	v_sub_f32_e32 v6, v6, v11
	v_add_f32_e32 v6, v6, v9
	v_cvt_i32_f32_e32 v9, v11
	v_exp_f32_e32 v6, v6
	v_ldexp_f32 v6, v6, v9
	v_cndmask_b32_e32 v6, 0, v6, vcc_lo
	v_cmp_nlt_f32_e32 vcc_lo, 0x42b17218, v5
	v_cndmask_b32_e32 v9, 0x7f800000, v6, vcc_lo
	v_lshlrev_b64 v[5:6], 2, v[0:1]
	v_add_nc_u32_e32 v0, s0, v0
	v_add_co_u32 v5, vcc_lo, s2, v5
	v_add_co_ci_u32_e64 v6, null, s3, v6, vcc_lo
	global_store_dword v[5:6], v9, off
	v_fmaak_f32 v5, s6, v2, 0x42c0eb94
	s_mov_b32 s6, 0x3ee147ae
	v_fmamk_f32 v5, v3, 0xc6b861b9, v5
	v_mul_f32_e32 v6, 0x3fb8aa3b, v5
	v_cmp_ngt_f32_e32 vcc_lo, 0xc2ce8ed0, v5
	v_fma_f32 v9, 0x3fb8aa3b, v5, -v6
	v_rndne_f32_e32 v11, v6
	v_fmac_f32_e32 v9, 0x32a5705f, v5
	v_sub_f32_e32 v6, v6, v11
	v_add_f32_e32 v6, v6, v9
	v_cvt_i32_f32_e32 v9, v11
	v_exp_f32_e32 v6, v6
	v_ldexp_f32 v6, v6, v9
	v_cndmask_b32_e32 v6, 0, v6, vcc_lo
	v_cmp_nlt_f32_e32 vcc_lo, 0x42b17218, v5
	v_cndmask_b32_e32 v9, 0x7f800000, v6, vcc_lo
	v_lshlrev_b64 v[5:6], 2, v[0:1]
	v_add_nc_u32_e32 v0, s0, v0
	v_add_co_u32 v5, vcc_lo, s2, v5
	v_add_co_ci_u32_e64 v6, null, s3, v6, vcc_lo
	global_store_dword v[5:6], v9, off
	v_lshlrev_b64 v[5:6], 2, v[0:1]
	v_add_nc_u32_e32 v0, s0, v0
	v_mov_b32_e32 v9, 0x56a3b584
	v_add_co_u32 v5, vcc_lo, s2, v5
	v_add_co_ci_u32_e64 v6, null, s3, v6, vcc_lo
	global_store_dword v[5:6], v10, off
	v_lshlrev_b64 v[5:6], 2, v[0:1]
	v_add_nc_u32_e32 v0, s0, v0
	v_add_co_u32 v5, vcc_lo, s2, v5
	v_add_co_ci_u32_e64 v6, null, s3, v6, vcc_lo
	global_store_dword v[5:6], v9, off
	v_mul_f32_e32 v5, 0xc4fb9bbc, v3
	v_mul_f32_e32 v6, 0x3fb8aa3b, v5
	v_cmp_ngt_f32_e32 vcc_lo, 0xc2ce8ed0, v5
	v_fma_f32 v9, 0x3fb8aa3b, v5, -v6
	v_rndne_f32_e32 v10, v6
	v_fmac_f32_e32 v9, 0x32a5705f, v5
	v_sub_f32_e32 v6, v6, v10
	v_add_f32_e32 v6, v6, v9
	v_cvt_i32_f32_e32 v9, v10
	v_exp_f32_e32 v6, v6
	v_ldexp_f32 v6, v6, v9
	v_cndmask_b32_e32 v6, 0, v6, vcc_lo
	v_cmp_nlt_f32_e32 vcc_lo, 0x42b17218, v5
	v_cndmask_b32_e32 v5, 0x7f800000, v6, vcc_lo
	v_mul_f32_e32 v9, 0x559184e7, v5
	v_lshlrev_b64 v[5:6], 2, v[0:1]
	v_add_nc_u32_e32 v0, s0, v0
	v_add_co_u32 v5, vcc_lo, s2, v5
	v_add_co_ci_u32_e64 v6, null, s3, v6, vcc_lo
	global_store_dword v[5:6], v9, off
	v_lshlrev_b64 v[5:6], 2, v[0:1]
	v_add_nc_u32_e32 v0, s1, v0
	v_add_co_u32 v5, vcc_lo, s2, v5
	v_add_co_ci_u32_e64 v6, null, s3, v6, vcc_lo
	global_store_dword v[5:6], v9, off
	v_lshlrev_b64 v[5:6], 2, v[0:1]
	v_mov_b32_e32 v9, 0x5202629a
	v_add_nc_u32_e32 v0, s0, v0
	v_add_co_u32 v5, vcc_lo, s2, v5
	v_add_co_ci_u32_e64 v6, null, s3, v6, vcc_lo
	global_store_dword v[5:6], v9, off
	v_lshlrev_b64 v[5:6], 2, v[0:1]
	v_mov_b32_e32 v9, 0x50861c46
	v_add_nc_u32_e32 v0, s0, v0
	v_add_co_u32 v5, vcc_lo, s2, v5
	v_add_co_ci_u32_e64 v6, null, s3, v6, vcc_lo
	global_store_dword v[5:6], v9, off
	v_fmaak_f32 v5, s6, v2, 0x41edaf07
	v_fmamk_f32 v5, v3, 0xc72e7e8b, v5
	v_mul_f32_e32 v6, 0x3fb8aa3b, v5
	v_cmp_ngt_f32_e32 vcc_lo, 0xc2ce8ed0, v5
	v_fma_f32 v9, 0x3fb8aa3b, v5, -v6
	v_rndne_f32_e32 v10, v6
	v_fmac_f32_e32 v9, 0x32a5705f, v5
	v_sub_f32_e32 v6, v6, v10
	v_add_f32_e32 v6, v6, v9
	v_cvt_i32_f32_e32 v9, v10
	v_exp_f32_e32 v6, v6
	v_ldexp_f32 v6, v6, v9
	v_cndmask_b32_e32 v6, 0, v6, vcc_lo
	v_cmp_nlt_f32_e32 vcc_lo, 0x42b17218, v5
	v_cndmask_b32_e32 v9, 0x7f800000, v6, vcc_lo
	v_lshlrev_b64 v[5:6], 2, v[0:1]
	v_add_nc_u32_e32 v0, s0, v0
	v_add_co_u32 v5, vcc_lo, s2, v5
	v_add_co_ci_u32_e64 v6, null, s3, v6, vcc_lo
	global_store_dword v[5:6], v9, off
	v_fmaak_f32 v5, s4, v2, 0x41dda9f3
	s_mov_b32 s4, 0x3ff70a3d
	v_fmamk_f32 v5, v3, 0xc464f6ad, v5
	v_mul_f32_e32 v6, 0x3fb8aa3b, v5
	v_cmp_ngt_f32_e32 vcc_lo, 0xc2ce8ed0, v5
	v_fma_f32 v9, 0x3fb8aa3b, v5, -v6
	v_rndne_f32_e32 v10, v6
	v_fmac_f32_e32 v9, 0x32a5705f, v5
	v_sub_f32_e32 v6, v6, v10
	v_add_f32_e32 v6, v6, v9
	v_cvt_i32_f32_e32 v9, v10
	v_exp_f32_e32 v6, v6
	v_ldexp_f32 v6, v6, v9
	v_cndmask_b32_e32 v6, 0, v6, vcc_lo
	v_cmp_nlt_f32_e32 vcc_lo, 0x42b17218, v5
	v_cndmask_b32_e32 v9, 0x7f800000, v6, vcc_lo
	v_lshlrev_b64 v[5:6], 2, v[0:1]
	v_add_nc_u32_e32 v0, s0, v0
	v_add_co_u32 v5, vcc_lo, s2, v5
	v_add_co_ci_u32_e64 v6, null, s3, v6, vcc_lo
	global_store_dword v[5:6], v9, off
	v_fmaak_f32 v5, s4, v2, 0x418dee76
	s_mov_b32 s4, 0x3ff47ae1
	v_fmamk_f32 v5, v3, 0xc5cba53f, v5
	v_mul_f32_e32 v6, 0x3fb8aa3b, v5
	v_cmp_ngt_f32_e32 vcc_lo, 0xc2ce8ed0, v5
	v_fma_f32 v9, 0x3fb8aa3b, v5, -v6
	v_rndne_f32_e32 v10, v6
	v_fmac_f32_e32 v9, 0x32a5705f, v5
	v_sub_f32_e32 v6, v6, v10
	v_add_f32_e32 v6, v6, v9
	v_cvt_i32_f32_e32 v9, v10
	v_exp_f32_e32 v6, v6
	v_ldexp_f32 v6, v6, v9
	v_cndmask_b32_e32 v6, 0, v6, vcc_lo
	v_cmp_nlt_f32_e32 vcc_lo, 0x42b17218, v5
	v_cndmask_b32_e32 v9, 0x7f800000, v6, vcc_lo
	v_lshlrev_b64 v[5:6], 2, v[0:1]
	v_add_nc_u32_e32 v0, s0, v0
	v_add_co_u32 v5, vcc_lo, s2, v5
	v_add_co_ci_u32_e64 v6, null, s3, v6, vcc_lo
	global_store_dword v[5:6], v9, off
	v_fmaak_f32 v5, s4, v2, 0x41843ddc
	s_mov_b32 s4, 0xc6ef0726
	v_fmamk_f32 v5, v3, 0xc4eb40f9, v5
	v_mul_f32_e32 v6, 0x3fb8aa3b, v5
	v_cmp_ngt_f32_e32 vcc_lo, 0xc2ce8ed0, v5
	v_fma_f32 v9, 0x3fb8aa3b, v5, -v6
	v_rndne_f32_e32 v10, v6
	v_fmac_f32_e32 v9, 0x32a5705f, v5
	v_sub_f32_e32 v6, v6, v10
	v_add_f32_e32 v6, v6, v9
	v_cvt_i32_f32_e32 v9, v10
	v_exp_f32_e32 v6, v6
	v_ldexp_f32 v6, v6, v9
	v_cndmask_b32_e32 v6, 0, v6, vcc_lo
	v_cmp_nlt_f32_e32 vcc_lo, 0x42b17218, v5
	v_cndmask_b32_e32 v9, 0x7f800000, v6, vcc_lo
	v_lshlrev_b64 v[5:6], 2, v[0:1]
	v_add_nc_u32_e32 v0, s0, v0
	v_add_co_u32 v5, vcc_lo, s2, v5
	v_add_co_ci_u32_e64 v6, null, s3, v6, vcc_lo
	global_store_dword v[5:6], v9, off
	v_mul_f32_e32 v5, 0xc2dd6a53, v3
	v_fmamk_f32 v5, v2, 0x3fea3d71, v5
	v_mul_f32_e32 v6, 0x3fb8aa3b, v5
	v_cmp_ngt_f32_e32 vcc_lo, 0xc2ce8ed0, v5
	v_fma_f32 v9, 0x3fb8aa3b, v5, -v6
	v_rndne_f32_e32 v10, v6
	v_fmac_f32_e32 v9, 0x32a5705f, v5
	v_sub_f32_e32 v6, v6, v10
	v_add_f32_e32 v6, v6, v9
	v_cvt_i32_f32_e32 v9, v10
	v_exp_f32_e32 v6, v6
	v_ldexp_f32 v6, v6, v9
	v_cndmask_b32_e32 v6, 0, v6, vcc_lo
	v_cmp_nlt_f32_e32 vcc_lo, 0x42b17218, v5
	v_cndmask_b32_e32 v9, 0x7f800000, v6, vcc_lo
	v_lshlrev_b64 v[5:6], 2, v[0:1]
	v_add_nc_u32_e32 v0, s0, v0
	v_mul_f32_e32 v10, 0x4b927c00, v9
	v_mul_f32_e32 v9, 0x48bb8000, v9
	v_add_co_u32 v5, vcc_lo, s2, v5
	v_add_co_ci_u32_e64 v6, null, s3, v6, vcc_lo
	global_store_dword v[5:6], v10, off
	v_lshlrev_b64 v[5:6], 2, v[0:1]
	v_add_nc_u32_e32 v0, s0, v0
	v_add_co_u32 v5, vcc_lo, s2, v5
	v_add_co_ci_u32_e64 v6, null, s3, v6, vcc_lo
	global_store_dword v[5:6], v9, off
	v_fmaak_f32 v5, 2.0, v2, 0x41718b09
	v_fmamk_f32 v5, v3, 0xc49d4155, v5
	v_mul_f32_e32 v6, 0x3fb8aa3b, v5
	v_cmp_ngt_f32_e32 vcc_lo, 0xc2ce8ed0, v5
	v_fma_f32 v9, 0x3fb8aa3b, v5, -v6
	v_rndne_f32_e32 v10, v6
	v_fmac_f32_e32 v9, 0x32a5705f, v5
	v_sub_f32_e32 v6, v6, v10
	v_add_f32_e32 v6, v6, v9
	v_cvt_i32_f32_e32 v9, v10
	v_exp_f32_e32 v6, v6
	v_ldexp_f32 v6, v6, v9
	v_cndmask_b32_e32 v6, 0, v6, vcc_lo
	v_cmp_nlt_f32_e32 vcc_lo, 0x42b17218, v5
	v_cndmask_b32_e32 v9, 0x7f800000, v6, vcc_lo
	v_lshlrev_b64 v[5:6], 2, v[0:1]
	v_add_nc_u32_e32 v0, s0, v0
	v_add_co_u32 v5, vcc_lo, s2, v5
	v_add_co_ci_u32_e64 v6, null, s3, v6, vcc_lo
	global_store_dword v[5:6], v9, off
	v_fmaak_f32 v5, s4, v3, 0x41fafccf
	s_mov_b32 s4, 0xc5dc2844
	v_mul_f32_e32 v6, 0x3fb8aa3b, v5
	v_cmp_ngt_f32_e32 vcc_lo, 0xc2ce8ed0, v5
	v_fma_f32 v9, 0x3fb8aa3b, v5, -v6
	v_rndne_f32_e32 v10, v6
	v_fmac_f32_e32 v9, 0x32a5705f, v5
	v_sub_f32_e32 v6, v6, v10
	v_add_f32_e32 v6, v6, v9
	v_cvt_i32_f32_e32 v9, v10
	v_exp_f32_e32 v6, v6
	v_ldexp_f32 v6, v6, v9
	v_cndmask_b32_e32 v6, 0, v6, vcc_lo
	v_cmp_nlt_f32_e32 vcc_lo, 0x42b17218, v5
	v_cndmask_b32_e32 v9, 0x7f800000, v6, vcc_lo
	v_lshlrev_b64 v[5:6], 2, v[0:1]
	v_add_nc_u32_e32 v0, s0, v0
	v_add_co_u32 v5, vcc_lo, s2, v5
	v_add_co_ci_u32_e64 v6, null, s3, v6, vcc_lo
	global_store_dword v[5:6], v9, off
	v_fmaak_f32 v5, s4, v3, 0x41e297e6
	s_mov_b32 s4, 0xc5722c4b
	v_mul_f32_e32 v6, 0x3fb8aa3b, v5
	v_cmp_ngt_f32_e32 vcc_lo, 0xc2ce8ed0, v5
	v_fma_f32 v9, 0x3fb8aa3b, v5, -v6
	v_rndne_f32_e32 v10, v6
	v_fmac_f32_e32 v9, 0x32a5705f, v5
	v_sub_f32_e32 v6, v6, v10
	v_add_f32_e32 v6, v6, v9
	v_cvt_i32_f32_e32 v9, v10
	v_exp_f32_e32 v6, v6
	v_ldexp_f32 v6, v6, v9
	v_cndmask_b32_e32 v6, 0, v6, vcc_lo
	v_cmp_nlt_f32_e32 vcc_lo, 0x42b17218, v5
	v_cndmask_b32_e32 v9, 0x7f800000, v6, vcc_lo
	v_lshlrev_b64 v[5:6], 2, v[0:1]
	v_add_nc_u32_e32 v0, s0, v0
	v_add_co_u32 v5, vcc_lo, s2, v5
	v_add_co_ci_u32_e64 v6, null, s3, v6, vcc_lo
	v_cmp_ngt_f32_e32 vcc_lo, 0xc2ce8ed0, v7
	global_store_dword v[5:6], v9, off
	v_mul_f32_e32 v5, 0x3fb8aa3b, v7
	v_fma_f32 v6, 0x3fb8aa3b, v7, -v5
	v_rndne_f32_e32 v9, v5
	v_fmac_f32_e32 v6, 0x32a5705f, v7
	v_sub_f32_e32 v5, v5, v9
	v_add_f32_e32 v5, v5, v6
	v_cvt_i32_f32_e32 v6, v9
	v_exp_f32_e32 v5, v5
	v_ldexp_f32 v5, v5, v6
	v_cndmask_b32_e32 v5, 0, v5, vcc_lo
	v_cmp_nlt_f32_e32 vcc_lo, 0x42b17218, v7
	v_cndmask_b32_e32 v7, 0x7f800000, v5, vcc_lo
	v_lshlrev_b64 v[5:6], 2, v[0:1]
	v_add_nc_u32_e32 v0, s0, v0
	v_add_co_u32 v5, vcc_lo, s2, v5
	v_add_co_ci_u32_e64 v6, null, s3, v6, vcc_lo
	global_store_dword v[5:6], v7, off
	v_fmaak_f32 v5, s5, v3, 0x41f50397
	v_mul_f32_e32 v6, 0x3fb8aa3b, v5
	v_cmp_ngt_f32_e32 vcc_lo, 0xc2ce8ed0, v5
	v_fma_f32 v7, 0x3fb8aa3b, v5, -v6
	v_rndne_f32_e32 v9, v6
	v_fmac_f32_e32 v7, 0x32a5705f, v5
	v_sub_f32_e32 v6, v6, v9
	v_add_f32_e32 v6, v6, v7
	v_cvt_i32_f32_e32 v7, v9
	v_exp_f32_e32 v6, v6
	v_ldexp_f32 v6, v6, v7
	v_cndmask_b32_e32 v6, 0, v6, vcc_lo
	v_cmp_nlt_f32_e32 vcc_lo, 0x42b17218, v5
	v_cndmask_b32_e32 v7, 0x7f800000, v6, vcc_lo
	v_lshlrev_b64 v[5:6], 2, v[0:1]
	v_add_nc_u32_e32 v0, s0, v0
	v_add_co_u32 v5, vcc_lo, s2, v5
	v_add_co_ci_u32_e64 v6, null, s3, v6, vcc_lo
	global_store_dword v[5:6], v7, off
	v_lshlrev_b64 v[5:6], 2, v[0:1]
	v_add_nc_u32_e32 v0, s0, v0
	v_add_co_u32 v5, vcc_lo, s2, v5
	v_add_co_ci_u32_e64 v6, null, s3, v6, vcc_lo
	global_store_dword v[5:6], v4, off
	;; [unrolled: 5-line block ×3, first 2 shown]
	v_fmaak_f32 v4, 2.0, v2, 0x414552c3
	v_fmamk_f32 v4, v3, 0xc590acbf, v4
	v_mul_f32_e32 v5, 0x3fb8aa3b, v4
	v_cmp_ngt_f32_e32 vcc_lo, 0xc2ce8ed0, v4
	v_fma_f32 v6, 0x3fb8aa3b, v4, -v5
	v_rndne_f32_e32 v7, v5
	v_fmac_f32_e32 v6, 0x32a5705f, v4
	v_sub_f32_e32 v5, v5, v7
	v_add_f32_e32 v5, v5, v6
	v_cvt_i32_f32_e32 v6, v7
	v_exp_f32_e32 v5, v5
	v_ldexp_f32 v5, v5, v6
	v_cndmask_b32_e32 v5, 0, v5, vcc_lo
	v_cmp_nlt_f32_e32 vcc_lo, 0x42b17218, v4
	v_cndmask_b32_e32 v6, 0x7f800000, v5, vcc_lo
	v_lshlrev_b64 v[4:5], 2, v[0:1]
	v_add_nc_u32_e32 v0, s0, v0
	v_add_co_u32 v4, vcc_lo, s2, v4
	v_add_co_ci_u32_e64 v5, null, s3, v5, vcc_lo
	global_store_dword v[4:5], v6, off
	v_fmaak_f32 v4, s4, v3, 0x41d42dca
	s_mov_b32 s4, 0xbf7d70a4
	v_mul_f32_e32 v5, 0x3fb8aa3b, v4
	v_cmp_ngt_f32_e32 vcc_lo, 0xc2ce8ed0, v4
	v_fma_f32 v6, 0x3fb8aa3b, v4, -v5
	v_rndne_f32_e32 v7, v5
	v_fmac_f32_e32 v6, 0x32a5705f, v4
	v_sub_f32_e32 v5, v5, v7
	v_add_f32_e32 v5, v5, v6
	v_cvt_i32_f32_e32 v6, v7
	v_exp_f32_e32 v5, v5
	v_ldexp_f32 v5, v5, v6
	v_cndmask_b32_e32 v5, 0, v5, vcc_lo
	v_cmp_nlt_f32_e32 vcc_lo, 0x42b17218, v4
	v_cndmask_b32_e32 v6, 0x7f800000, v5, vcc_lo
	v_lshlrev_b64 v[4:5], 2, v[0:1]
	v_add_nc_u32_e32 v0, s0, v0
	v_add_co_u32 v4, vcc_lo, s2, v4
	v_add_co_ci_u32_e64 v5, null, s3, v5, vcc_lo
	global_store_dword v[4:5], v6, off
	v_fmaak_f32 v4, s4, v2, 0x42232d98
	s_mov_b32 s4, 0xc3f51107
	v_fmamk_f32 v4, v3, 0xc446c545, v4
	v_mul_f32_e32 v5, 0x3fb8aa3b, v4
	v_cmp_ngt_f32_e32 vcc_lo, 0xc2ce8ed0, v4
	v_fma_f32 v6, 0x3fb8aa3b, v4, -v5
	v_rndne_f32_e32 v7, v5
	v_fmac_f32_e32 v6, 0x32a5705f, v4
	v_sub_f32_e32 v5, v5, v7
	v_add_f32_e32 v5, v5, v6
	v_cvt_i32_f32_e32 v6, v7
	v_exp_f32_e32 v5, v5
	v_ldexp_f32 v5, v5, v6
	v_cndmask_b32_e32 v5, 0, v5, vcc_lo
	v_cmp_nlt_f32_e32 vcc_lo, 0x42b17218, v4
	v_cndmask_b32_e32 v6, 0x7f800000, v5, vcc_lo
	v_lshlrev_b64 v[4:5], 2, v[0:1]
	v_add_nc_u32_e32 v0, s0, v0
	v_add_co_u32 v4, vcc_lo, s2, v4
	v_add_co_ci_u32_e64 v5, null, s3, v5, vcc_lo
	global_store_dword v[4:5], v6, off
	v_lshlrev_b64 v[4:5], 2, v[0:1]
	v_mov_b32_e32 v6, 0x53e8d4a5
	v_add_nc_u32_e32 v0, s0, v0
	v_add_co_u32 v4, vcc_lo, s2, v4
	v_add_co_ci_u32_e64 v5, null, s3, v5, vcc_lo
	global_store_dword v[4:5], v6, off
	v_lshlrev_b64 v[4:5], 2, v[0:1]
	v_mov_b32_e32 v6, 0x556969a8
	;; [unrolled: 6-line block ×5, first 2 shown]
	v_add_nc_u32_e32 v0, s0, v0
	v_add_co_u32 v4, vcc_lo, s2, v4
	v_add_co_ci_u32_e64 v5, null, s3, v5, vcc_lo
	global_store_dword v[4:5], v6, off
	v_lshlrev_b64 v[4:5], 2, v[0:1]
	v_add_nc_u32_e32 v0, s0, v0
	v_add_co_u32 v4, vcc_lo, s2, v4
	v_add_co_ci_u32_e64 v5, null, s3, v5, vcc_lo
	global_store_dword v[4:5], v6, off
	v_lshlrev_b64 v[4:5], 2, v[0:1]
	v_add_nc_u32_e32 v0, s0, v0
	v_add_co_u32 v6, vcc_lo, s2, v4
	v_add_co_ci_u32_e64 v7, null, s3, v5, vcc_lo
	v_mov_b32_e32 v4, 0x55ae9f7c
	v_fmaak_f32 v5, s4, v3, 0x41b717bc
	s_mov_b32 s4, 0x3ff33333
	global_store_dword v[6:7], v4, off
	v_mul_f32_e32 v6, 0x3fb8aa3b, v5
	v_cmp_ngt_f32_e32 vcc_lo, 0xc2ce8ed0, v5
	v_fma_f32 v7, 0x3fb8aa3b, v5, -v6
	v_rndne_f32_e32 v9, v6
	v_fmac_f32_e32 v7, 0x32a5705f, v5
	v_sub_f32_e32 v6, v6, v9
	v_add_f32_e32 v6, v6, v7
	v_cvt_i32_f32_e32 v7, v9
	v_exp_f32_e32 v6, v6
	v_ldexp_f32 v6, v6, v7
	v_cndmask_b32_e32 v6, 0, v6, vcc_lo
	v_cmp_nlt_f32_e32 vcc_lo, 0x42b17218, v5
	v_cndmask_b32_e32 v7, 0x7f800000, v6, vcc_lo
	v_lshlrev_b64 v[5:6], 2, v[0:1]
	v_add_nc_u32_e32 v0, s0, v0
	v_add_co_u32 v5, vcc_lo, s2, v5
	v_add_co_ci_u32_e64 v6, null, s3, v6, vcc_lo
	global_store_dword v[5:6], v7, off
	v_lshlrev_b64 v[5:6], 2, v[0:1]
	v_mov_b32_e32 v7, 0x56da475b
	v_add_nc_u32_e32 v0, s0, v0
	v_add_co_u32 v5, vcc_lo, s2, v5
	v_add_co_ci_u32_e64 v6, null, s3, v6, vcc_lo
	global_store_dword v[5:6], v7, off
	v_fmaak_f32 v5, s4, v2, 0x41947bc9
	s_mov_b32 s4, 0x3ff5c28f
	v_fmamk_f32 v5, v3, 0xc56cd38b, v5
	v_mul_f32_e32 v6, 0x3fb8aa3b, v5
	v_cmp_ngt_f32_e32 vcc_lo, 0xc2ce8ed0, v5
	v_fma_f32 v7, 0x3fb8aa3b, v5, -v6
	v_rndne_f32_e32 v9, v6
	v_fmac_f32_e32 v7, 0x32a5705f, v5
	v_sub_f32_e32 v6, v6, v9
	v_add_f32_e32 v6, v6, v7
	v_cvt_i32_f32_e32 v7, v9
	v_exp_f32_e32 v6, v6
	v_ldexp_f32 v6, v6, v7
	v_cndmask_b32_e32 v6, 0, v6, vcc_lo
	v_cmp_nlt_f32_e32 vcc_lo, 0x42b17218, v5
	v_cndmask_b32_e32 v7, 0x7f800000, v6, vcc_lo
	v_lshlrev_b64 v[5:6], 2, v[0:1]
	v_add_nc_u32_e32 v0, s0, v0
	v_add_co_u32 v5, vcc_lo, s2, v5
	v_add_co_ci_u32_e64 v6, null, s3, v6, vcc_lo
	global_store_dword v[5:6], v7, off
	v_fmaak_f32 v5, s4, v2, 0x41928138
	s_mov_b32 s4, 0x4007ae14
	v_fmamk_f32 v5, v3, 0xc532f4d8, v5
	v_mul_f32_e32 v6, 0x3fb8aa3b, v5
	v_cmp_ngt_f32_e32 vcc_lo, 0xc2ce8ed0, v5
	v_fma_f32 v7, 0x3fb8aa3b, v5, -v6
	v_rndne_f32_e32 v9, v6
	v_fmac_f32_e32 v7, 0x32a5705f, v5
	v_sub_f32_e32 v6, v6, v9
	v_add_f32_e32 v6, v6, v7
	v_cvt_i32_f32_e32 v7, v9
	v_exp_f32_e32 v6, v6
	v_ldexp_f32 v6, v6, v7
	v_cndmask_b32_e32 v6, 0, v6, vcc_lo
	v_cmp_nlt_f32_e32 vcc_lo, 0x42b17218, v5
	v_cndmask_b32_e32 v7, 0x7f800000, v6, vcc_lo
	v_lshlrev_b64 v[5:6], 2, v[0:1]
	;; [unrolled: 21-line block ×3, first 2 shown]
	v_add_nc_u32_e32 v0, s0, v0
	v_add_co_u32 v5, vcc_lo, s2, v5
	v_add_co_ci_u32_e64 v6, null, s3, v6, vcc_lo
	global_store_dword v[5:6], v7, off
	v_fmaak_f32 v5, s4, v3, 0x41fa8f28
	s_mov_b32 s4, 0x3fdeb852
	v_mul_f32_e32 v6, 0x3fb8aa3b, v5
	v_cmp_ngt_f32_e32 vcc_lo, 0xc2ce8ed0, v5
	v_fma_f32 v7, 0x3fb8aa3b, v5, -v6
	v_rndne_f32_e32 v9, v6
	v_fmac_f32_e32 v7, 0x32a5705f, v5
	v_sub_f32_e32 v6, v6, v9
	v_add_f32_e32 v6, v6, v7
	v_cvt_i32_f32_e32 v7, v9
	v_exp_f32_e32 v6, v6
	v_ldexp_f32 v6, v6, v7
	v_cndmask_b32_e32 v6, 0, v6, vcc_lo
	v_cmp_nlt_f32_e32 vcc_lo, 0x42b17218, v5
	v_cndmask_b32_e32 v7, 0x7f800000, v6, vcc_lo
	v_lshlrev_b64 v[5:6], 2, v[0:1]
	v_add_nc_u32_e32 v0, s0, v0
	v_add_co_u32 v5, vcc_lo, s2, v5
	v_add_co_ci_u32_e64 v6, null, s3, v6, vcc_lo
	global_store_dword v[5:6], v7, off
	v_fmaak_f32 v5, s4, v2, 0x417a15da
	v_fmamk_f32 v5, v3, 0xc5a454ea, v5
	v_mul_f32_e32 v6, 0x3fb8aa3b, v5
	v_cmp_ngt_f32_e32 vcc_lo, 0xc2ce8ed0, v5
	v_fma_f32 v7, 0x3fb8aa3b, v5, -v6
	v_rndne_f32_e32 v9, v6
	v_fmac_f32_e32 v7, 0x32a5705f, v5
	v_sub_f32_e32 v6, v6, v9
	v_add_f32_e32 v6, v6, v7
	v_cvt_i32_f32_e32 v7, v9
	v_exp_f32_e32 v6, v6
	v_ldexp_f32 v6, v6, v7
	v_cndmask_b32_e32 v6, 0, v6, vcc_lo
	v_cmp_nlt_f32_e32 vcc_lo, 0x42b17218, v5
	v_cndmask_b32_e32 v7, 0x7f800000, v6, vcc_lo
	v_lshlrev_b64 v[5:6], 2, v[0:1]
	v_add_nc_u32_e32 v0, s0, v0
	v_add_co_u32 v5, vcc_lo, s2, v5
	v_add_co_ci_u32_e64 v6, null, s3, v6, vcc_lo
	global_store_dword v[5:6], v7, off
	v_lshlrev_b64 v[5:6], 2, v[0:1]
	v_mov_b32_e32 v7, 0x5735e621
	v_add_nc_u32_e32 v0, s1, v0
	s_mov_b32 s1, 0xc4cd1ad6
	v_add_co_u32 v5, vcc_lo, s2, v5
	v_add_co_ci_u32_e64 v6, null, s3, v6, vcc_lo
	global_store_dword v[5:6], v7, off
	v_lshlrev_b64 v[5:6], 2, v[0:1]
	v_mov_b32_e32 v7, 0x541ad517
	v_add_nc_u32_e32 v0, s0, v0
	v_add_co_u32 v5, vcc_lo, s2, v5
	v_add_co_ci_u32_e64 v6, null, s3, v6, vcc_lo
	global_store_dword v[5:6], v7, off
	v_lshlrev_b64 v[5:6], 2, v[0:1]
	v_mov_b32_e32 v7, 0x54c015d5
	v_add_nc_u32_e32 v0, s0, v0
	v_add_co_u32 v5, vcc_lo, s2, v5
	v_add_co_ci_u32_e64 v6, null, s3, v6, vcc_lo
	global_store_dword v[5:6], v7, off
	v_lshlrev_b64 v[5:6], 2, v[0:1]
	v_add_nc_u32_e32 v0, s0, v0
	v_add_co_u32 v5, vcc_lo, s2, v5
	v_add_co_ci_u32_e64 v6, null, s3, v6, vcc_lo
	global_store_dword v[5:6], v8, off
	v_fmaak_f32 v5, s1, v3, 0x41f1c012
	s_mov_b32 s1, 0xc018f5c3
	v_mul_f32_e32 v6, 0x3fb8aa3b, v5
	v_cmp_ngt_f32_e32 vcc_lo, 0xc2ce8ed0, v5
	v_fma_f32 v7, 0x3fb8aa3b, v5, -v6
	v_rndne_f32_e32 v8, v6
	v_fmac_f32_e32 v7, 0x32a5705f, v5
	v_sub_f32_e32 v6, v6, v8
	v_add_f32_e32 v6, v6, v7
	v_cvt_i32_f32_e32 v7, v8
	v_exp_f32_e32 v6, v6
	v_ldexp_f32 v6, v6, v7
	v_cndmask_b32_e32 v6, 0, v6, vcc_lo
	v_cmp_nlt_f32_e32 vcc_lo, 0x42b17218, v5
	v_cndmask_b32_e32 v7, 0x7f800000, v6, vcc_lo
	v_lshlrev_b64 v[5:6], 2, v[0:1]
	v_add_nc_u32_e32 v0, s0, v0
	v_add_co_u32 v5, vcc_lo, s2, v5
	v_add_co_ci_u32_e64 v6, null, s3, v6, vcc_lo
	global_store_dword v[5:6], v7, off
	v_fmaak_f32 v5, s1, v2, 0x424c81ec
	s_mov_b32 s1, 0x40200000
	v_fmamk_f32 v5, v3, 0xc5afcfb3, v5
	v_mul_f32_e32 v6, 0x3fb8aa3b, v5
	v_cmp_ngt_f32_e32 vcc_lo, 0xc2ce8ed0, v5
	v_fma_f32 v7, 0x3fb8aa3b, v5, -v6
	v_rndne_f32_e32 v8, v6
	v_fmac_f32_e32 v7, 0x32a5705f, v5
	v_sub_f32_e32 v6, v6, v8
	v_add_f32_e32 v6, v6, v7
	v_cvt_i32_f32_e32 v7, v8
	v_exp_f32_e32 v6, v6
	v_ldexp_f32 v6, v6, v7
	v_cndmask_b32_e32 v6, 0, v6, vcc_lo
	v_cmp_nlt_f32_e32 vcc_lo, 0x42b17218, v5
	v_cndmask_b32_e32 v7, 0x7f800000, v6, vcc_lo
	v_lshlrev_b64 v[5:6], 2, v[0:1]
	v_add_nc_u32_e32 v0, s0, v0
	v_add_co_u32 v5, vcc_lo, s2, v5
	v_add_co_ci_u32_e64 v6, null, s3, v6, vcc_lo
	global_store_dword v[5:6], v7, off
	v_fmaak_f32 v5, s1, v2, 0x4140b265
	s_mov_b32 s1, 0x3fd33333
	v_fmamk_f32 v5, v3, 0xc49ca04e, v5
	v_mul_f32_e32 v6, 0x3fb8aa3b, v5
	v_cmp_ngt_f32_e32 vcc_lo, 0xc2ce8ed0, v5
	v_fma_f32 v7, 0x3fb8aa3b, v5, -v6
	v_rndne_f32_e32 v8, v6
	v_fmac_f32_e32 v7, 0x32a5705f, v5
	v_sub_f32_e32 v6, v6, v8
	v_add_f32_e32 v6, v6, v7
	v_cvt_i32_f32_e32 v7, v8
	v_exp_f32_e32 v6, v6
	v_ldexp_f32 v6, v6, v7
	v_cndmask_b32_e32 v6, 0, v6, vcc_lo
	v_cmp_nlt_f32_e32 vcc_lo, 0x42b17218, v5
	v_cndmask_b32_e32 v7, 0x7f800000, v6, vcc_lo
	v_lshlrev_b64 v[5:6], 2, v[0:1]
	v_add_nc_u32_e32 v0, s0, v0
	v_add_co_u32 v5, vcc_lo, s2, v5
	v_add_co_ci_u32_e64 v6, null, s3, v6, vcc_lo
	global_store_dword v[5:6], v7, off
	v_fmaak_f32 v5, s1, v2, 0x4194d2f3
	v_fmamk_f32 v5, v3, 0xc3248d46, v5
	v_mul_f32_e32 v6, 0x3fb8aa3b, v5
	v_cmp_ngt_f32_e32 vcc_lo, 0xc2ce8ed0, v5
	v_fma_f32 v7, 0x3fb8aa3b, v5, -v6
	v_rndne_f32_e32 v8, v6
	v_fmac_f32_e32 v7, 0x32a5705f, v5
	v_sub_f32_e32 v6, v6, v8
	v_add_f32_e32 v6, v6, v7
	v_cvt_i32_f32_e32 v7, v8
	v_exp_f32_e32 v6, v6
	v_ldexp_f32 v6, v6, v7
	v_cndmask_b32_e32 v6, 0, v6, vcc_lo
	v_cmp_nlt_f32_e32 vcc_lo, 0x42b17218, v5
	v_cndmask_b32_e32 v7, 0x7f800000, v6, vcc_lo
	v_lshlrev_b64 v[5:6], 2, v[0:1]
	v_add_nc_u32_e32 v0, s0, v0
	v_add_co_u32 v5, vcc_lo, s2, v5
	v_add_co_ci_u32_e64 v6, null, s3, v6, vcc_lo
	global_store_dword v[5:6], v7, off
	v_fmaak_f32 v5, s1, v2, 0x418af785
	s_mov_b32 s1, 0x3f333333
	v_fmamk_f32 v5, v3, 0x43f49034, v5
	v_mul_f32_e32 v6, 0x3fb8aa3b, v5
	v_cmp_ngt_f32_e32 vcc_lo, 0xc2ce8ed0, v5
	v_fma_f32 v7, 0x3fb8aa3b, v5, -v6
	v_rndne_f32_e32 v8, v6
	v_fmac_f32_e32 v7, 0x32a5705f, v5
	v_sub_f32_e32 v6, v6, v8
	v_add_f32_e32 v6, v6, v7
	v_cvt_i32_f32_e32 v7, v8
	v_exp_f32_e32 v6, v6
	v_ldexp_f32 v6, v6, v7
	v_cndmask_b32_e32 v6, 0, v6, vcc_lo
	v_cmp_nlt_f32_e32 vcc_lo, 0x42b17218, v5
	v_cndmask_b32_e32 v7, 0x7f800000, v6, vcc_lo
	v_lshlrev_b64 v[5:6], 2, v[0:1]
	v_add_nc_u32_e32 v0, s0, v0
	v_add_co_u32 v5, vcc_lo, s2, v5
	v_add_co_ci_u32_e64 v6, null, s3, v6, vcc_lo
	global_store_dword v[5:6], v7, off
	v_fmaak_f32 v5, s1, v2, 0x41cf546d
	s_mov_b32 s1, 0x40266666
	v_fmamk_f32 v5, v3, 0xc538eea0, v5
	v_mul_f32_e32 v6, 0x3fb8aa3b, v5
	v_cmp_ngt_f32_e32 vcc_lo, 0xc2ce8ed0, v5
	v_fma_f32 v7, 0x3fb8aa3b, v5, -v6
	v_rndne_f32_e32 v8, v6
	v_fmac_f32_e32 v7, 0x32a5705f, v5
	v_sub_f32_e32 v6, v6, v8
	v_add_f32_e32 v6, v6, v7
	v_cvt_i32_f32_e32 v7, v8
	v_exp_f32_e32 v6, v6
	v_ldexp_f32 v6, v6, v7
	v_cndmask_b32_e32 v6, 0, v6, vcc_lo
	v_cmp_nlt_f32_e32 vcc_lo, 0x42b17218, v5
	v_cndmask_b32_e32 v7, 0x7f800000, v6, vcc_lo
	v_lshlrev_b64 v[5:6], 2, v[0:1]
	v_add_nc_u32_e32 v0, s0, v0
	v_add_co_u32 v5, vcc_lo, s2, v5
	v_add_co_ci_u32_e64 v6, null, s3, v6, vcc_lo
	global_store_dword v[5:6], v7, off
	v_fmaak_f32 v5, 2.0, v2, 0x416f268e
	v_fmamk_f32 v5, v3, 0x4315f565, v5
	v_mul_f32_e32 v6, 0x3fb8aa3b, v5
	v_cmp_ngt_f32_e32 vcc_lo, 0xc2ce8ed0, v5
	v_fma_f32 v7, 0x3fb8aa3b, v5, -v6
	v_rndne_f32_e32 v8, v6
	v_fmac_f32_e32 v7, 0x32a5705f, v5
	v_sub_f32_e32 v6, v6, v8
	v_add_f32_e32 v6, v6, v7
	v_cvt_i32_f32_e32 v7, v8
	v_exp_f32_e32 v6, v6
	v_ldexp_f32 v6, v6, v7
	v_cndmask_b32_e32 v6, 0, v6, vcc_lo
	v_cmp_nlt_f32_e32 vcc_lo, 0x42b17218, v5
	v_cndmask_b32_e32 v7, 0x7f800000, v6, vcc_lo
	v_lshlrev_b64 v[5:6], 2, v[0:1]
	v_add_nc_u32_e32 v0, s0, v0
	v_add_co_u32 v5, vcc_lo, s2, v5
	v_add_co_ci_u32_e64 v6, null, s3, v6, vcc_lo
	global_store_dword v[5:6], v7, off
	v_fmaak_f32 v5, s1, v2, 0x4112b659
	s_mov_b32 s1, 0x40600000
	v_fmamk_f32 v5, v3, 0xc5dabdf3, v5
	v_mul_f32_e32 v6, 0x3fb8aa3b, v5
	v_cmp_ngt_f32_e32 vcc_lo, 0xc2ce8ed0, v5
	v_fma_f32 v7, 0x3fb8aa3b, v5, -v6
	v_rndne_f32_e32 v8, v6
	v_fmac_f32_e32 v7, 0x32a5705f, v5
	v_sub_f32_e32 v6, v6, v8
	v_add_f32_e32 v6, v6, v7
	v_cvt_i32_f32_e32 v7, v8
	v_exp_f32_e32 v6, v6
	v_ldexp_f32 v6, v6, v7
	v_cndmask_b32_e32 v6, 0, v6, vcc_lo
	v_cmp_nlt_f32_e32 vcc_lo, 0x42b17218, v5
	v_cndmask_b32_e32 v7, 0x7f800000, v6, vcc_lo
	v_lshlrev_b64 v[5:6], 2, v[0:1]
	v_add_nc_u32_e32 v0, s0, v0
	v_add_co_u32 v5, vcc_lo, s2, v5
	v_add_co_ci_u32_e64 v6, null, s3, v6, vcc_lo
	global_store_dword v[5:6], v7, off
	v_fmaak_f32 v5, s1, v2, 0x3f49d857
	s_mov_b32 s1, 0xc03ae148
	v_fmamk_f32 v5, v3, 0xc5327c13, v5
	v_mul_f32_e32 v6, 0x3fb8aa3b, v5
	v_cmp_ngt_f32_e32 vcc_lo, 0xc2ce8ed0, v5
	v_fma_f32 v7, 0x3fb8aa3b, v5, -v6
	v_rndne_f32_e32 v8, v6
	v_fmac_f32_e32 v7, 0x32a5705f, v5
	v_sub_f32_e32 v6, v6, v8
	v_add_f32_e32 v6, v6, v7
	v_cvt_i32_f32_e32 v7, v8
	v_exp_f32_e32 v6, v6
	v_ldexp_f32 v6, v6, v7
	v_cndmask_b32_e32 v6, 0, v6, vcc_lo
	v_cmp_nlt_f32_e32 vcc_lo, 0x42b17218, v5
	v_cndmask_b32_e32 v7, 0x7f800000, v6, vcc_lo
	v_lshlrev_b64 v[5:6], 2, v[0:1]
	v_add_nc_u32_e32 v0, s0, v0
	v_add_co_u32 v5, vcc_lo, s2, v5
	v_add_co_ci_u32_e64 v6, null, s3, v6, vcc_lo
	global_store_dword v[5:6], v7, off
	v_fmaak_f32 v5, s1, v2, 0x42624810
	s_mov_b32 s1, 0xc0a70a3d
	v_fmaak_f32 v2, s1, v2, 0x42961660
	v_fmamk_f32 v5, v3, 0xc5c4a5cc, v5
	v_fmamk_f32 v2, v3, 0xc61b4414, v2
	v_mul_f32_e32 v6, 0x3fb8aa3b, v5
	v_cmp_ngt_f32_e32 vcc_lo, 0xc2ce8ed0, v5
	v_mul_f32_e32 v3, 0x3fb8aa3b, v2
	v_fma_f32 v7, 0x3fb8aa3b, v5, -v6
	v_rndne_f32_e32 v8, v6
	v_fmac_f32_e32 v7, 0x32a5705f, v5
	v_sub_f32_e32 v6, v6, v8
	v_add_f32_e32 v6, v6, v7
	v_cvt_i32_f32_e32 v7, v8
	v_exp_f32_e32 v6, v6
	v_ldexp_f32 v6, v6, v7
	v_cndmask_b32_e32 v6, 0, v6, vcc_lo
	v_cmp_nlt_f32_e32 vcc_lo, 0x42b17218, v5
	v_cndmask_b32_e32 v7, 0x7f800000, v6, vcc_lo
	v_lshlrev_b64 v[5:6], 2, v[0:1]
	v_add_nc_u32_e32 v0, s0, v0
	v_add_co_u32 v5, vcc_lo, s2, v5
	v_add_co_ci_u32_e64 v6, null, s3, v6, vcc_lo
	global_store_dword v[5:6], v7, off
	v_lshlrev_b64 v[5:6], 2, v[0:1]
	v_mov_b32_e32 v7, 0x53d18c2e
	v_add_nc_u32_e32 v0, s0, v0
	v_add_co_u32 v5, vcc_lo, s2, v5
	v_add_co_ci_u32_e64 v6, null, s3, v6, vcc_lo
	global_store_dword v[5:6], v7, off
	v_lshlrev_b64 v[5:6], 2, v[0:1]
	v_mov_b32_e32 v7, 0x56ae9f7c
	v_add_nc_u32_e32 v0, s0, v0
	v_add_co_u32 v5, vcc_lo, s2, v5
	v_add_co_ci_u32_e64 v6, null, s3, v6, vcc_lo
	global_store_dword v[5:6], v7, off
	v_lshlrev_b64 v[5:6], 2, v[0:1]
	v_add_nc_u32_e32 v0, s0, v0
	v_mov_b32_e32 v7, 0x51a7a358
	v_add_co_u32 v5, vcc_lo, s2, v5
	v_add_co_ci_u32_e64 v6, null, s3, v6, vcc_lo
	global_store_dword v[5:6], v4, off
	v_lshlrev_b64 v[5:6], 2, v[0:1]
	v_add_nc_u32_e32 v0, s0, v0
	v_add_co_u32 v5, vcc_lo, s2, v5
	v_add_co_ci_u32_e64 v6, null, s3, v6, vcc_lo
	global_store_dword v[5:6], v7, off
	v_lshlrev_b64 v[5:6], 2, v[0:1]
	v_add_nc_u32_e32 v0, s0, v0
	v_add_co_u32 v5, vcc_lo, s2, v5
	v_add_co_ci_u32_e64 v6, null, s3, v6, vcc_lo
	global_store_dword v[5:6], v4, off
	v_lshlrev_b64 v[4:5], 2, v[0:1]
	v_mov_b32_e32 v6, 0x55201231
	v_add_nc_u32_e32 v0, s0, v0
	v_add_co_u32 v4, vcc_lo, s2, v4
	v_add_co_ci_u32_e64 v5, null, s3, v5, vcc_lo
	v_cmp_ngt_f32_e32 vcc_lo, 0xc2ce8ed0, v2
	v_lshlrev_b64 v[0:1], 2, v[0:1]
	global_store_dword v[4:5], v6, off
	v_fma_f32 v4, 0x3fb8aa3b, v2, -v3
	v_rndne_f32_e32 v5, v3
	v_fmac_f32_e32 v4, 0x32a5705f, v2
	v_sub_f32_e32 v3, v3, v5
	v_add_f32_e32 v3, v3, v4
	v_cvt_i32_f32_e32 v4, v5
	v_exp_f32_e32 v3, v3
	v_ldexp_f32 v3, v3, v4
	v_cndmask_b32_e32 v3, 0, v3, vcc_lo
	v_cmp_nlt_f32_e32 vcc_lo, 0x42b17218, v2
	v_cndmask_b32_e32 v2, 0x7f800000, v3, vcc_lo
	v_add_co_u32 v0, vcc_lo, s2, v0
	v_add_co_ci_u32_e64 v1, null, s3, v1, vcc_lo
	global_store_dword v[0:1], v2, off
	s_endpgm
	.section	.rodata,"a",@progbits
	.p2align	6, 0x0
	.amdhsa_kernel _Z11ratt_kernelIfEvPKT_PS0_S0_
		.amdhsa_group_segment_fixed_size 0
		.amdhsa_private_segment_fixed_size 0
		.amdhsa_kernarg_size 280
		.amdhsa_user_sgpr_count 6
		.amdhsa_user_sgpr_private_segment_buffer 1
		.amdhsa_user_sgpr_dispatch_ptr 0
		.amdhsa_user_sgpr_queue_ptr 0
		.amdhsa_user_sgpr_kernarg_segment_ptr 1
		.amdhsa_user_sgpr_dispatch_id 0
		.amdhsa_user_sgpr_flat_scratch_init 0
		.amdhsa_user_sgpr_private_segment_size 0
		.amdhsa_wavefront_size32 1
		.amdhsa_uses_dynamic_stack 0
		.amdhsa_system_sgpr_private_segment_wavefront_offset 0
		.amdhsa_system_sgpr_workgroup_id_x 1
		.amdhsa_system_sgpr_workgroup_id_y 0
		.amdhsa_system_sgpr_workgroup_id_z 0
		.amdhsa_system_sgpr_workgroup_info 0
		.amdhsa_system_vgpr_workitem_id 0
		.amdhsa_next_free_vgpr 15
		.amdhsa_next_free_sgpr 9
		.amdhsa_reserve_vcc 1
		.amdhsa_reserve_flat_scratch 0
		.amdhsa_float_round_mode_32 0
		.amdhsa_float_round_mode_16_64 0
		.amdhsa_float_denorm_mode_32 3
		.amdhsa_float_denorm_mode_16_64 3
		.amdhsa_dx10_clamp 1
		.amdhsa_ieee_mode 1
		.amdhsa_fp16_overflow 0
		.amdhsa_workgroup_processor_mode 1
		.amdhsa_memory_ordered 1
		.amdhsa_forward_progress 1
		.amdhsa_shared_vgpr_count 0
		.amdhsa_exception_fp_ieee_invalid_op 0
		.amdhsa_exception_fp_denorm_src 0
		.amdhsa_exception_fp_ieee_div_zero 0
		.amdhsa_exception_fp_ieee_overflow 0
		.amdhsa_exception_fp_ieee_underflow 0
		.amdhsa_exception_fp_ieee_inexact 0
		.amdhsa_exception_int_div_zero 0
	.end_amdhsa_kernel
	.section	.text._Z11ratt_kernelIfEvPKT_PS0_S0_,"axG",@progbits,_Z11ratt_kernelIfEvPKT_PS0_S0_,comdat
.Lfunc_end0:
	.size	_Z11ratt_kernelIfEvPKT_PS0_S0_, .Lfunc_end0-_Z11ratt_kernelIfEvPKT_PS0_S0_
                                        ; -- End function
	.set _Z11ratt_kernelIfEvPKT_PS0_S0_.num_vgpr, 15
	.set _Z11ratt_kernelIfEvPKT_PS0_S0_.num_agpr, 0
	.set _Z11ratt_kernelIfEvPKT_PS0_S0_.numbered_sgpr, 9
	.set _Z11ratt_kernelIfEvPKT_PS0_S0_.num_named_barrier, 0
	.set _Z11ratt_kernelIfEvPKT_PS0_S0_.private_seg_size, 0
	.set _Z11ratt_kernelIfEvPKT_PS0_S0_.uses_vcc, 1
	.set _Z11ratt_kernelIfEvPKT_PS0_S0_.uses_flat_scratch, 0
	.set _Z11ratt_kernelIfEvPKT_PS0_S0_.has_dyn_sized_stack, 0
	.set _Z11ratt_kernelIfEvPKT_PS0_S0_.has_recursion, 0
	.set _Z11ratt_kernelIfEvPKT_PS0_S0_.has_indirect_call, 0
	.section	.AMDGPU.csdata,"",@progbits
; Kernel info:
; codeLenInByte = 19616
; TotalNumSgprs: 11
; NumVgprs: 15
; ScratchSize: 0
; MemoryBound: 0
; FloatMode: 240
; IeeeMode: 1
; LDSByteSize: 0 bytes/workgroup (compile time only)
; SGPRBlocks: 0
; VGPRBlocks: 1
; NumSGPRsForWavesPerEU: 11
; NumVGPRsForWavesPerEU: 15
; Occupancy: 16
; WaveLimiterHint : 0
; COMPUTE_PGM_RSRC2:SCRATCH_EN: 0
; COMPUTE_PGM_RSRC2:USER_SGPR: 6
; COMPUTE_PGM_RSRC2:TRAP_HANDLER: 0
; COMPUTE_PGM_RSRC2:TGID_X_EN: 1
; COMPUTE_PGM_RSRC2:TGID_Y_EN: 0
; COMPUTE_PGM_RSRC2:TGID_Z_EN: 0
; COMPUTE_PGM_RSRC2:TIDIG_COMP_CNT: 0
	.section	.text._Z12rdsmh_kernelIfEvPKT_PS0_S0_,"axG",@progbits,_Z12rdsmh_kernelIfEvPKT_PS0_S0_,comdat
	.protected	_Z12rdsmh_kernelIfEvPKT_PS0_S0_ ; -- Begin function _Z12rdsmh_kernelIfEvPKT_PS0_S0_
	.globl	_Z12rdsmh_kernelIfEvPKT_PS0_S0_
	.p2align	8
	.type	_Z12rdsmh_kernelIfEvPKT_PS0_S0_,@function
_Z12rdsmh_kernelIfEvPKT_PS0_S0_:        ; @_Z12rdsmh_kernelIfEvPKT_PS0_S0_
; %bb.0:
	s_clause 0x1
	s_load_dword s7, s[4:5], 0x24
	s_load_dwordx4 s[0:3], s[4:5], 0x0
	s_waitcnt lgkmcnt(0)
	s_and_b32 s7, s7, 0xffff
	v_mad_u64_u32 v[0:1], null, s6, s7, v[0:1]
	v_mov_b32_e32 v1, 0
	s_clause 0x1
	s_load_dword s6, s[4:5], 0x10
	s_load_dword s4, s[4:5], 0x18
	v_lshlrev_b64 v[2:3], 2, v[0:1]
	v_add_co_u32 v4, vcc_lo, s0, v2
	v_add_co_ci_u32_e64 v5, null, s1, v3, vcc_lo
	s_mov_b32 s1, exec_lo
	global_load_dword v4, v[4:5], off
	s_waitcnt vmcnt(0) lgkmcnt(0)
	v_mul_f32_e32 v6, s6, v4
	v_cmp_gt_f32_e32 vcc_lo, 0x800000, v6
	v_div_scale_f32 v4, null, v6, v6, 1.0
	v_div_scale_f32 v9, s0, 1.0, v6, 1.0
	v_cndmask_b32_e64 v5, 0, 32, vcc_lo
	v_rcp_f32_e32 v7, v4
	v_ldexp_f32 v5, v6, v5
	v_log_f32_e32 v5, v5
	v_fma_f32 v8, -v4, v7, 1.0
	v_fmac_f32_e32 v7, v8, v7
	v_mul_f32_e32 v8, 0x3f317217, v5
	v_mul_f32_e32 v10, v9, v7
	v_fma_f32 v8, 0x3f317217, v5, -v8
	v_fma_f32 v11, -v4, v10, v9
	v_fmamk_f32 v8, v5, 0x3377d1cf, v8
	v_fmac_f32_e32 v10, v11, v7
	v_cndmask_b32_e64 v11, 0, 0x41b17218, vcc_lo
	v_cmp_gt_f32_e64 vcc_lo, 0x7f800000, |v5|
	v_fmac_f32_e32 v8, 0x3f317217, v5
	v_fma_f32 v4, -v4, v10, v9
	v_cndmask_b32_e32 v5, v5, v8, vcc_lo
	s_mov_b32 vcc_lo, s0
	s_mul_i32 s0, s4, s7
	v_div_fmas_f32 v4, v4, v7, v10
                                        ; implicit-def: $vgpr10
	v_sub_f32_e32 v5, v5, v11
                                        ; implicit-def: $vgpr11
	v_div_fixup_f32 v8, v4, v6, 1.0
	v_add_co_u32 v4, vcc_lo, s2, v2
	v_add_f32_e32 v7, -1.0, v5
	v_add_co_ci_u32_e64 v5, null, s3, v3, vcc_lo
	v_mul_f32_e32 v3, 0x46c70352, v8
	v_add_nc_u32_e32 v2, s0, v0
	v_mul_f32_e32 v9, 0x40200000, v7
	v_cmpx_nlt_f32_e32 0x447a0000, v6
	s_xor_b32 s1, exec_lo, s1
	s_cbranch_execz .LBB1_2
; %bb.1:
	s_mov_b32 s4, 0xaacf9e87
	s_mov_b32 s5, 0x44657bda
	v_fmaak_f32 v10, s4, v6, 0x30e6dd90
	s_mov_b32 s4, 0x9a604fda
	v_fmaak_f32 v12, s5, v8, 0x3f2ed9c2
	v_fmaak_f32 v11, s4, v6, 0x20625c41
	v_sub_f32_e32 v13, 0xbee4b39d, v3
	v_fmaak_f32 v10, v6, v10, 0xb659dc04
	s_mov_b32 s4, 0xc6e38485
	v_fmamk_f32 v12, v7, 0x40160985, v12
	v_fmaak_f32 v11, v6, v11, 0xa5bfc2f5
	v_add_f32_e32 v13, v13, v9
	v_fmaak_f32 v10, v6, v10, 0x3b82c0bb
	s_mov_b32 s5, 0x29eddd45
	v_mov_b32_e32 v3, v1
	v_fmaak_f32 v9, v6, v11, 0x2ac68896
	s_mov_b32 s6, 0x4484fe32
	v_fmac_f32_e32 v12, v6, v10
	v_fmaak_f32 v10, s5, v6, 0xb00c5f5c
	v_fmaak_f32 v19, s6, v8, 0x406a175c
	v_fmac_f32_e32 v13, v6, v9
	v_fmaak_f32 v9, s4, v8, 0x400352e1
	v_mul_f32_e32 v11, 0x3fb8aa3b, v12
	v_fmaak_f32 v10, v6, v10, 0x35949a53
	s_mov_b32 s4, 0x2a369b0d
	v_mul_f32_e32 v14, 0x3fb8aa3b, v13
	v_fmamk_f32 v15, v7, 0x404ac4e3, v9
	v_fma_f32 v9, 0x3fb8aa3b, v12, -v11
	v_rndne_f32_e32 v16, v11
	v_fmaak_f32 v10, v6, v10, 0xbad6e9d7
	v_fma_f32 v17, 0x3fb8aa3b, v13, -v14
	v_rndne_f32_e32 v18, v14
	v_fmac_f32_e32 v9, 0x32a5705f, v12
	v_sub_f32_e32 v11, v11, v16
	v_fmac_f32_e32 v15, v6, v10
	v_fmac_f32_e32 v17, 0x32a5705f, v13
	v_sub_f32_e32 v14, v14, v18
	v_fmaak_f32 v20, s4, v6, 0xb05dc3b7
	v_add_f32_e32 v11, v11, v9
	v_lshlrev_b64 v[9:10], 2, v[2:3]
	v_cvt_i32_f32_e32 v16, v16
	v_add_f32_e32 v3, v14, v17
	v_mul_f32_e32 v14, 0x3fb8aa3b, v15
	v_exp_f32_e32 v11, v11
	v_fmamk_f32 v17, v7, 0x407213c4, v19
	v_fmaak_f32 v19, v6, v20, 0x35dc47c9
	v_exp_f32_e32 v3, v3
	v_fma_f32 v20, 0x3fb8aa3b, v15, -v14
	v_rndne_f32_e32 v21, v14
	v_cvt_i32_f32_e32 v18, v18
	v_cmp_ngt_f32_e32 vcc_lo, 0xc2ce8ed0, v12
	v_fmaak_f32 v19, v6, v19, 0xbac464db
	v_fmac_f32_e32 v20, 0x32a5705f, v15
	v_ldexp_f32 v11, v11, v16
	v_sub_f32_e32 v14, v14, v21
	v_add_nc_u32_e32 v2, s0, v2
	v_ldexp_f32 v3, v3, v18
	v_fmac_f32_e32 v17, v6, v19
	v_cndmask_b32_e32 v11, 0, v11, vcc_lo
	v_cmp_ngt_f32_e32 vcc_lo, 0xc2ce8ed0, v13
	v_add_f32_e32 v14, v14, v20
	s_mov_b32 s4, 0x299995ee
	s_mov_b32 s5, 0x463408d2
	v_cndmask_b32_e32 v3, 0, v3, vcc_lo
	v_cmp_nlt_f32_e32 vcc_lo, 0x42b17218, v12
	v_mul_f32_e32 v12, 0x3fb8aa3b, v17
	v_cndmask_b32_e32 v16, 0x7f800000, v11, vcc_lo
	v_exp_f32_e32 v11, v14
	v_cmp_nlt_f32_e32 vcc_lo, 0x42b17218, v13
	v_fma_f32 v14, 0x3fb8aa3b, v17, -v12
	v_rndne_f32_e32 v18, v12
	global_store_dword v[4:5], v16, off
	v_cndmask_b32_e32 v13, 0x7f800000, v3, vcc_lo
	v_cvt_i32_f32_e32 v3, v21
	v_add_co_u32 v9, vcc_lo, s2, v9
	v_add_co_ci_u32_e64 v10, null, s3, v10, vcc_lo
	v_ldexp_f32 v11, v11, v3
	v_mov_b32_e32 v3, v1
	v_fmac_f32_e32 v14, 0x32a5705f, v17
	v_sub_f32_e32 v19, v12, v18
	v_cmp_ngt_f32_e32 vcc_lo, 0xc2ce8ed0, v15
	v_fmaak_f32 v21, s4, v6, 0xafb1ce6a
	s_mov_b32 s4, 0xc561f14a
	v_cvt_i32_f32_e32 v4, v18
	global_store_dword v[9:10], v13, off
	v_cndmask_b32_e32 v20, 0, v11, vcc_lo
	v_lshlrev_b64 v[11:12], 2, v[2:3]
	v_add_f32_e32 v3, v19, v14
	v_fmaak_f32 v14, s4, v8, 0xbdd4d6df
	v_fmaak_f32 v19, v6, v21, 0x354e9a63
	v_cmp_nlt_f32_e32 vcc_lo, 0x42b17218, v15
	s_mov_b32 s4, 0x29c781cb
	v_exp_f32_e32 v3, v3
	v_fmamk_f32 v14, v7, 0x407f7d2e, v14
	v_fmaak_f32 v19, v6, v19, 0xba9d5f6c
	v_cndmask_b32_e32 v15, 0x7f800000, v20, vcc_lo
	v_add_co_u32 v11, vcc_lo, s2, v11
	v_add_co_ci_u32_e64 v12, null, s3, v12, vcc_lo
	v_fmac_f32_e32 v14, v6, v19
	v_cmp_ngt_f32_e32 vcc_lo, 0xc2ce8ed0, v17
	v_ldexp_f32 v4, v3, v4
	v_fmaak_f32 v3, s4, v6, 0xaffb6b9a
	s_mov_b32 s4, 0x46ecab74
	v_mul_f32_e32 v5, 0x3fb8aa3b, v14
	v_fmaak_f32 v9, s4, v8, 0xbf595a2d
	global_store_dword v[11:12], v15, off
	v_fmaak_f32 v10, v6, v3, 0x3591dbe3
	s_mov_b32 s4, 0x2b02c6dd
	v_fma_f32 v11, 0x3fb8aa3b, v14, -v5
	v_rndne_f32_e32 v12, v5
	v_fmamk_f32 v15, v7, 0x40865b43, v9
	v_fmaak_f32 v9, v6, v10, 0xba8575b2
	v_cndmask_b32_e32 v10, 0, v4, vcc_lo
	v_fmac_f32_e32 v11, 0x32a5705f, v14
	v_sub_f32_e32 v5, v5, v12
	v_cmp_nlt_f32_e32 vcc_lo, 0x42b17218, v17
	v_fmac_f32_e32 v15, v6, v9
	v_add_nc_u32_e32 v2, s0, v2
	v_mov_b32_e32 v3, v1
	v_add_f32_e32 v5, v5, v11
	v_cndmask_b32_e32 v16, 0x7f800000, v10, vcc_lo
	v_mul_f32_e32 v9, 0x3fb8aa3b, v15
	v_cvt_i32_f32_e32 v11, v12
	v_fmaak_f32 v12, s4, v6, 0xb10b0590
	v_exp_f32_e32 v5, v5
	s_mov_b32 s4, 0xc393676e
	v_fma_f32 v10, 0x3fb8aa3b, v15, -v9
	v_rndne_f32_e32 v13, v9
	v_fmaak_f32 v18, s4, v8, 0x406dddcc
	v_fmaak_f32 v12, v6, v12, 0x366ca6c6
	v_lshlrev_b64 v[3:4], 2, v[2:3]
	v_fmac_f32_e32 v10, 0x32a5705f, v15
	v_sub_f32_e32 v17, v9, v13
	v_add_nc_u32_e32 v9, s0, v2
	v_ldexp_f32 v5, v5, v11
	v_fmaak_f32 v11, v6, v12, 0xbb1b9e83
	v_add_co_u32 v3, vcc_lo, s2, v3
	v_add_f32_e32 v2, v17, v10
	v_fmamk_f32 v17, v7, 0x4089a854, v18
	v_add_co_ci_u32_e64 v4, null, s3, v4, vcc_lo
	v_cmp_ngt_f32_e32 vcc_lo, 0xc2ce8ed0, v14
	v_exp_f32_e32 v2, v2
	v_fmac_f32_e32 v17, v6, v11
	v_mov_b32_e32 v10, v1
	v_cvt_i32_f32_e32 v12, v13
	v_cndmask_b32_e32 v5, 0, v5, vcc_lo
	v_cmp_nlt_f32_e32 vcc_lo, 0x42b17218, v14
	v_mul_f32_e32 v14, 0x3fb8aa3b, v17
	s_mov_b32 s4, 0x2af2c263
	v_lshlrev_b64 v[10:11], 2, v[9:10]
	v_fmaak_f32 v19, s4, v6, 0xb0f720ac
	v_ldexp_f32 v2, v2, v12
	v_add_nc_u32_e32 v12, s0, v9
	v_fma_f32 v9, 0x3fb8aa3b, v17, -v14
	v_rndne_f32_e32 v18, v14
	s_mov_b32 s4, 0x468a4d2a
	v_fmaak_f32 v19, v6, v19, 0x363b296d
	v_fmaak_f32 v20, s4, v8, 0x405bd7df
	v_fmac_f32_e32 v9, 0x32a5705f, v17
	v_sub_f32_e32 v14, v14, v18
	v_cndmask_b32_e32 v5, 0x7f800000, v5, vcc_lo
	v_add_co_u32 v10, vcc_lo, s2, v10
	v_mov_b32_e32 v13, v1
	v_add_co_ci_u32_e64 v11, null, s3, v11, vcc_lo
	v_cmp_ngt_f32_e32 vcc_lo, 0xc2ce8ed0, v15
	v_add_f32_e32 v9, v14, v9
	v_fmamk_f32 v20, v7, 0x4088d5ea, v20
	v_fmaak_f32 v19, v6, v19, 0xb98e4c32
	v_lshlrev_b64 v[13:14], 2, v[12:13]
	v_cndmask_b32_e32 v2, 0, v2, vcc_lo
	v_cmp_nlt_f32_e32 vcc_lo, 0x42b17218, v15
	v_exp_f32_e32 v9, v9
	v_fmac_f32_e32 v20, v6, v19
	global_store_dword v[3:4], v16, off
	v_cvt_i32_f32_e32 v3, v18
	v_cndmask_b32_e32 v2, 0x7f800000, v2, vcc_lo
	v_add_co_u32 v13, vcc_lo, s2, v13
	v_mul_f32_e32 v15, 0x3fb8aa3b, v20
	v_add_co_ci_u32_e64 v14, null, s3, v14, vcc_lo
	s_mov_b32 s4, 0xa99e4fce
	global_store_dword v[10:11], v5, off
	global_store_dword v[13:14], v2, off
	v_fma_f32 v4, 0x3fb8aa3b, v20, -v15
	v_ldexp_f32 v5, v9, v3
	v_fmaak_f32 v2, s4, v6, 0x2f90de5c
	v_rndne_f32_e32 v9, v15
	s_mov_b32 s4, 0xc78a46a6
	v_fmac_f32_e32 v4, 0x32a5705f, v20
	v_fmaak_f32 v10, s4, v8, 0x40056070
	v_fmaak_f32 v11, v6, v2, 0xb49720da
	v_sub_f32_e32 v13, v15, v9
	v_cvt_i32_f32_e32 v9, v9
	s_mov_b32 s4, 0x29bdfc7d
	v_fmamk_f32 v15, v7, 0x405f5928, v10
	v_fmaak_f32 v10, v6, v11, 0x3929c878
	v_add_f32_e32 v11, v13, v4
	v_cmp_ngt_f32_e32 vcc_lo, 0xc2ce8ed0, v17
	v_add_nc_u32_e32 v2, s0, v12
	v_mov_b32_e32 v3, v1
	v_fmac_f32_e32 v15, v6, v10
	v_exp_f32_e32 v10, v11
	v_cndmask_b32_e32 v5, 0, v5, vcc_lo
	v_cmp_nlt_f32_e32 vcc_lo, 0x42b17218, v17
	v_lshlrev_b64 v[3:4], 2, v[2:3]
	v_mul_f32_e32 v11, 0x3fb8aa3b, v15
	v_cndmask_b32_e32 v5, 0x7f800000, v5, vcc_lo
	v_fma_f32 v12, 0x3fb8aa3b, v15, -v11
	v_ldexp_f32 v13, v10, v9
	v_fmaak_f32 v9, s4, v6, 0xafb06bf8
	s_mov_b32 s4, 0xc733b40a
	v_rndne_f32_e32 v14, v11
	v_fmaak_f32 v16, s4, v8, 0x3fc8010b
	v_fmac_f32_e32 v12, 0x32a5705f, v15
	v_fmaak_f32 v17, v6, v9, 0x34fa1552
	v_add_nc_u32_e32 v9, s0, v2
	v_sub_f32_e32 v11, v11, v14
	v_fmamk_f32 v16, v7, 0x4070cfba, v16
	v_mov_b32_e32 v10, v1
	v_fmaak_f32 v2, v6, v17, 0x39fdfbe9
	v_add_co_u32 v3, vcc_lo, s2, v3
	v_add_f32_e32 v12, v11, v12
	v_add_co_ci_u32_e64 v4, null, s3, v4, vcc_lo
	v_fmac_f32_e32 v16, v6, v2
	v_cmp_ngt_f32_e32 vcc_lo, 0xc2ce8ed0, v20
	v_exp_f32_e32 v2, v12
	v_cvt_i32_f32_e32 v12, v14
	v_lshlrev_b64 v[10:11], 2, v[9:10]
	v_mul_f32_e32 v14, 0x3fb8aa3b, v16
	v_cndmask_b32_e32 v13, 0, v13, vcc_lo
	v_cmp_nlt_f32_e32 vcc_lo, 0x42b17218, v20
	s_mov_b32 s4, 0x29dac769
	global_store_dword v[3:4], v5, off
	v_fma_f32 v18, 0x3fb8aa3b, v16, -v14
	v_rndne_f32_e32 v19, v14
	v_ldexp_f32 v2, v2, v12
	v_add_nc_u32_e32 v12, s0, v9
	v_fmaak_f32 v20, s4, v6, 0xb01933c9
	v_fmac_f32_e32 v18, 0x32a5705f, v16
	v_sub_f32_e32 v9, v14, v19
	v_cndmask_b32_e32 v17, 0x7f800000, v13, vcc_lo
	v_add_co_u32 v10, vcc_lo, s2, v10
	s_mov_b32 s4, 0xc74540d1
	v_add_f32_e32 v9, v9, v18
	v_add_co_ci_u32_e64 v11, null, s3, v11, vcc_lo
	v_cmp_ngt_f32_e32 vcc_lo, 0xc2ce8ed0, v15
	v_fmaak_f32 v18, s4, v8, 0xbf44e4fb
	v_fmaak_f32 v20, v6, v20, 0x35b82b12
	v_exp_f32_e32 v9, v9
	v_mov_b32_e32 v13, v1
	v_cndmask_b32_e32 v2, 0, v2, vcc_lo
	v_cmp_nlt_f32_e32 vcc_lo, 0x42b17218, v15
	v_fmamk_f32 v15, v7, 0x40865af7, v18
	v_fmaak_f32 v18, v6, v20, 0xba9b1933
	v_cvt_i32_f32_e32 v3, v19
	v_lshlrev_b64 v[13:14], 2, v[12:13]
	s_mov_b32 s4, 0x2a0f34d9
	v_cndmask_b32_e32 v2, 0x7f800000, v2, vcc_lo
	v_fmac_f32_e32 v15, v6, v18
	v_ldexp_f32 v4, v9, v3
	v_fmaak_f32 v3, s4, v6, 0xb01d64fe
	v_add_co_u32 v13, vcc_lo, s2, v13
	s_mov_b32 s4, 0xc68079ff
	v_add_co_ci_u32_e64 v14, null, s3, v14, vcc_lo
	global_store_dword v[10:11], v17, off
	v_mul_f32_e32 v5, 0x3fb8aa3b, v15
	v_fmaak_f32 v9, s4, v8, 0x3fcd625d
	v_fmaak_f32 v10, v6, v3, 0x35802ecd
	global_store_dword v[13:14], v2, off
	v_add_nc_u32_e32 v2, s0, v12
	v_fma_f32 v11, 0x3fb8aa3b, v15, -v5
	v_rndne_f32_e32 v12, v5
	v_fmamk_f32 v17, v7, 0x406b1c1b, v9
	v_fmaak_f32 v9, v6, v10, 0x3a83ca2c
	v_cmp_ngt_f32_e32 vcc_lo, 0xc2ce8ed0, v16
	v_fmac_f32_e32 v11, 0x32a5705f, v15
	v_sub_f32_e32 v5, v5, v12
	s_mov_b32 s4, 0x2b6a99d4
	v_fmac_f32_e32 v17, v6, v9
	v_cndmask_b32_e32 v10, 0, v4, vcc_lo
	v_cmp_nlt_f32_e32 vcc_lo, 0x42b17218, v16
	v_add_f32_e32 v5, v5, v11
	v_cvt_i32_f32_e32 v11, v12
	v_mul_f32_e32 v9, 0x3fb8aa3b, v17
	v_fmaak_f32 v12, s4, v6, 0xb18acc0a
	v_cndmask_b32_e32 v16, 0x7f800000, v10, vcc_lo
	v_exp_f32_e32 v5, v5
	s_mov_b32 s4, 0x46201a97
	v_fma_f32 v10, 0x3fb8aa3b, v17, -v9
	v_rndne_f32_e32 v13, v9
	v_mov_b32_e32 v3, v1
	v_fmaak_f32 v18, s4, v8, 0xc094858f
	v_fmaak_f32 v12, v6, v12, 0x37098475
	v_fmac_f32_e32 v10, 0x32a5705f, v17
	v_sub_f32_e32 v14, v9, v13
	v_lshlrev_b64 v[3:4], 2, v[2:3]
	v_ldexp_f32 v5, v5, v11
	v_add_nc_u32_e32 v9, s0, v2
	v_fmamk_f32 v18, v7, 0x40a4cbc9, v18
	v_add_f32_e32 v2, v14, v10
	v_fmaak_f32 v11, v6, v12, 0xbbdffc3e
	v_add_co_u32 v3, vcc_lo, s2, v3
	v_add_co_ci_u32_e64 v4, null, s3, v4, vcc_lo
	v_exp_f32_e32 v2, v2
	v_fmac_f32_e32 v18, v6, v11
	v_mov_b32_e32 v10, v1
	v_cmp_ngt_f32_e32 vcc_lo, 0xc2ce8ed0, v15
	v_cvt_i32_f32_e32 v12, v13
	s_mov_b32 s4, 0xa94ba886
	v_mul_f32_e32 v14, 0x3fb8aa3b, v18
	v_lshlrev_b64 v[10:11], 2, v[9:10]
	v_cndmask_b32_e32 v5, 0, v5, vcc_lo
	v_cmp_nlt_f32_e32 vcc_lo, 0x42b17218, v15
	v_ldexp_f32 v2, v2, v12
	v_add_nc_u32_e32 v12, s0, v9
	v_fma_f32 v9, 0x3fb8aa3b, v18, -v14
	v_rndne_f32_e32 v15, v14
	v_fmaak_f32 v19, s4, v6, 0x2ea635e9
	s_mov_b32 s4, 0x46602058
	v_cndmask_b32_e32 v5, 0x7f800000, v5, vcc_lo
	v_fmac_f32_e32 v9, 0x32a5705f, v18
	v_sub_f32_e32 v14, v14, v15
	v_fmaak_f32 v20, s4, v8, 0x406089c7
	v_fmaak_f32 v19, v6, v19, 0x3435f74d
	v_add_co_u32 v10, vcc_lo, s2, v10
	v_mov_b32_e32 v13, v1
	v_add_co_ci_u32_e64 v11, null, s3, v11, vcc_lo
	v_cmp_ngt_f32_e32 vcc_lo, 0xc2ce8ed0, v17
	v_add_f32_e32 v9, v14, v9
	v_fmamk_f32 v20, v7, 0x40651714, v20
	v_fmaak_f32 v19, v6, v19, 0xb9a00024
	v_lshlrev_b64 v[13:14], 2, v[12:13]
	v_cndmask_b32_e32 v2, 0, v2, vcc_lo
	v_cmp_nlt_f32_e32 vcc_lo, 0x42b17218, v17
	v_exp_f32_e32 v9, v9
	v_fmac_f32_e32 v20, v6, v19
	global_store_dword v[3:4], v16, off
	v_cvt_i32_f32_e32 v3, v15
	v_cndmask_b32_e32 v2, 0x7f800000, v2, vcc_lo
	v_add_co_u32 v13, vcc_lo, s2, v13
	v_mul_f32_e32 v17, 0x3fb8aa3b, v20
	v_add_co_ci_u32_e64 v14, null, s3, v14, vcc_lo
	s_mov_b32 s4, 0xa8016edc
	global_store_dword v[10:11], v5, off
	global_store_dword v[13:14], v2, off
	v_fma_f32 v4, 0x3fb8aa3b, v20, -v17
	v_ldexp_f32 v5, v9, v3
	v_fmaak_f32 v2, s4, v6, 0x2f615360
	v_rndne_f32_e32 v9, v17
	s_mov_b32 s4, 0x473cf3f8
	v_fmac_f32_e32 v4, 0x32a5705f, v20
	v_fmaak_f32 v10, s4, v8, 0x411e6ab6
	v_fmaak_f32 v11, v6, v2, 0xb59f59f5
	v_sub_f32_e32 v13, v17, v9
	v_cvt_i32_f32_e32 v9, v9
	s_mov_b32 s4, 0x2a7430af
	v_fmamk_f32 v15, v7, 0x4016d561, v10
	v_fmaak_f32 v10, v6, v11, 0x3b933421
	v_add_f32_e32 v11, v13, v4
	v_add_nc_u32_e32 v2, s0, v12
	v_mov_b32_e32 v3, v1
	v_cmp_ngt_f32_e32 vcc_lo, 0xc2ce8ed0, v18
	v_fmac_f32_e32 v15, v6, v10
	v_exp_f32_e32 v10, v11
	v_lshlrev_b64 v[3:4], 2, v[2:3]
	v_cndmask_b32_e32 v5, 0, v5, vcc_lo
	v_mul_f32_e32 v11, 0x3fb8aa3b, v15
	v_cmp_nlt_f32_e32 vcc_lo, 0x42b17218, v18
	v_fma_f32 v12, 0x3fb8aa3b, v15, -v11
	v_ldexp_f32 v13, v10, v9
	v_fmaak_f32 v9, s4, v6, 0xb0987e43
	s_mov_b32 s4, 0xc56ff90a
	v_rndne_f32_e32 v14, v11
	v_fmaak_f32 v16, s4, v8, 0x40593d66
	v_fmac_f32_e32 v12, 0x32a5705f, v15
	v_fmaak_f32 v17, v6, v9, 0x361a2046
	v_add_nc_u32_e32 v9, s0, v2
	v_sub_f32_e32 v11, v11, v14
	v_fmamk_f32 v16, v7, 0x408713f4, v16
	v_mov_b32_e32 v10, v1
	v_fmaak_f32 v2, v6, v17, 0xbad49809
	v_cndmask_b32_e32 v5, 0x7f800000, v5, vcc_lo
	v_add_f32_e32 v12, v11, v12
	v_add_co_u32 v3, vcc_lo, s2, v3
	v_fmac_f32_e32 v16, v6, v2
	v_add_co_ci_u32_e64 v4, null, s3, v4, vcc_lo
	v_exp_f32_e32 v2, v12
	v_cvt_i32_f32_e32 v12, v14
	v_mul_f32_e32 v14, 0x3fb8aa3b, v16
	v_cmp_ngt_f32_e32 vcc_lo, 0xc2ce8ed0, v20
	v_lshlrev_b64 v[10:11], 2, v[9:10]
	s_mov_b32 s4, 0x2b39741a
	global_store_dword v[3:4], v5, off
	v_fma_f32 v18, 0x3fb8aa3b, v16, -v14
	v_rndne_f32_e32 v19, v14
	v_cndmask_b32_e32 v13, 0, v13, vcc_lo
	v_ldexp_f32 v2, v2, v12
	v_add_nc_u32_e32 v12, s0, v9
	v_fmac_f32_e32 v18, 0x32a5705f, v16
	v_sub_f32_e32 v9, v14, v19
	v_cmp_nlt_f32_e32 vcc_lo, 0x42b17218, v20
	v_fmaak_f32 v20, s4, v6, 0xb15933cf
	s_mov_b32 s4, 0x465f93d4
	v_cvt_i32_f32_e32 v3, v19
	v_add_f32_e32 v9, v9, v18
	v_cndmask_b32_e32 v17, 0x7f800000, v13, vcc_lo
	v_add_co_u32 v10, vcc_lo, s2, v10
	v_add_co_ci_u32_e64 v11, null, s3, v11, vcc_lo
	v_cmp_ngt_f32_e32 vcc_lo, 0xc2ce8ed0, v15
	v_fmaak_f32 v18, s4, v8, 0x3f1a51f2
	v_fmaak_f32 v20, v6, v20, 0x36d0b842
	v_exp_f32_e32 v9, v9
	v_mov_b32_e32 v13, v1
	v_cndmask_b32_e32 v2, 0, v2, vcc_lo
	v_cmp_nlt_f32_e32 vcc_lo, 0x42b17218, v15
	v_fmamk_f32 v15, v7, 0x4099662e, v18
	v_fmaak_f32 v18, v6, v20, 0xbba25690
	v_lshlrev_b64 v[13:14], 2, v[12:13]
	s_mov_b32 s4, 0x29e9b163
	v_cndmask_b32_e32 v2, 0x7f800000, v2, vcc_lo
	global_store_dword v[10:11], v17, off
	v_fmac_f32_e32 v15, v6, v18
	v_ldexp_f32 v4, v9, v3
	v_fmaak_f32 v3, s4, v6, 0xb028feea
	v_add_co_u32 v13, vcc_lo, s2, v13
	s_mov_b32 s4, 0xc474a678
	v_add_co_ci_u32_e64 v14, null, s3, v14, vcc_lo
	v_mul_f32_e32 v5, 0x3fb8aa3b, v15
	v_fmaak_f32 v9, s4, v8, 0x41526f51
	v_fmaak_f32 v10, v6, v3, 0x356ed6d5
	global_store_dword v[13:14], v2, off
	v_add_nc_u32_e32 v2, s0, v12
	v_fma_f32 v11, 0x3fb8aa3b, v15, -v5
	v_rndne_f32_e32 v12, v5
	v_fmamk_f32 v17, v7, 0x4006cc0c, v9
	v_fmaak_f32 v9, v6, v10, 0x3b6c7930
	v_cmp_ngt_f32_e32 vcc_lo, 0xc2ce8ed0, v16
	v_fmac_f32_e32 v11, 0x32a5705f, v15
	v_sub_f32_e32 v5, v5, v12
	s_mov_b32 s4, 0xaaef4637
	v_fmac_f32_e32 v17, v6, v9
	v_cndmask_b32_e32 v10, 0, v4, vcc_lo
	v_cmp_nlt_f32_e32 vcc_lo, 0x42b17218, v16
	v_add_f32_e32 v5, v5, v11
	v_cvt_i32_f32_e32 v11, v12
	v_mul_f32_e32 v9, 0x3fb8aa3b, v17
	v_fmaak_f32 v12, s4, v6, 0x31206ec8
	v_cndmask_b32_e32 v16, 0x7f800000, v10, vcc_lo
	v_exp_f32_e32 v5, v5
	s_mov_b32 s4, 0xc6ce79f6
	v_fma_f32 v10, 0x3fb8aa3b, v17, -v9
	v_rndne_f32_e32 v13, v9
	v_mov_b32_e32 v3, v1
	v_fmaak_f32 v18, s4, v8, 0x415f0908
	v_fmaak_f32 v12, v6, v12, 0xb6c6a061
	v_fmac_f32_e32 v10, 0x32a5705f, v17
	v_sub_f32_e32 v14, v9, v13
	v_lshlrev_b64 v[3:4], 2, v[2:3]
	v_ldexp_f32 v5, v5, v11
	v_add_nc_u32_e32 v9, s0, v2
	v_fmamk_f32 v18, v7, 0x3f4f05b9, v18
	v_add_f32_e32 v2, v14, v10
	v_fmaak_f32 v11, v6, v12, 0x3c3f60c0
	v_add_co_u32 v3, vcc_lo, s2, v3
	v_mov_b32_e32 v10, v1
	v_exp_f32_e32 v2, v2
	v_fmac_f32_e32 v18, v6, v11
	v_add_co_ci_u32_e64 v4, null, s3, v4, vcc_lo
	v_cmp_ngt_f32_e32 vcc_lo, 0xc2ce8ed0, v15
	v_cvt_i32_f32_e32 v12, v13
	v_mul_f32_e32 v14, 0x3fb8aa3b, v18
	v_lshlrev_b64 v[10:11], 2, v[9:10]
	s_mov_b32 s4, 0x295d1a6b
	v_cndmask_b32_e32 v5, 0, v5, vcc_lo
	v_cmp_nlt_f32_e32 vcc_lo, 0x42b17218, v15
	v_ldexp_f32 v2, v2, v12
	v_add_nc_u32_e32 v12, s0, v9
	v_fma_f32 v9, 0x3fb8aa3b, v18, -v14
	v_rndne_f32_e32 v15, v14
	v_fmaak_f32 v19, s4, v6, 0xaeddd0e9
	v_cndmask_b32_e32 v5, 0x7f800000, v5, vcc_lo
	v_add_co_u32 v10, vcc_lo, s2, v10
	v_mov_b32_e32 v13, v1
	v_fmac_f32_e32 v9, 0x32a5705f, v18
	s_mov_b32 s4, 0xc73dedcb
	v_sub_f32_e32 v14, v14, v15
	v_add_co_ci_u32_e64 v11, null, s3, v11, vcc_lo
	v_cmp_ngt_f32_e32 vcc_lo, 0xc2ce8ed0, v17
	v_fmaak_f32 v20, s4, v8, 0x40bd73d8
	v_fmaak_f32 v19, v6, v19, 0xb4d573ff
	v_add_f32_e32 v9, v14, v9
	v_lshlrev_b64 v[13:14], 2, v[12:13]
	v_cndmask_b32_e32 v2, 0, v2, vcc_lo
	v_cmp_nlt_f32_e32 vcc_lo, 0x42b17218, v17
	v_fmamk_f32 v20, v7, 0x405204e3, v20
	v_fmaak_f32 v19, v6, v19, 0x3b649af3
	v_exp_f32_e32 v9, v9
	s_mov_b32 s4, 0x2b4f18b0
	v_cndmask_b32_e32 v2, 0x7f800000, v2, vcc_lo
	v_add_co_u32 v13, vcc_lo, s2, v13
	v_fmac_f32_e32 v20, v6, v19
	v_add_co_ci_u32_e64 v14, null, s3, v14, vcc_lo
	global_store_dword v[3:4], v16, off
	v_cvt_i32_f32_e32 v3, v15
	v_mul_f32_e32 v17, 0x3fb8aa3b, v20
	global_store_dword v[10:11], v5, off
	global_store_dword v[13:14], v2, off
	v_fmaak_f32 v2, s4, v6, 0xb14cd132
	s_mov_b32 s4, 0xc7082bd9
	v_ldexp_f32 v5, v9, v3
	v_fma_f32 v4, 0x3fb8aa3b, v20, -v17
	v_rndne_f32_e32 v9, v17
	v_fmaak_f32 v10, s4, v8, 0x41082b2c
	v_fmaak_f32 v11, v6, v2, 0x3690f5dd
	v_add_nc_u32_e32 v2, s0, v12
	v_fmac_f32_e32 v4, 0x32a5705f, v20
	v_sub_f32_e32 v13, v17, v9
	v_fmamk_f32 v12, v7, 0x404d990d, v10
	v_fmaak_f32 v10, v6, v11, 0x3a468bf9
	v_mov_b32_e32 v3, v1
	v_cvt_i32_f32_e32 v9, v9
	v_add_f32_e32 v11, v13, v4
	v_cmp_ngt_f32_e32 vcc_lo, 0xc2ce8ed0, v18
	v_fmac_f32_e32 v12, v6, v10
	s_mov_b32 s4, 0x2bbdea0c
	v_lshlrev_b64 v[3:4], 2, v[2:3]
	v_exp_f32_e32 v10, v11
	v_fmaak_f32 v16, s4, v6, 0xb1c605fe
	v_mul_f32_e32 v11, 0x3fb8aa3b, v12
	v_cndmask_b32_e32 v5, 0, v5, vcc_lo
	v_cmp_nlt_f32_e32 vcc_lo, 0x42b17218, v18
	s_mov_b32 s4, 0xc59f0e35
	v_fmaak_f32 v16, v6, v16, 0x371fa914
	v_fma_f32 v13, 0x3fb8aa3b, v12, -v11
	v_rndne_f32_e32 v14, v11
	v_cndmask_b32_e32 v5, 0x7f800000, v5, vcc_lo
	v_ldexp_f32 v15, v10, v9
	v_add_nc_u32_e32 v9, s0, v2
	v_fmac_f32_e32 v13, 0x32a5705f, v12
	v_sub_f32_e32 v2, v11, v14
	v_add_co_u32 v3, vcc_lo, s2, v3
	v_mov_b32_e32 v10, v1
	v_add_co_ci_u32_e64 v4, null, s3, v4, vcc_lo
	v_add_f32_e32 v2, v2, v13
	v_fmaak_f32 v13, s4, v8, 0x40831d56
	v_cmp_ngt_f32_e32 vcc_lo, 0xc2ce8ed0, v20
	v_fmaak_f32 v16, v6, v16, 0xbb781225
	v_lshlrev_b64 v[10:11], 2, v[9:10]
	v_exp_f32_e32 v2, v2
	v_fmamk_f32 v13, v7, 0x407d638f, v13
	v_cndmask_b32_e32 v15, 0, v15, vcc_lo
	v_cmp_nlt_f32_e32 vcc_lo, 0x42b17218, v20
	s_mov_b32 s4, 0x2ba234d0
	global_store_dword v[3:4], v5, off
	v_fmac_f32_e32 v13, v6, v16
	v_cvt_i32_f32_e32 v3, v14
	v_cndmask_b32_e32 v15, 0x7f800000, v15, vcc_lo
	v_add_co_u32 v10, vcc_lo, s2, v10
	v_add_co_ci_u32_e64 v11, null, s3, v11, vcc_lo
	v_fmaak_f32 v4, s4, v6, 0xb1ab8c72
	v_mul_f32_e32 v5, 0x3fb8aa3b, v13
	s_mov_b32 s4, 0xc648a682
	global_store_dword v[10:11], v15, off
	v_ldexp_f32 v2, v2, v3
	v_fmaak_f32 v3, s4, v8, 0x4096a175
	v_fmaak_f32 v4, v6, v4, 0x370b02de
	v_fma_f32 v11, 0x3fb8aa3b, v13, -v5
	v_rndne_f32_e32 v14, v5
	v_cmp_ngt_f32_e32 vcc_lo, 0xc2ce8ed0, v12
	v_fmamk_f32 v15, v7, 0x4089ce91, v3
	v_fmaak_f32 v4, v6, v4, 0xbb092fa7
	v_fmac_f32_e32 v11, 0x32a5705f, v13
	v_sub_f32_e32 v5, v5, v14
	v_cndmask_b32_e32 v10, 0, v2, vcc_lo
	v_add_nc_u32_e32 v2, s0, v9
	v_mov_b32_e32 v3, v1
	s_mov_b32 s4, 0x2bbd1220
	v_fmac_f32_e32 v15, v6, v4
	v_cmp_nlt_f32_e32 vcc_lo, 0x42b17218, v12
	v_add_f32_e32 v5, v5, v11
	v_fmaak_f32 v11, s4, v6, 0xb1cadb21
	v_lshlrev_b64 v[3:4], 2, v[2:3]
	v_fmaak_f32 v12, s5, v8, 0x402aad3b
	v_cndmask_b32_e32 v9, 0x7f800000, v10, vcc_lo
	v_mul_f32_e32 v10, 0x3fb8aa3b, v15
	v_fmaak_f32 v11, v6, v11, 0x37279d77
	v_exp_f32_e32 v5, v5
	v_add_co_u32 v3, vcc_lo, s2, v3
	v_add_co_ci_u32_e64 v4, null, s3, v4, vcc_lo
	v_fma_f32 v16, 0x3fb8aa3b, v15, -v10
	v_rndne_f32_e32 v17, v10
	v_fmamk_f32 v18, v7, 0x4089535a, v12
	v_fmaak_f32 v11, v6, v11, 0xbb344649
	global_store_dword v[3:4], v9, off
	v_fmac_f32_e32 v16, 0x32a5705f, v15
	v_sub_f32_e32 v4, v10, v17
	v_cvt_i32_f32_e32 v12, v14
	v_fmac_f32_e32 v18, v6, v11
	v_add_nc_u32_e32 v2, s0, v2
	v_mov_b32_e32 v3, v1
	v_add_f32_e32 v9, v4, v16
	v_ldexp_f32 v5, v5, v12
	v_mul_f32_e32 v10, 0x3fb8aa3b, v18
	v_cmp_ngt_f32_e32 vcc_lo, 0xc2ce8ed0, v13
	v_lshlrev_b64 v[3:4], 2, v[2:3]
	v_exp_f32_e32 v9, v9
	s_mov_b32 s4, 0xaa8e9bd8
	v_fma_f32 v11, 0x3fb8aa3b, v18, -v10
	v_rndne_f32_e32 v12, v10
	v_cndmask_b32_e32 v5, 0, v5, vcc_lo
	v_cmp_nlt_f32_e32 vcc_lo, 0x42b17218, v13
	v_cvt_i32_f32_e32 v13, v17
	v_fmac_f32_e32 v11, 0x32a5705f, v18
	v_sub_f32_e32 v14, v10, v12
	v_mov_b32_e32 v10, v1
	v_cndmask_b32_e32 v5, 0x7f800000, v5, vcc_lo
	v_add_co_u32 v3, vcc_lo, s2, v3
	v_add_co_ci_u32_e64 v4, null, s3, v4, vcc_lo
	v_ldexp_f32 v13, v9, v13
	v_add_nc_u32_e32 v9, s0, v2
	v_add_f32_e32 v2, v14, v11
	v_cmp_ngt_f32_e32 vcc_lo, 0xc2ce8ed0, v15
	v_fmaak_f32 v14, s4, v6, 0x30c5dd10
	s_mov_b32 s4, 0xc69cb6e6
	v_cvt_i32_f32_e32 v12, v12
	v_fmaak_f32 v16, s4, v8, 0x4147d8bf
	v_cndmask_b32_e32 v13, 0, v13, vcc_lo
	v_fmaak_f32 v14, v6, v14, 0xb684b3e7
	v_cmp_nlt_f32_e32 vcc_lo, 0x42b17218, v15
	v_exp_f32_e32 v2, v2
	v_fmamk_f32 v16, v7, 0x40101c34, v16
	s_mov_b32 s4, 0xa9e2d234
	v_lshlrev_b64 v[10:11], 2, v[9:10]
	v_cndmask_b32_e32 v15, 0x7f800000, v13, vcc_lo
	v_fmaak_f32 v13, v6, v14, 0x3c10a143
	v_fmaak_f32 v14, s4, v6, 0x305609a7
	s_mov_b32 s4, 0x45dc1758
	v_fmaak_f32 v17, s4, v8, 0x4143734b
	v_fmac_f32_e32 v16, v6, v13
	v_ldexp_f32 v2, v2, v12
	v_add_nc_u32_e32 v12, s0, v9
	v_fmaak_f32 v19, v6, v14, 0xb6428e95
	v_add_co_u32 v10, vcc_lo, s2, v10
	v_mul_f32_e32 v9, 0x3fb8aa3b, v16
	v_mov_b32_e32 v13, v1
	v_add_co_ci_u32_e64 v11, null, s3, v11, vcc_lo
	v_cmp_ngt_f32_e32 vcc_lo, 0xc2ce8ed0, v18
	v_fma_f32 v20, 0x3fb8aa3b, v16, -v9
	v_rndne_f32_e32 v21, v9
	v_fmamk_f32 v17, v7, 0x4008b18b, v17
	v_fmaak_f32 v19, v6, v19, 0x3c146e07
	v_lshlrev_b64 v[13:14], 2, v[12:13]
	v_cndmask_b32_e32 v2, 0, v2, vcc_lo
	v_cmp_nlt_f32_e32 vcc_lo, 0x42b17218, v18
	v_fmac_f32_e32 v20, 0x32a5705f, v16
	v_sub_f32_e32 v9, v9, v21
	v_fmac_f32_e32 v17, v6, v19
	s_mov_b32 s4, 0x2a216b60
	v_cndmask_b32_e32 v2, 0x7f800000, v2, vcc_lo
	v_add_co_u32 v13, vcc_lo, s2, v13
	v_add_f32_e32 v9, v9, v20
	v_mul_f32_e32 v18, 0x3fb8aa3b, v17
	v_add_co_ci_u32_e64 v14, null, s3, v14, vcc_lo
	global_store_dword v[3:4], v5, off
	global_store_dword v[10:11], v15, off
	;; [unrolled: 1-line block ×3, first 2 shown]
	v_exp_f32_e32 v2, v9
	v_fma_f32 v3, 0x3fb8aa3b, v17, -v18
	v_rndne_f32_e32 v5, v18
	v_fmaak_f32 v9, s4, v6, 0x3023fa60
	s_mov_b32 s4, 0xc4be2f40
	v_cvt_i32_f32_e32 v4, v21
	v_fmac_f32_e32 v3, 0x32a5705f, v17
	v_sub_f32_e32 v10, v18, v5
	v_fmaak_f32 v11, s4, v8, 0x411924ac
	v_fmaak_f32 v9, v6, v9, 0x34a93f75
	v_ldexp_f32 v4, v2, v4
	v_add_nc_u32_e32 v2, s0, v12
	v_add_f32_e32 v10, v10, v3
	v_fmamk_f32 v11, v7, 0x405a2e14, v11
	v_fmaak_f32 v9, v6, v9, 0x3baff0d8
	v_mov_b32_e32 v3, v1
	v_cmp_ngt_f32_e32 vcc_lo, 0xc2ce8ed0, v16
	v_exp_f32_e32 v10, v10
	v_cvt_i32_f32_e32 v5, v5
	v_fmac_f32_e32 v11, v6, v9
	v_add_nc_u32_e32 v9, s0, v2
	v_cndmask_b32_e32 v12, 0, v4, vcc_lo
	v_lshlrev_b64 v[3:4], 2, v[2:3]
	v_cmp_nlt_f32_e32 vcc_lo, 0x42b17218, v16
	v_mul_f32_e32 v13, 0x3fb8aa3b, v11
	s_mov_b32 s4, 0x2b9a5394
	v_ldexp_f32 v5, v10, v5
	v_cndmask_b32_e32 v12, 0x7f800000, v12, vcc_lo
	v_add_co_u32 v3, vcc_lo, s2, v3
	v_add_co_ci_u32_e64 v4, null, s3, v4, vcc_lo
	v_fma_f32 v14, 0x3fb8aa3b, v11, -v13
	v_rndne_f32_e32 v15, v13
	v_mov_b32_e32 v10, v1
	v_cmp_ngt_f32_e32 vcc_lo, 0xc2ce8ed0, v17
	global_store_dword v[3:4], v12, off
	v_fmac_f32_e32 v14, 0x32a5705f, v11
	v_sub_f32_e32 v13, v13, v15
	v_lshlrev_b64 v[2:3], 2, v[9:10]
	v_cndmask_b32_e32 v5, 0, v5, vcc_lo
	v_cmp_nlt_f32_e32 vcc_lo, 0x42b17218, v17
	v_fmaak_f32 v10, s4, v6, 0xb1a4859b
	s_mov_b32 s4, 0x46a889c2
	v_fmaak_f32 v12, s4, v8, 0x40834be8
	v_cndmask_b32_e32 v4, 0x7f800000, v5, vcc_lo
	v_add_f32_e32 v5, v13, v14
	v_add_co_u32 v2, vcc_lo, s2, v2
	v_add_co_ci_u32_e64 v3, null, s3, v3, vcc_lo
	v_exp_f32_e32 v5, v5
	s_mov_b32 s4, 0x2b5f054a
	v_fmamk_f32 v12, v7, 0x409757bb, v12
	global_store_dword v[2:3], v4, off
	v_fmaak_f32 v2, v6, v10, 0x3704ead2
	v_cvt_i32_f32_e32 v3, v15
	v_fmaak_f32 v4, s4, v6, 0xb13f03c3
	s_mov_b32 s4, 0xc6965b42
	v_cmp_ngt_f32_e32 vcc_lo, 0xc2ce8ed0, v11
	v_fmaak_f32 v2, v6, v2, 0xbad14672
	v_ldexp_f32 v3, v5, v3
	v_fmaak_f32 v5, s4, v8, 0x418962be
	v_fmaak_f32 v4, v6, v4, 0x360bc6fa
	s_mov_b32 s4, 0x2ac97be1
	v_fmac_f32_e32 v12, v6, v2
	v_cndmask_b32_e32 v2, 0, v3, vcc_lo
	v_fmamk_f32 v5, v7, 0x3fae7ccc, v5
	v_fmaak_f32 v3, v6, v4, 0x3c225098
	v_cmp_nlt_f32_e32 vcc_lo, 0x42b17218, v11
	v_mul_f32_e32 v4, 0x3fb8aa3b, v12
	v_fmac_f32_e32 v5, v6, v3
	v_fmaak_f32 v3, s4, v6, 0xb0bf2504
	v_cndmask_b32_e32 v16, 0x7f800000, v2, vcc_lo
	v_add_nc_u32_e32 v2, s0, v9
	v_fma_f32 v9, 0x3fb8aa3b, v12, -v4
	v_rndne_f32_e32 v10, v4
	s_mov_b32 s4, 0xc4865a6f
	v_fmaak_f32 v3, v6, v3, 0x3548bc5b
	v_fmaak_f32 v13, s4, v8, 0x418129a8
	v_mul_f32_e32 v11, 0x3fb8aa3b, v5
	v_fmac_f32_e32 v9, 0x32a5705f, v12
	v_sub_f32_e32 v4, v4, v10
	v_cvt_i32_f32_e32 v10, v10
	v_fmamk_f32 v17, v7, 0x3fbf24af, v13
	v_fmaak_f32 v13, v6, v3, 0x3c2b6b48
	v_fma_f32 v14, 0x3fb8aa3b, v5, -v11
	v_rndne_f32_e32 v15, v11
	v_add_f32_e32 v9, v4, v9
	v_mov_b32_e32 v3, v1
	v_fmac_f32_e32 v17, v6, v13
	v_fmac_f32_e32 v14, 0x32a5705f, v5
	v_sub_f32_e32 v11, v11, v15
	v_exp_f32_e32 v9, v9
	v_lshlrev_b64 v[3:4], 2, v[2:3]
	v_mul_f32_e32 v13, 0x3fb8aa3b, v17
	v_cvt_i32_f32_e32 v15, v15
	v_add_f32_e32 v11, v11, v14
	s_mov_b32 s4, 0xc6212162
	v_fma_f32 v14, 0x3fb8aa3b, v17, -v13
	v_rndne_f32_e32 v18, v13
	v_add_co_u32 v3, vcc_lo, s2, v3
	v_add_co_ci_u32_e64 v4, null, s3, v4, vcc_lo
	v_exp_f32_e32 v11, v11
	v_ldexp_f32 v9, v9, v10
	v_cmp_ngt_f32_e32 vcc_lo, 0xc2ce8ed0, v12
	v_fmac_f32_e32 v14, 0x32a5705f, v17
	v_sub_f32_e32 v13, v13, v18
	v_mov_b32_e32 v10, v1
	v_cndmask_b32_e32 v19, 0, v9, vcc_lo
	v_add_nc_u32_e32 v9, s0, v2
	v_cmp_nlt_f32_e32 vcc_lo, 0x42b17218, v12
	v_add_f32_e32 v2, v13, v14
	v_ldexp_f32 v13, v11, v15
	v_lshlrev_b64 v[10:11], 2, v[9:10]
	v_cndmask_b32_e32 v19, 0x7f800000, v19, vcc_lo
	v_cmp_ngt_f32_e32 vcc_lo, 0xc2ce8ed0, v5
	v_exp_f32_e32 v2, v2
	v_add_nc_u32_e32 v12, s0, v9
	v_cvt_i32_f32_e32 v9, v18
	v_cndmask_b32_e32 v20, 0, v13, vcc_lo
	v_add_co_u32 v14, vcc_lo, s2, v10
	v_mov_b32_e32 v13, v1
	v_add_co_ci_u32_e64 v15, null, s3, v11, vcc_lo
	v_cmp_nlt_f32_e32 vcc_lo, 0x42b17218, v5
	v_ldexp_f32 v2, v2, v9
	v_lshlrev_b64 v[9:10], 2, v[12:13]
	v_add_nc_u32_e32 v11, s0, v12
	v_mov_b32_e32 v12, v1
	v_cndmask_b32_e32 v5, 0x7f800000, v20, vcc_lo
	v_cmp_ngt_f32_e32 vcc_lo, 0xc2ce8ed0, v17
	v_cndmask_b32_e32 v13, 0, v2, vcc_lo
	v_add_co_u32 v1, vcc_lo, s2, v9
	v_add_co_ci_u32_e64 v2, null, s3, v10, vcc_lo
	v_lshlrev_b64 v[9:10], 2, v[11:12]
	v_cmp_nlt_f32_e32 vcc_lo, 0x42b17218, v17
	v_fmaak_f32 v11, s4, v8, 0x41a91699
	s_mov_b32 s4, 0x2b03e643
	v_cndmask_b32_e32 v12, 0x7f800000, v13, vcc_lo
	v_add_co_u32 v8, vcc_lo, s2, v9
	v_add_co_ci_u32_e64 v9, null, s3, v10, vcc_lo
	v_fmamk_f32 v10, v7, 0x3f86497a, v11
	v_fmaak_f32 v11, s4, v6, 0xb0e06d89
	global_store_dword v[3:4], v16, off
	global_store_dword v[14:15], v19, off
	;; [unrolled: 1-line block ×4, first 2 shown]
                                        ; implicit-def: $vgpr8
                                        ; implicit-def: $vgpr7
                                        ; implicit-def: $vgpr4_vgpr5
                                        ; implicit-def: $vgpr3
                                        ; implicit-def: $vgpr9
                                        ; implicit-def: $vgpr2
.LBB1_2:
	s_or_saveexec_b32 s1, s1
	v_mov_b32_e32 v12, 0x3c5510c5
	v_mov_b32_e32 v13, 0x34d2a7a5
	;; [unrolled: 1-line block ×3, first 2 shown]
	s_xor_b32 exec_lo, exec_lo, s1
	s_cbranch_execz .LBB1_4
; %bb.3:
	s_mov_b32 s4, 0x26904c99
	s_mov_b32 s5, 0x19f0e9d8
	v_fmaak_f32 v1, s4, v6, 0xad839fa2
	s_mov_b32 s4, 0x446d8a2c
	v_fmaak_f32 v10, s5, v6, 0xa0e8edaa
	v_fmaak_f32 v11, s4, v8, 0xc04d1f1a
	v_sub_f32_e32 v3, 0xbee4b39f, v3
	v_fmaak_f32 v1, v6, v1, 0x33b2c336
	s_mov_b32 s5, 0x248d9e1b
	v_fmaak_f32 v10, v6, v10, 0x27420788
	v_fmamk_f32 v11, v7, 0x405595fb, v11
	v_add_f32_e32 v12, v3, v9
	v_fmaak_f32 v1, v6, v1, 0xb7cf3580
	s_mov_b32 s4, 0xc6e44328
	v_fmaak_f32 v9, v6, v10, 0xad4b0d37
	v_mov_b32_e32 v3, 0
	v_fmac_f32_e32 v11, v6, v1
	v_fmaak_f32 v1, s4, v8, 0x4099194d
	v_fmac_f32_e32 v12, v6, v9
	v_fmaak_f32 v9, s5, v6, 0xab6afac3
	s_mov_b32 s5, 0xa69c2960
	v_mul_f32_e32 v10, 0x3fb8aa3b, v11
	v_fmamk_f32 v1, v7, 0x40247164, v1
	v_mul_f32_e32 v13, 0x3fb8aa3b, v12
	v_fmaak_f32 v9, v6, v9, 0x31f03917
	v_cmp_ngt_f32_e32 vcc_lo, 0xc2ce8ed0, v11
	v_fma_f32 v14, 0x3fb8aa3b, v11, -v10
	v_rndne_f32_e32 v15, v10
	v_fma_f32 v16, 0x3fb8aa3b, v12, -v13
	v_rndne_f32_e32 v17, v13
	v_fmaak_f32 v9, v6, v9, 0xb8344d00
	v_fmac_f32_e32 v14, 0x32a5705f, v11
	v_sub_f32_e32 v10, v10, v15
	v_fmac_f32_e32 v16, 0x32a5705f, v12
	v_sub_f32_e32 v13, v13, v17
	v_cvt_i32_f32_e32 v15, v15
	v_cvt_i32_f32_e32 v17, v17
	v_add_f32_e32 v14, v10, v14
	v_fmac_f32_e32 v1, v6, v9
	v_add_f32_e32 v13, v13, v16
	v_fmaak_f32 v16, s5, v6, 0x2d998b25
	v_lshlrev_b64 v[9:10], 2, v[2:3]
	v_exp_f32_e32 v14, v14
	v_mul_f32_e32 v19, 0x3fb8aa3b, v1
	v_exp_f32_e32 v13, v13
	s_mov_b32 s4, 0x44880ea6
	v_fmaak_f32 v16, v6, v16, 0xb407a4b7
	v_fmaak_f32 v18, s4, v8, 0x40ae80df
	v_fma_f32 v20, 0x3fb8aa3b, v1, -v19
	v_rndne_f32_e32 v21, v19
	s_mov_b32 s4, 0x26293585
	v_fmaak_f32 v16, v6, v16, 0x3a426429
	v_ldexp_f32 v14, v14, v15
	v_fmac_f32_e32 v20, 0x32a5705f, v1
	v_ldexp_f32 v13, v13, v17
	v_sub_f32_e32 v15, v19, v21
	v_fmamk_f32 v18, v7, 0x4052151a, v18
	v_cndmask_b32_e32 v14, 0, v14, vcc_lo
	v_cmp_ngt_f32_e32 vcc_lo, 0xc2ce8ed0, v12
	v_add_nc_u32_e32 v2, s0, v2
	v_add_f32_e32 v15, v15, v20
	v_fmac_f32_e32 v18, v6, v16
	s_mov_b32 s5, 0xc734b79b
	v_cndmask_b32_e32 v13, 0, v13, vcc_lo
	v_cmp_nlt_f32_e32 vcc_lo, 0x42b17218, v11
	v_cndmask_b32_e32 v11, 0x7f800000, v14, vcc_lo
	v_cmp_nlt_f32_e32 vcc_lo, 0x42b17218, v12
	v_cvt_i32_f32_e32 v14, v21
	global_store_dword v[4:5], v11, off
	v_cndmask_b32_e32 v12, 0x7f800000, v13, vcc_lo
	v_add_co_u32 v9, vcc_lo, s2, v9
	v_add_co_ci_u32_e64 v10, null, s3, v10, vcc_lo
	v_exp_f32_e32 v13, v15
	v_mul_f32_e32 v4, 0x3fb8aa3b, v18
	v_cmp_ngt_f32_e32 vcc_lo, 0xc2ce8ed0, v1
	global_store_dword v[9:10], v12, off
	v_fmaak_f32 v9, s4, v6, 0xad00ee31
	s_mov_b32 s4, 0xc5712a83
	v_fma_f32 v10, 0x3fb8aa3b, v18, -v4
	v_fmaak_f32 v12, s4, v8, 0x408f4118
	v_rndne_f32_e32 v11, v4
	v_fmaak_f32 v9, v6, v9, 0x32b51ca8
	v_ldexp_f32 v5, v13, v14
	s_mov_b32 s4, 0x26726737
	v_fmamk_f32 v12, v7, 0x4045f1df, v12
	v_fmac_f32_e32 v10, 0x32a5705f, v18
	v_fmaak_f32 v9, v6, v9, 0x398fc47f
	v_cndmask_b32_e32 v5, 0, v5, vcc_lo
	v_sub_f32_e32 v4, v4, v11
	v_cmp_nlt_f32_e32 vcc_lo, 0x42b17218, v1
	v_cvt_i32_f32_e32 v11, v11
	v_fmac_f32_e32 v12, v6, v9
	v_fmaak_f32 v9, s4, v6, 0xad0e43db
	s_mov_b32 s4, 0x46ea6898
	v_cndmask_b32_e32 v1, 0x7f800000, v5, vcc_lo
	v_fmaak_f32 v14, s4, v8, 0x409eefc8
	v_add_f32_e32 v10, v4, v10
	v_fmaak_f32 v9, v6, v9, 0xb2eae537
	v_lshlrev_b64 v[4:5], 2, v[2:3]
	v_mul_f32_e32 v13, 0x3fb8aa3b, v12
	v_fmamk_f32 v14, v7, 0x40422cef, v14
	v_exp_f32_e32 v10, v10
	v_fmaak_f32 v9, v6, v9, 0x3a8eaaa0
	v_add_nc_u32_e32 v2, s0, v2
	v_add_co_u32 v4, vcc_lo, s2, v4
	v_add_co_ci_u32_e64 v5, null, s3, v5, vcc_lo
	v_fma_f32 v15, 0x3fb8aa3b, v12, -v13
	v_rndne_f32_e32 v16, v13
	v_fmac_f32_e32 v14, v6, v9
	global_store_dword v[4:5], v1, off
	v_ldexp_f32 v1, v10, v11
	v_fmac_f32_e32 v15, 0x32a5705f, v12
	v_sub_f32_e32 v4, v13, v16
	v_mul_f32_e32 v9, 0x3fb8aa3b, v14
	v_cmp_ngt_f32_e32 vcc_lo, 0xc2ce8ed0, v18
	s_mov_b32 s4, 0xa61b8339
	v_add_f32_e32 v10, v4, v15
	v_fma_f32 v11, 0x3fb8aa3b, v14, -v9
	v_rndne_f32_e32 v13, v9
	v_lshlrev_b64 v[4:5], 2, v[2:3]
	v_cndmask_b32_e32 v1, 0, v1, vcc_lo
	v_exp_f32_e32 v10, v10
	v_fmac_f32_e32 v11, 0x32a5705f, v14
	v_sub_f32_e32 v9, v9, v13
	v_cmp_nlt_f32_e32 vcc_lo, 0x42b17218, v18
	v_cvt_i32_f32_e32 v15, v16
	v_add_nc_u32_e32 v2, s0, v2
	v_cvt_i32_f32_e32 v13, v13
	v_add_f32_e32 v9, v9, v11
	v_fmaak_f32 v11, s4, v6, 0x2d277ca9
	v_cndmask_b32_e32 v1, 0x7f800000, v1, vcc_lo
	v_add_co_u32 v4, vcc_lo, s2, v4
	s_mov_b32 s4, 0xc2dfb6a3
	v_add_co_ci_u32_e64 v5, null, s3, v5, vcc_lo
	v_ldexp_f32 v10, v10, v15
	v_exp_f32_e32 v15, v9
	v_fmaak_f32 v9, s4, v8, 0x40723f1d
	v_cmp_ngt_f32_e32 vcc_lo, 0xc2ce8ed0, v12
	v_fmaak_f32 v11, v6, v11, 0xb3e2cb8b
	s_mov_b32 s4, 0xa6cf75b5
	v_fmamk_f32 v17, v7, 0x40808cfe, v9
	v_cndmask_b32_e32 v16, 0, v10, vcc_lo
	v_lshlrev_b64 v[9:10], 2, v[2:3]
	v_fmaak_f32 v11, v6, v11, 0x3a92c9f2
	v_cmp_nlt_f32_e32 vcc_lo, 0x42b17218, v12
	v_ldexp_f32 v12, v15, v13
	v_add_nc_u32_e32 v2, s0, v2
	v_fmac_f32_e32 v17, v6, v11
	v_cndmask_b32_e32 v16, 0x7f800000, v16, vcc_lo
	v_add_co_u32 v9, vcc_lo, s2, v9
	v_add_co_ci_u32_e64 v10, null, s3, v10, vcc_lo
	v_cmp_ngt_f32_e32 vcc_lo, 0xc2ce8ed0, v14
	v_mul_f32_e32 v11, 0x3fb8aa3b, v17
	global_store_dword v[4:5], v1, off
	global_store_dword v[9:10], v16, off
	v_cndmask_b32_e32 v13, 0, v12, vcc_lo
	v_fmaak_f32 v12, s4, v6, 0x2e080a86
	v_fma_f32 v15, 0x3fb8aa3b, v17, -v11
	s_mov_b32 s4, 0x468b8b93
	v_rndne_f32_e32 v18, v11
	v_fmaak_f32 v19, s4, v8, 0x403aa24f
	v_fmaak_f32 v12, v6, v12, 0xb4aa223a
	v_fmac_f32_e32 v15, 0x32a5705f, v17
	v_cmp_nlt_f32_e32 vcc_lo, 0x42b17218, v14
	v_sub_f32_e32 v20, v11, v18
	v_fmamk_f32 v19, v7, 0x408547b4, v19
	v_fmaak_f32 v21, v6, v12, 0x3b20d5f2
	v_lshlrev_b64 v[11:12], 2, v[2:3]
	v_cndmask_b32_e32 v13, 0x7f800000, v13, vcc_lo
	v_add_f32_e32 v14, v20, v15
	s_mov_b32 s4, 0x267dc1d4
	v_fmac_f32_e32 v19, v6, v21
	v_fmaak_f32 v9, s4, v6, 0xad3f9725
	v_add_co_u32 v11, vcc_lo, s2, v11
	v_add_co_ci_u32_e64 v12, null, s3, v12, vcc_lo
	v_exp_f32_e32 v1, v14
	v_mul_f32_e32 v4, 0x3fb8aa3b, v19
	s_mov_b32 s4, 0xc78ab238
	global_store_dword v[11:12], v13, off
	v_cvt_i32_f32_e32 v5, v18
	v_fmaak_f32 v12, s4, v8, 0x40af84f5
	v_fmaak_f32 v9, v6, v9, 0x32cecbe4
	v_fma_f32 v10, 0x3fb8aa3b, v19, -v4
	v_rndne_f32_e32 v11, v4
	v_add_nc_u32_e32 v2, s0, v2
	v_ldexp_f32 v1, v1, v5
	v_fmamk_f32 v12, v7, 0x403838c4, v12
	v_fmaak_f32 v5, v6, v9, 0x39fe84ea
	v_fmac_f32_e32 v10, 0x32a5705f, v19
	v_sub_f32_e32 v4, v4, v11
	v_cmp_ngt_f32_e32 vcc_lo, 0xc2ce8ed0, v17
	s_mov_b32 s4, 0xa68745a0
	v_fmac_f32_e32 v12, v6, v5
	v_fmaak_f32 v13, s4, v6, 0x2dbeb6b0
	v_add_f32_e32 v9, v4, v10
	v_lshlrev_b64 v[4:5], 2, v[2:3]
	v_cndmask_b32_e32 v1, 0, v1, vcc_lo
	v_cmp_nlt_f32_e32 vcc_lo, 0x42b17218, v17
	v_mul_f32_e32 v10, 0x3fb8aa3b, v12
	v_fmaak_f32 v14, s5, v8, 0x40c57a6a
	v_fmaak_f32 v13, v6, v13, 0xb47c2405
	v_exp_f32_e32 v9, v9
	v_cndmask_b32_e32 v1, 0x7f800000, v1, vcc_lo
	v_add_co_u32 v4, vcc_lo, s2, v4
	v_add_co_ci_u32_e64 v5, null, s3, v5, vcc_lo
	v_fma_f32 v15, 0x3fb8aa3b, v12, -v10
	v_rndne_f32_e32 v16, v10
	v_fmamk_f32 v14, v7, 0x4037f146, v14
	v_fmaak_f32 v13, v6, v13, 0x3aefa018
	v_cvt_i32_f32_e32 v11, v11
	global_store_dword v[4:5], v1, off
	v_fmac_f32_e32 v15, 0x32a5705f, v12
	v_sub_f32_e32 v4, v10, v16
	v_fmac_f32_e32 v14, v6, v13
	v_ldexp_f32 v1, v9, v11
	s_mov_b32 s4, 0xa6f4ca9c
	v_add_nc_u32_e32 v2, s0, v2
	v_add_f32_e32 v9, v4, v15
	v_mul_f32_e32 v10, 0x3fb8aa3b, v14
	v_cvt_i32_f32_e32 v15, v16
	v_fmaak_f32 v16, s4, v6, 0x2e192a07
	v_cmp_ngt_f32_e32 vcc_lo, 0xc2ce8ed0, v19
	v_exp_f32_e32 v9, v9
	v_fma_f32 v11, 0x3fb8aa3b, v14, -v10
	v_rndne_f32_e32 v13, v10
	s_mov_b32 s4, 0xc746ee00
	v_fmaak_f32 v16, v6, v16, 0xb4b40605
	v_fmaak_f32 v17, s4, v8, 0x410a0627
	v_fmac_f32_e32 v11, 0x32a5705f, v14
	v_sub_f32_e32 v10, v10, v13
	v_lshlrev_b64 v[4:5], 2, v[2:3]
	v_cndmask_b32_e32 v1, 0, v1, vcc_lo
	v_cmp_nlt_f32_e32 vcc_lo, 0x42b17218, v19
	v_ldexp_f32 v9, v9, v15
	v_add_f32_e32 v10, v10, v11
	v_fmamk_f32 v15, v7, 0x4012b0c2, v17
	v_fmaak_f32 v11, v6, v16, 0x3b189068
	v_cndmask_b32_e32 v1, 0x7f800000, v1, vcc_lo
	v_add_co_u32 v4, vcc_lo, s2, v4
	v_add_co_ci_u32_e64 v5, null, s3, v5, vcc_lo
	v_cmp_ngt_f32_e32 vcc_lo, 0xc2ce8ed0, v12
	v_exp_f32_e32 v17, v10
	v_fmac_f32_e32 v15, v6, v11
	v_add_nc_u32_e32 v2, s0, v2
	v_cvt_i32_f32_e32 v11, v13
	v_cndmask_b32_e32 v16, 0, v9, vcc_lo
	v_cmp_nlt_f32_e32 vcc_lo, 0x42b17218, v12
	v_mul_f32_e32 v12, 0x3fb8aa3b, v15
	s_mov_b32 s4, 0xa7284f63
	v_lshlrev_b64 v[9:10], 2, v[2:3]
	v_fmaak_f32 v18, s4, v6, 0x2e5a521b
	v_ldexp_f32 v11, v17, v11
	v_fma_f32 v13, 0x3fb8aa3b, v15, -v12
	v_rndne_f32_e32 v17, v12
	s_mov_b32 s4, 0xc6830f2b
	v_cndmask_b32_e32 v16, 0x7f800000, v16, vcc_lo
	v_add_co_u32 v9, vcc_lo, s2, v9
	v_fmaak_f32 v19, s4, v8, 0x4107ae60
	v_fmaak_f32 v18, v6, v18, 0xb505a47d
	v_add_co_ci_u32_e64 v10, null, s3, v10, vcc_lo
	v_add_nc_u32_e32 v2, s0, v2
	v_fmac_f32_e32 v13, 0x32a5705f, v15
	v_sub_f32_e32 v12, v12, v17
	v_cmp_ngt_f32_e32 vcc_lo, 0xc2ce8ed0, v14
	v_fmamk_f32 v19, v7, 0x40124933, v19
	v_fmaak_f32 v18, v6, v18, 0x3b6d3cb0
	s_mov_b32 s4, 0xa7b769fd
	v_add_f32_e32 v13, v12, v13
	v_cndmask_b32_e32 v20, 0, v11, vcc_lo
	v_lshlrev_b64 v[11:12], 2, v[2:3]
	v_cmp_nlt_f32_e32 vcc_lo, 0x42b17218, v14
	v_fmac_f32_e32 v19, v6, v18
	global_store_dword v[4:5], v1, off
	v_fmaak_f32 v5, s4, v6, 0x2ee01a7b
	v_exp_f32_e32 v13, v13
	v_cndmask_b32_e32 v14, 0x7f800000, v20, vcc_lo
	v_add_co_u32 v11, vcc_lo, s2, v11
	v_add_co_ci_u32_e64 v12, null, s3, v12, vcc_lo
	v_mul_f32_e32 v4, 0x3fb8aa3b, v19
	s_mov_b32 s4, 0x4613f161
	global_store_dword v[9:10], v16, off
	global_store_dword v[11:12], v14, off
	v_fmaak_f32 v11, s4, v8, 0x41937fa1
	v_fma_f32 v9, 0x3fb8aa3b, v19, -v4
	v_rndne_f32_e32 v10, v4
	v_fmaak_f32 v5, v6, v5, 0xb5803deb
	v_cvt_i32_f32_e32 v1, v17
	s_mov_b32 s4, 0xa692be5f
	v_fmac_f32_e32 v9, 0x32a5705f, v19
	v_sub_f32_e32 v4, v4, v10
	v_fmamk_f32 v11, v7, 0x3d994bbe, v11
	v_fmaak_f32 v5, v6, v5, 0x3bdb65b4
	v_fmaak_f32 v12, s4, v6, 0x2da8a172
	v_add_nc_u32_e32 v2, s0, v2
	v_ldexp_f32 v1, v13, v1
	v_cmp_ngt_f32_e32 vcc_lo, 0xc2ce8ed0, v15
	s_mov_b32 s4, 0x465d1f7d
	v_add_f32_e32 v9, v4, v9
	v_fmac_f32_e32 v11, v6, v5
	v_fmaak_f32 v14, s4, v8, 0x40fa32b1
	v_fmaak_f32 v12, v6, v12, 0xb432bf31
	v_lshlrev_b64 v[4:5], 2, v[2:3]
	v_cndmask_b32_e32 v1, 0, v1, vcc_lo
	v_cmp_nlt_f32_e32 vcc_lo, 0x42b17218, v15
	v_exp_f32_e32 v9, v9
	v_mul_f32_e32 v13, 0x3fb8aa3b, v11
	v_fmamk_f32 v14, v7, 0x402dc59a, v14
	v_fmaak_f32 v12, v6, v12, 0x3a872b78
	v_cndmask_b32_e32 v1, 0x7f800000, v1, vcc_lo
	v_add_co_u32 v4, vcc_lo, s2, v4
	v_add_co_ci_u32_e64 v5, null, s3, v5, vcc_lo
	v_cvt_i32_f32_e32 v10, v10
	v_fma_f32 v15, 0x3fb8aa3b, v11, -v13
	v_rndne_f32_e32 v16, v13
	v_fmac_f32_e32 v14, v6, v12
	global_store_dword v[4:5], v1, off
	v_ldexp_f32 v1, v9, v10
	v_fmac_f32_e32 v15, 0x32a5705f, v11
	v_sub_f32_e32 v4, v13, v16
	v_mul_f32_e32 v9, 0x3fb8aa3b, v14
	v_add_nc_u32_e32 v2, s0, v2
	v_cmp_ngt_f32_e32 vcc_lo, 0xc2ce8ed0, v19
	s_mov_b32 s4, 0xa72a1614
	v_add_f32_e32 v10, v4, v15
	v_fma_f32 v12, 0x3fb8aa3b, v14, -v9
	v_rndne_f32_e32 v13, v9
	v_lshlrev_b64 v[4:5], 2, v[2:3]
	v_cndmask_b32_e32 v1, 0, v1, vcc_lo
	v_exp_f32_e32 v10, v10
	v_fmac_f32_e32 v12, 0x32a5705f, v14
	v_sub_f32_e32 v9, v9, v13
	v_cmp_nlt_f32_e32 vcc_lo, 0x42b17218, v19
	v_cvt_i32_f32_e32 v15, v16
	v_add_nc_u32_e32 v2, s0, v2
	v_cvt_i32_f32_e32 v13, v13
	v_add_f32_e32 v9, v9, v12
	v_fmaak_f32 v12, s4, v6, 0x2e3fdc76
	v_cndmask_b32_e32 v1, 0x7f800000, v1, vcc_lo
	v_add_co_u32 v4, vcc_lo, s2, v4
	s_mov_b32 s4, 0x473e772a
	v_add_co_ci_u32_e64 v5, null, s3, v5, vcc_lo
	v_ldexp_f32 v10, v10, v15
	v_exp_f32_e32 v15, v9
	v_fmaak_f32 v9, s4, v8, 0x40116285
	v_cmp_ngt_f32_e32 vcc_lo, 0xc2ce8ed0, v11
	v_fmaak_f32 v12, v6, v12, 0xb4c62d9f
	s_mov_b32 s4, 0xa740377e
	s_mov_b32 s5, 0xc2ffaa40
	v_fmamk_f32 v17, v7, 0x4076e0a1, v9
	v_cndmask_b32_e32 v16, 0, v10, vcc_lo
	v_lshlrev_b64 v[9:10], 2, v[2:3]
	v_fmaak_f32 v12, v6, v12, 0x3b10a66c
	v_cmp_nlt_f32_e32 vcc_lo, 0x42b17218, v11
	v_ldexp_f32 v11, v15, v13
	v_add_nc_u32_e32 v2, s0, v2
	v_fmac_f32_e32 v17, v6, v12
	v_cndmask_b32_e32 v16, 0x7f800000, v16, vcc_lo
	v_add_co_u32 v9, vcc_lo, s2, v9
	v_add_co_ci_u32_e64 v10, null, s3, v10, vcc_lo
	v_cmp_ngt_f32_e32 vcc_lo, 0xc2ce8ed0, v14
	v_mul_f32_e32 v12, 0x3fb8aa3b, v17
	global_store_dword v[4:5], v1, off
	global_store_dword v[9:10], v16, off
	v_cndmask_b32_e32 v13, 0, v11, vcc_lo
	v_fmaak_f32 v11, s4, v6, 0x2e57ee19
	v_fma_f32 v15, 0x3fb8aa3b, v17, -v12
	s_mov_b32 s4, 0xc57abeb1
	v_rndne_f32_e32 v18, v12
	v_fmaak_f32 v19, s4, v8, 0x411cc605
	v_fmaak_f32 v11, v6, v11, 0xb4de4e2d
	v_fmac_f32_e32 v15, 0x32a5705f, v17
	v_cmp_nlt_f32_e32 vcc_lo, 0x42b17218, v14
	v_sub_f32_e32 v20, v12, v18
	v_fmamk_f32 v19, v7, 0x40316b4e, v19
	v_fmaak_f32 v21, v6, v11, 0x3b226df4
	v_lshlrev_b64 v[11:12], 2, v[2:3]
	v_cndmask_b32_e32 v13, 0x7f800000, v13, vcc_lo
	v_add_f32_e32 v14, v20, v15
	s_mov_b32 s4, 0xa79f38a6
	v_fmac_f32_e32 v19, v6, v21
	v_fmaak_f32 v9, s4, v6, 0x2eb86d4e
	v_add_co_u32 v11, vcc_lo, s2, v11
	v_add_co_ci_u32_e64 v12, null, s3, v12, vcc_lo
	v_exp_f32_e32 v1, v14
	v_mul_f32_e32 v4, 0x3fb8aa3b, v19
	s_mov_b32 s4, 0x465aaf54
	global_store_dword v[11:12], v13, off
	v_cvt_i32_f32_e32 v5, v18
	v_fmaak_f32 v12, s4, v8, 0x415a804d
	v_fmaak_f32 v9, v6, v9, 0xb545dcfe
	v_fma_f32 v10, 0x3fb8aa3b, v19, -v4
	v_rndne_f32_e32 v11, v4
	v_add_nc_u32_e32 v2, s0, v2
	v_ldexp_f32 v1, v1, v5
	v_fmamk_f32 v12, v7, 0x3fe15e4b, v12
	v_fmaak_f32 v5, v6, v9, 0x3b96bb9a
	v_fmac_f32_e32 v10, 0x32a5705f, v19
	v_sub_f32_e32 v4, v4, v11
	v_cmp_ngt_f32_e32 vcc_lo, 0xc2ce8ed0, v17
	s_mov_b32 s4, 0xa6983ae3
	v_fmac_f32_e32 v12, v6, v5
	v_fmaak_f32 v13, s4, v6, 0x2e10909f
	v_add_f32_e32 v9, v4, v10
	v_lshlrev_b64 v[4:5], 2, v[2:3]
	v_cndmask_b32_e32 v1, 0, v1, vcc_lo
	v_cmp_nlt_f32_e32 vcc_lo, 0x42b17218, v17
	v_mul_f32_e32 v10, 0x3fb8aa3b, v12
	v_fmaak_f32 v14, s5, v8, 0x403b7e28
	v_fmaak_f32 v13, v6, v13, 0xb4edb071
	v_exp_f32_e32 v9, v9
	v_cndmask_b32_e32 v1, 0x7f800000, v1, vcc_lo
	v_add_co_u32 v4, vcc_lo, s2, v4
	v_add_co_ci_u32_e64 v5, null, s3, v5, vcc_lo
	v_fma_f32 v15, 0x3fb8aa3b, v12, -v10
	v_rndne_f32_e32 v16, v10
	v_fmamk_f32 v14, v7, 0x407154c5, v14
	v_fmaak_f32 v13, v6, v13, 0x3b80f774
	v_cvt_i32_f32_e32 v11, v11
	global_store_dword v[4:5], v1, off
	v_fmac_f32_e32 v15, 0x32a5705f, v12
	v_sub_f32_e32 v4, v10, v16
	v_fmac_f32_e32 v14, v6, v13
	v_ldexp_f32 v1, v9, v11
	s_mov_b32 s4, 0xa7022611
	v_add_nc_u32_e32 v2, s0, v2
	v_add_f32_e32 v9, v4, v15
	v_mul_f32_e32 v10, 0x3fb8aa3b, v14
	v_cvt_i32_f32_e32 v15, v16
	v_fmaak_f32 v16, s4, v6, 0x2e2b4ef2
	v_cmp_ngt_f32_e32 vcc_lo, 0xc2ce8ed0, v19
	v_exp_f32_e32 v9, v9
	v_fma_f32 v11, 0x3fb8aa3b, v14, -v10
	v_rndne_f32_e32 v13, v10
	s_mov_b32 s4, 0xc6caa000
	v_fmaak_f32 v16, v6, v16, 0xb4d453ed
	v_fmaak_f32 v17, s4, v8, 0xbf9d79db
	v_fmac_f32_e32 v11, 0x32a5705f, v14
	v_sub_f32_e32 v10, v10, v13
	v_lshlrev_b64 v[4:5], 2, v[2:3]
	v_cndmask_b32_e32 v1, 0, v1, vcc_lo
	v_cmp_nlt_f32_e32 vcc_lo, 0x42b17218, v19
	v_ldexp_f32 v9, v9, v15
	v_add_f32_e32 v10, v10, v11
	v_fmamk_f32 v15, v7, 0x4084b8e4, v17
	v_fmaak_f32 v11, v6, v16, 0x3b435a16
	v_cndmask_b32_e32 v1, 0x7f800000, v1, vcc_lo
	v_add_co_u32 v4, vcc_lo, s2, v4
	v_add_co_ci_u32_e64 v5, null, s3, v5, vcc_lo
	v_cmp_ngt_f32_e32 vcc_lo, 0xc2ce8ed0, v12
	v_exp_f32_e32 v17, v10
	v_fmac_f32_e32 v15, v6, v11
	s_mov_b32 s4, 0xa656890b
	v_add_nc_u32_e32 v2, s0, v2
	v_fmaak_f32 v18, s4, v6, 0x2dbaa4f4
	v_cndmask_b32_e32 v16, 0, v9, vcc_lo
	v_cmp_nlt_f32_e32 vcc_lo, 0x42b17218, v12
	v_cvt_i32_f32_e32 v11, v13
	v_mul_f32_e32 v12, 0x3fb8aa3b, v15
	s_mov_b32 s4, 0xc73cbcb0
	v_lshlrev_b64 v[9:10], 2, v[2:3]
	v_fmaak_f32 v19, s4, v8, 0x3f23e693
	v_fmaak_f32 v18, v6, v18, 0xb491dbe5
	v_ldexp_f32 v11, v17, v11
	v_fma_f32 v13, 0x3fb8aa3b, v15, -v12
	v_rndne_f32_e32 v17, v12
	v_cndmask_b32_e32 v16, 0x7f800000, v16, vcc_lo
	v_add_co_u32 v9, vcc_lo, s2, v9
	v_fmamk_f32 v19, v7, 0x4088e5a8, v19
	v_fmaak_f32 v18, v6, v18, 0x3b1bda92
	v_add_co_ci_u32_e64 v10, null, s3, v10, vcc_lo
	v_add_nc_u32_e32 v2, s0, v2
	v_fmac_f32_e32 v13, 0x32a5705f, v15
	v_sub_f32_e32 v12, v12, v17
	v_cmp_ngt_f32_e32 vcc_lo, 0xc2ce8ed0, v14
	v_fmac_f32_e32 v19, v6, v18
	s_mov_b32 s4, 0xa79b64ba
	global_store_dword v[4:5], v1, off
	global_store_dword v[9:10], v16, off
	v_add_f32_e32 v13, v12, v13
	v_cndmask_b32_e32 v20, 0, v11, vcc_lo
	v_lshlrev_b64 v[11:12], 2, v[2:3]
	v_cmp_nlt_f32_e32 vcc_lo, 0x42b17218, v14
	v_mul_f32_e32 v18, 0x3fb8aa3b, v19
	v_fmaak_f32 v5, s4, v6, 0x2eba7bb3
	s_mov_b32 s4, 0xc70734e0
	v_exp_f32_e32 v13, v13
	v_cndmask_b32_e32 v14, 0x7f800000, v20, vcc_lo
	v_add_co_u32 v11, vcc_lo, s2, v11
	v_add_co_ci_u32_e64 v12, null, s3, v12, vcc_lo
	v_fma_f32 v4, 0x3fb8aa3b, v19, -v18
	v_rndne_f32_e32 v9, v18
	v_fmaak_f32 v5, v6, v5, 0xb5516aa0
	global_store_dword v[11:12], v14, off
	v_fmaak_f32 v11, s4, v8, 0x40f931c2
	v_fmac_f32_e32 v4, 0x32a5705f, v19
	v_sub_f32_e32 v10, v18, v9
	v_fmaak_f32 v12, v6, v5, 0x3ba9401f
	s_mov_b32 s4, 0xa7e273b0
	v_fmamk_f32 v11, v7, 0x40411202, v11
	v_cvt_i32_f32_e32 v1, v17
	v_add_f32_e32 v10, v10, v4
	v_add_nc_u32_e32 v2, s0, v2
	v_cmp_ngt_f32_e32 vcc_lo, 0xc2ce8ed0, v15
	v_fmac_f32_e32 v11, v6, v12
	v_fmaak_f32 v12, s4, v6, 0x2f06e4f9
	v_exp_f32_e32 v10, v10
	v_ldexp_f32 v1, v13, v1
	v_cvt_i32_f32_e32 v9, v9
	v_mul_f32_e32 v13, 0x3fb8aa3b, v11
	v_fmaak_f32 v12, v6, v12, 0xb5961e1a
	s_mov_b32 s4, 0xc59a5f17
	v_lshlrev_b64 v[4:5], 2, v[2:3]
	v_fmaak_f32 v14, s4, v8, 0x4124e2cb
	v_cndmask_b32_e32 v1, 0, v1, vcc_lo
	v_cmp_nlt_f32_e32 vcc_lo, 0x42b17218, v15
	v_ldexp_f32 v9, v10, v9
	v_fma_f32 v15, 0x3fb8aa3b, v11, -v13
	v_fmaak_f32 v10, v6, v12, 0x3beff353
	v_rndne_f32_e32 v12, v13
	v_fmamk_f32 v14, v7, 0x40024fa5, v14
	v_cndmask_b32_e32 v1, 0x7f800000, v1, vcc_lo
	v_add_co_u32 v4, vcc_lo, s2, v4
	v_fmac_f32_e32 v15, 0x32a5705f, v11
	v_sub_f32_e32 v13, v13, v12
	v_add_co_ci_u32_e64 v5, null, s3, v5, vcc_lo
	v_cmp_ngt_f32_e32 vcc_lo, 0xc2ce8ed0, v19
	s_mov_b32 s4, 0xa806c900
	v_fmac_f32_e32 v14, v6, v10
	v_add_f32_e32 v13, v13, v15
	v_fmaak_f32 v15, s4, v6, 0x2f208b7f
	v_cndmask_b32_e32 v9, 0, v9, vcc_lo
	v_add_nc_u32_e32 v2, s0, v2
	v_cmp_nlt_f32_e32 vcc_lo, 0x42b17218, v19
	s_mov_b32 s4, 0xc648e614
	v_mul_f32_e32 v17, 0x3fb8aa3b, v14
	v_fmaak_f32 v20, s4, v8, 0x41576622
	v_fmaak_f32 v15, v6, v15, 0xb5b28e4a
	v_cndmask_b32_e32 v16, 0x7f800000, v9, vcc_lo
	v_lshlrev_b64 v[9:10], 2, v[2:3]
	v_fma_f32 v18, 0x3fb8aa3b, v14, -v17
	v_rndne_f32_e32 v19, v17
	v_fmamk_f32 v20, v7, 0x3ffa322e, v20
	v_fmaak_f32 v15, v6, v15, 0x3c0e84b9
	v_exp_f32_e32 v13, v13
	v_add_co_u32 v9, vcc_lo, s2, v9
	v_fmac_f32_e32 v18, 0x32a5705f, v14
	v_sub_f32_e32 v17, v17, v19
	v_add_co_ci_u32_e64 v10, null, s3, v10, vcc_lo
	v_fmac_f32_e32 v20, v6, v15
	v_cvt_i32_f32_e32 v12, v12
	global_store_dword v[4:5], v1, off
	v_add_f32_e32 v1, v17, v18
	global_store_dword v[9:10], v16, off
	v_mul_f32_e32 v9, 0x3fb8aa3b, v20
	v_ldexp_f32 v4, v13, v12
	v_add_nc_u32_e32 v2, s0, v2
	v_cmp_ngt_f32_e32 vcc_lo, 0xc2ce8ed0, v11
	v_exp_f32_e32 v1, v1
	v_fma_f32 v13, 0x3fb8aa3b, v20, -v9
	v_rndne_f32_e32 v15, v9
	v_cvt_i32_f32_e32 v12, v19
	v_cndmask_b32_e32 v10, 0, v4, vcc_lo
	v_lshlrev_b64 v[4:5], 2, v[2:3]
	v_cmp_nlt_f32_e32 vcc_lo, 0x42b17218, v11
	v_fmac_f32_e32 v13, 0x32a5705f, v20
	v_sub_f32_e32 v9, v9, v15
	v_add_nc_u32_e32 v2, s0, v2
	s_mov_b32 s4, 0xa82b23af
	v_cndmask_b32_e32 v11, 0x7f800000, v10, vcc_lo
	v_add_co_u32 v4, vcc_lo, s2, v4
	v_ldexp_f32 v1, v1, v12
	v_add_co_ci_u32_e64 v5, null, s3, v5, vcc_lo
	v_cmp_ngt_f32_e32 vcc_lo, 0xc2ce8ed0, v14
	v_add_f32_e32 v12, v9, v13
	v_fmaak_f32 v13, s4, v6, 0x2f4adef3
	v_lshlrev_b64 v[9:10], 2, v[2:3]
	s_mov_b32 s4, 0x46328993
	v_cndmask_b32_e32 v1, 0, v1, vcc_lo
	v_cmp_nlt_f32_e32 vcc_lo, 0x42b17218, v14
	v_fmaak_f32 v14, s4, v8, 0x4171d98b
	v_fmaak_f32 v13, v6, v13, 0xb5e044df
	s_mov_b32 s4, 0xa68bd922
	v_exp_f32_e32 v12, v12
	v_cndmask_b32_e32 v1, 0x7f800000, v1, vcc_lo
	v_add_co_u32 v9, vcc_lo, s2, v9
	v_fmamk_f32 v14, v7, 0x3f89336a, v14
	v_fmaak_f32 v13, v6, v13, 0x3c31a54e
	v_add_co_ci_u32_e64 v10, null, s3, v10, vcc_lo
	global_store_dword v[4:5], v11, off
	global_store_dword v[9:10], v1, off
	v_fmac_f32_e32 v14, v6, v13
	v_fmaak_f32 v4, s4, v6, 0x2dd1d4c8
	s_mov_b32 s4, 0xc696fe6e
	v_cvt_i32_f32_e32 v15, v15
	v_fmaak_f32 v9, s4, v8, 0xc07b895f
	v_mul_f32_e32 v5, 0x3fb8aa3b, v14
	v_fmaak_f32 v4, v6, v4, 0xb48e9475
	s_mov_b32 s4, 0xa78f2f71
	v_ldexp_f32 v1, v12, v15
	v_fmamk_f32 v12, v7, 0x40b41a43, v9
	v_fma_f32 v10, 0x3fb8aa3b, v14, -v5
	v_rndne_f32_e32 v11, v5
	v_fmaak_f32 v4, v6, v4, 0x3b05de51
	v_fmaak_f32 v9, s4, v6, 0x2ea93476
	s_mov_b32 s4, 0x45ebf86d
	v_fmac_f32_e32 v10, 0x32a5705f, v14
	v_sub_f32_e32 v5, v5, v11
	v_fmac_f32_e32 v12, v6, v4
	v_fmaak_f32 v4, s4, v8, 0x3f21daf4
	v_fmaak_f32 v9, v6, v9, 0xb53a891f
	v_add_nc_u32_e32 v2, s0, v2
	v_cmp_ngt_f32_e32 vcc_lo, 0xc2ce8ed0, v20
	v_add_f32_e32 v10, v5, v10
	v_mul_f32_e32 v13, 0x3fb8aa3b, v12
	v_fmamk_f32 v15, v7, 0x40905c8c, v4
	v_fmaak_f32 v9, v6, v9, 0x3b9383d3
	v_lshlrev_b64 v[4:5], 2, v[2:3]
	v_cndmask_b32_e32 v1, 0, v1, vcc_lo
	v_cmp_nlt_f32_e32 vcc_lo, 0x42b17218, v20
	v_exp_f32_e32 v10, v10
	v_fma_f32 v16, 0x3fb8aa3b, v12, -v13
	v_rndne_f32_e32 v17, v13
	v_fmac_f32_e32 v15, v6, v9
	v_cndmask_b32_e32 v1, 0x7f800000, v1, vcc_lo
	v_add_co_u32 v4, vcc_lo, s2, v4
	v_add_co_ci_u32_e64 v5, null, s3, v5, vcc_lo
	v_cvt_i32_f32_e32 v9, v11
	v_fmac_f32_e32 v16, 0x32a5705f, v12
	v_sub_f32_e32 v11, v13, v17
	v_mul_f32_e32 v13, 0x3fb8aa3b, v15
	global_store_dword v[4:5], v1, off
	v_ldexp_f32 v1, v10, v9
	v_add_nc_u32_e32 v2, s0, v2
	v_add_f32_e32 v4, v11, v16
	v_fma_f32 v9, 0x3fb8aa3b, v15, -v13
	v_rndne_f32_e32 v11, v13
	v_cmp_ngt_f32_e32 vcc_lo, 0xc2ce8ed0, v14
	s_mov_b32 s4, 0xa69ccc6e
	v_exp_f32_e32 v10, v4
	v_fmac_f32_e32 v9, 0x32a5705f, v15
	v_sub_f32_e32 v13, v13, v11
	v_lshlrev_b64 v[4:5], 2, v[2:3]
	v_cndmask_b32_e32 v1, 0, v1, vcc_lo
	v_cmp_nlt_f32_e32 vcc_lo, 0x42b17218, v14
	v_cvt_i32_f32_e32 v14, v17
	v_add_f32_e32 v9, v13, v9
	v_fmaak_f32 v16, s4, v6, 0x2e152da0
	v_add_nc_u32_e32 v2, s0, v2
	v_cndmask_b32_e32 v1, 0x7f800000, v1, vcc_lo
	v_add_co_u32 v4, vcc_lo, s2, v4
	v_add_co_ci_u32_e64 v5, null, s3, v5, vcc_lo
	v_ldexp_f32 v10, v10, v14
	v_exp_f32_e32 v13, v9
	v_cmp_ngt_f32_e32 vcc_lo, 0xc2ce8ed0, v12
	s_mov_b32 s4, 0xc3f52930
	v_cvt_i32_f32_e32 v11, v11
	v_fmaak_f32 v17, s4, v8, 0xc0a106dd
	v_fmaak_f32 v16, v6, v16, 0xb4f57ed0
	v_cndmask_b32_e32 v14, 0, v10, vcc_lo
	v_cmp_nlt_f32_e32 vcc_lo, 0x42b17218, v12
	v_lshlrev_b64 v[9:10], 2, v[2:3]
	s_mov_b32 s4, 0xa713a9dd
	v_ldexp_f32 v11, v13, v11
	v_fmamk_f32 v13, v7, 0x40bf38b0, v17
	v_cndmask_b32_e32 v12, 0x7f800000, v14, vcc_lo
	v_fmaak_f32 v14, v6, v16, 0x3b85362c
	v_add_co_u32 v9, vcc_lo, s2, v9
	v_add_co_ci_u32_e64 v10, null, s3, v10, vcc_lo
	v_fmac_f32_e32 v13, v6, v14
	v_cmp_ngt_f32_e32 vcc_lo, 0xc2ce8ed0, v15
	global_store_dword v[4:5], v1, off
	global_store_dword v[9:10], v12, off
	v_add_nc_u32_e32 v2, s0, v2
	v_fmaak_f32 v4, s4, v6, 0x2e7a9672
	v_mul_f32_e32 v1, 0x3fb8aa3b, v13
	v_cndmask_b32_e32 v11, 0, v11, vcc_lo
	v_cmp_nlt_f32_e32 vcc_lo, 0x42b17218, v15
	s_mov_b32 s4, 0x46b0823e
	v_fmaak_f32 v14, v6, v4, 0xb53d1503
	v_fma_f32 v10, 0x3fb8aa3b, v13, -v1
	v_lshlrev_b64 v[4:5], 2, v[2:3]
	v_cndmask_b32_e32 v9, 0x7f800000, v11, vcc_lo
	v_rndne_f32_e32 v11, v1
	v_fmaak_f32 v12, s4, v8, 0xc05ec54b
	v_fmac_f32_e32 v10, 0x32a5705f, v13
	s_mov_b32 s4, 0xa7a2c8fd
	v_add_co_u32 v4, vcc_lo, s2, v4
	v_sub_f32_e32 v1, v1, v11
	v_fmamk_f32 v12, v7, 0x40acee7a, v12
	v_fmaak_f32 v14, v6, v14, 0x3bc01213
	v_add_co_ci_u32_e64 v5, null, s3, v5, vcc_lo
	v_add_f32_e32 v1, v1, v10
	v_fmaak_f32 v10, s4, v6, 0x2ecb0ece
	s_mov_b32 s4, 0xc68894e6
	v_fmac_f32_e32 v12, v6, v14
	global_store_dword v[4:5], v9, off
	v_fmaak_f32 v4, s4, v8, 0xc133e388
	v_fmaak_f32 v5, v6, v10, 0xb57e0967
	v_cvt_i32_f32_e32 v10, v11
	v_mul_f32_e32 v9, 0x3fb8aa3b, v12
	s_mov_b32 s4, 0xa707b11a
	v_fmamk_f32 v11, v7, 0x40d00674, v4
	v_fmaak_f32 v4, v6, v5, 0x3beab247
	v_exp_f32_e32 v1, v1
	v_fma_f32 v5, 0x3fb8aa3b, v12, -v9
	v_fmaak_f32 v14, s4, v6, 0x2e842965
	v_rndne_f32_e32 v15, v9
	v_fmac_f32_e32 v11, v6, v4
	s_mov_b32 s4, 0x4466e480
	v_fmac_f32_e32 v5, 0x32a5705f, v12
	v_fmaak_f32 v4, s4, v8, 0xc155037b
	v_fmaak_f32 v14, v6, v14, 0xb55d7469
	v_sub_f32_e32 v9, v9, v15
	v_mul_f32_e32 v16, 0x3fb8aa3b, v11
	v_ldexp_f32 v1, v1, v10
	v_fmamk_f32 v18, v7, 0x40d76ea6, v4
	v_fmaak_f32 v4, v6, v14, 0x3bf4421c
	v_add_f32_e32 v5, v9, v5
	v_fma_f32 v9, 0x3fb8aa3b, v11, -v16
	v_rndne_f32_e32 v10, v16
	v_cmp_ngt_f32_e32 vcc_lo, 0xc2ce8ed0, v13
	v_fmac_f32_e32 v18, v6, v4
	v_add_nc_u32_e32 v2, s0, v2
	v_fmac_f32_e32 v9, 0x32a5705f, v11
	v_sub_f32_e32 v4, v16, v10
	v_cndmask_b32_e32 v1, 0, v1, vcc_lo
	v_exp_f32_e32 v14, v5
	v_cmp_nlt_f32_e32 vcc_lo, 0x42b17218, v13
	v_mul_f32_e32 v16, 0x3fb8aa3b, v18
	v_add_f32_e32 v9, v4, v9
	v_lshlrev_b64 v[4:5], 2, v[2:3]
	v_cvt_i32_f32_e32 v10, v10
	v_cndmask_b32_e32 v19, 0x7f800000, v1, vcc_lo
	v_cvt_i32_f32_e32 v1, v15
	v_fma_f32 v13, 0x3fb8aa3b, v18, -v16
	v_rndne_f32_e32 v15, v16
	v_add_co_u32 v4, vcc_lo, s2, v4
	v_exp_f32_e32 v9, v9
	v_ldexp_f32 v1, v14, v1
	v_add_co_ci_u32_e64 v5, null, s3, v5, vcc_lo
	v_cmp_ngt_f32_e32 vcc_lo, 0xc2ce8ed0, v12
	v_fmac_f32_e32 v13, 0x32a5705f, v18
	v_sub_f32_e32 v14, v16, v15
	v_add_nc_u32_e32 v2, s0, v2
	s_mov_b32 s4, 0xc5f941ca
	v_cndmask_b32_e32 v1, 0, v1, vcc_lo
	v_cmp_nlt_f32_e32 vcc_lo, 0x42b17218, v12
	v_add_f32_e32 v13, v14, v13
	v_ldexp_f32 v14, v9, v10
	v_lshlrev_b64 v[9:10], 2, v[2:3]
	v_add_nc_u32_e32 v2, s0, v2
	v_cndmask_b32_e32 v20, 0x7f800000, v1, vcc_lo
	v_cmp_ngt_f32_e32 vcc_lo, 0xc2ce8ed0, v11
	v_exp_f32_e32 v1, v13
	v_cvt_i32_f32_e32 v13, v15
	v_cndmask_b32_e32 v12, 0, v14, vcc_lo
	v_add_co_u32 v14, vcc_lo, s2, v9
	v_add_co_ci_u32_e64 v15, null, s3, v10, vcc_lo
	v_cmp_nlt_f32_e32 vcc_lo, 0x42b17218, v11
	v_lshlrev_b64 v[9:10], 2, v[2:3]
	v_ldexp_f32 v1, v1, v13
	v_add_nc_u32_e32 v2, s0, v2
	v_mov_b32_e32 v13, 0xb56bddc9
	v_cndmask_b32_e32 v21, 0x7f800000, v12, vcc_lo
	v_cmp_ngt_f32_e32 vcc_lo, 0xc2ce8ed0, v18
	v_mov_b32_e32 v12, 0x3c035476
	v_cndmask_b32_e32 v11, 0, v1, vcc_lo
	v_add_co_u32 v16, vcc_lo, s2, v9
	v_lshlrev_b64 v[1:2], 2, v[2:3]
	v_add_co_ci_u32_e64 v17, null, s3, v10, vcc_lo
	v_cmp_nlt_f32_e32 vcc_lo, 0x42b17218, v18
	v_fmaak_f32 v10, s4, v8, 0xc1783ea8
	s_mov_b32 s4, 0xa70c0488
	v_cndmask_b32_e32 v3, 0x7f800000, v11, vcc_lo
	v_add_co_u32 v8, vcc_lo, s2, v1
	v_fmamk_f32 v10, v7, 0x40f6b641, v10
	v_fmaak_f32 v11, s4, v6, 0x2e8b111f
	v_mov_b32_e32 v1, s0
	v_add_co_ci_u32_e64 v9, null, s3, v2, vcc_lo
	global_store_dword v[4:5], v19, off
	global_store_dword v[14:15], v20, off
	;; [unrolled: 1-line block ×4, first 2 shown]
.LBB1_4:
	s_or_b32 exec_lo, exec_lo, s1
	v_fmac_f32_e32 v13, v6, v11
	v_mad_u64_u32 v[0:1], null, v1, 30, v[0:1]
	v_mov_b32_e32 v1, 0
	v_fmac_f32_e32 v12, v6, v13
	v_lshlrev_b64 v[0:1], 2, v[0:1]
	v_fmac_f32_e32 v10, v6, v12
	v_mul_f32_e32 v2, 0x3fb8aa3b, v10
	v_cmp_ngt_f32_e32 vcc_lo, 0xc2ce8ed0, v10
	v_fma_f32 v3, 0x3fb8aa3b, v10, -v2
	v_rndne_f32_e32 v4, v2
	v_fmamk_f32 v3, v10, 0x32a5705f, v3
	v_sub_f32_e32 v2, v2, v4
	v_add_f32_e32 v2, v2, v3
	v_cvt_i32_f32_e32 v3, v4
	v_exp_f32_e32 v2, v2
	v_ldexp_f32 v2, v2, v3
	v_cndmask_b32_e32 v2, 0, v2, vcc_lo
	v_cmp_nlt_f32_e32 vcc_lo, 0x42b17218, v10
	v_cndmask_b32_e32 v2, 0x7f800000, v2, vcc_lo
	v_add_co_u32 v0, vcc_lo, s2, v0
	v_add_co_ci_u32_e64 v1, null, s3, v1, vcc_lo
	global_store_dword v[0:1], v2, off
	s_endpgm
	.section	.rodata,"a",@progbits
	.p2align	6, 0x0
	.amdhsa_kernel _Z12rdsmh_kernelIfEvPKT_PS0_S0_
		.amdhsa_group_segment_fixed_size 0
		.amdhsa_private_segment_fixed_size 0
		.amdhsa_kernarg_size 280
		.amdhsa_user_sgpr_count 6
		.amdhsa_user_sgpr_private_segment_buffer 1
		.amdhsa_user_sgpr_dispatch_ptr 0
		.amdhsa_user_sgpr_queue_ptr 0
		.amdhsa_user_sgpr_kernarg_segment_ptr 1
		.amdhsa_user_sgpr_dispatch_id 0
		.amdhsa_user_sgpr_flat_scratch_init 0
		.amdhsa_user_sgpr_private_segment_size 0
		.amdhsa_wavefront_size32 1
		.amdhsa_uses_dynamic_stack 0
		.amdhsa_system_sgpr_private_segment_wavefront_offset 0
		.amdhsa_system_sgpr_workgroup_id_x 1
		.amdhsa_system_sgpr_workgroup_id_y 0
		.amdhsa_system_sgpr_workgroup_id_z 0
		.amdhsa_system_sgpr_workgroup_info 0
		.amdhsa_system_vgpr_workitem_id 0
		.amdhsa_next_free_vgpr 22
		.amdhsa_next_free_sgpr 8
		.amdhsa_reserve_vcc 1
		.amdhsa_reserve_flat_scratch 0
		.amdhsa_float_round_mode_32 0
		.amdhsa_float_round_mode_16_64 0
		.amdhsa_float_denorm_mode_32 3
		.amdhsa_float_denorm_mode_16_64 3
		.amdhsa_dx10_clamp 1
		.amdhsa_ieee_mode 1
		.amdhsa_fp16_overflow 0
		.amdhsa_workgroup_processor_mode 1
		.amdhsa_memory_ordered 1
		.amdhsa_forward_progress 1
		.amdhsa_shared_vgpr_count 0
		.amdhsa_exception_fp_ieee_invalid_op 0
		.amdhsa_exception_fp_denorm_src 0
		.amdhsa_exception_fp_ieee_div_zero 0
		.amdhsa_exception_fp_ieee_overflow 0
		.amdhsa_exception_fp_ieee_underflow 0
		.amdhsa_exception_fp_ieee_inexact 0
		.amdhsa_exception_int_div_zero 0
	.end_amdhsa_kernel
	.section	.text._Z12rdsmh_kernelIfEvPKT_PS0_S0_,"axG",@progbits,_Z12rdsmh_kernelIfEvPKT_PS0_S0_,comdat
.Lfunc_end1:
	.size	_Z12rdsmh_kernelIfEvPKT_PS0_S0_, .Lfunc_end1-_Z12rdsmh_kernelIfEvPKT_PS0_S0_
                                        ; -- End function
	.set _Z12rdsmh_kernelIfEvPKT_PS0_S0_.num_vgpr, 22
	.set _Z12rdsmh_kernelIfEvPKT_PS0_S0_.num_agpr, 0
	.set _Z12rdsmh_kernelIfEvPKT_PS0_S0_.numbered_sgpr, 8
	.set _Z12rdsmh_kernelIfEvPKT_PS0_S0_.num_named_barrier, 0
	.set _Z12rdsmh_kernelIfEvPKT_PS0_S0_.private_seg_size, 0
	.set _Z12rdsmh_kernelIfEvPKT_PS0_S0_.uses_vcc, 1
	.set _Z12rdsmh_kernelIfEvPKT_PS0_S0_.uses_flat_scratch, 0
	.set _Z12rdsmh_kernelIfEvPKT_PS0_S0_.has_dyn_sized_stack, 0
	.set _Z12rdsmh_kernelIfEvPKT_PS0_S0_.has_recursion, 0
	.set _Z12rdsmh_kernelIfEvPKT_PS0_S0_.has_indirect_call, 0
	.section	.AMDGPU.csdata,"",@progbits
; Kernel info:
; codeLenInByte = 11452
; TotalNumSgprs: 10
; NumVgprs: 22
; ScratchSize: 0
; MemoryBound: 0
; FloatMode: 240
; IeeeMode: 1
; LDSByteSize: 0 bytes/workgroup (compile time only)
; SGPRBlocks: 0
; VGPRBlocks: 2
; NumSGPRsForWavesPerEU: 10
; NumVGPRsForWavesPerEU: 22
; Occupancy: 16
; WaveLimiterHint : 0
; COMPUTE_PGM_RSRC2:SCRATCH_EN: 0
; COMPUTE_PGM_RSRC2:USER_SGPR: 6
; COMPUTE_PGM_RSRC2:TRAP_HANDLER: 0
; COMPUTE_PGM_RSRC2:TGID_X_EN: 1
; COMPUTE_PGM_RSRC2:TGID_Y_EN: 0
; COMPUTE_PGM_RSRC2:TGID_Z_EN: 0
; COMPUTE_PGM_RSRC2:TIDIG_COMP_CNT: 0
	.section	.text._Z7gr_baseIfEvPKT_S2_S2_PS0_S0_S0_,"axG",@progbits,_Z7gr_baseIfEvPKT_S2_S2_PS0_S0_S0_,comdat
	.protected	_Z7gr_baseIfEvPKT_S2_S2_PS0_S0_S0_ ; -- Begin function _Z7gr_baseIfEvPKT_S2_S2_PS0_S0_S0_
	.globl	_Z7gr_baseIfEvPKT_S2_S2_PS0_S0_S0_
	.p2align	8
	.type	_Z7gr_baseIfEvPKT_S2_S2_PS0_S0_S0_,@function
_Z7gr_baseIfEvPKT_S2_S2_PS0_S0_S0_:     ; @_Z7gr_baseIfEvPKT_S2_S2_PS0_S0_S0_
; %bb.0:
	s_clause 0x3
	s_load_dwordx8 s[8:15], s[4:5], 0x0
	s_load_dwordx2 s[0:1], s[4:5], 0x20
	s_load_dword s2, s[4:5], 0x28
	s_load_dword s3, s[4:5], 0x34
	s_waitcnt lgkmcnt(0)
	s_and_b32 s3, s3, 0xffff
	v_mad_u64_u32 v[0:1], null, s6, s3, v[0:1]
	v_mov_b32_e32 v1, 0
	v_lshlrev_b64 v[2:3], 2, v[0:1]
	v_add_co_u32 v4, vcc_lo, s10, v2
	v_add_co_ci_u32_e64 v5, null, s11, v3, vcc_lo
	global_load_dword v4, v[4:5], off
	s_waitcnt vmcnt(0)
	v_mul_f32_e32 v39, s0, v4
	v_add_co_u32 v4, vcc_lo, s8, v2
	v_add_co_ci_u32_e64 v5, null, s9, v3, vcc_lo
	s_mul_i32 s0, s2, s3
	v_add_nc_u32_e32 v0, s0, v0
	global_load_dword v4, v[4:5], off
	s_waitcnt vmcnt(0)
	v_mul_f32_e32 v38, s1, v4
	v_add_co_u32 v4, vcc_lo, s12, v2
	v_add_co_ci_u32_e64 v5, null, s13, v3, vcc_lo
	v_add_co_u32 v2, vcc_lo, s14, v2
	v_add_co_ci_u32_e64 v3, null, s15, v3, vcc_lo
	global_load_dword v4, v[4:5], off
	s_waitcnt vmcnt(0)
	v_mul_f32_e32 v5, 0x3efdf9cf, v4
	v_fma_f32 v40, 0x3efdf9cf, v4, 0
	global_store_dword v[2:3], v5, off
	v_lshlrev_b64 v[4:5], 2, v[0:1]
	v_add_nc_u32_e32 v0, s0, v0
	v_add_co_u32 v6, vcc_lo, s12, v4
	v_add_co_ci_u32_e64 v7, null, s13, v5, vcc_lo
	v_add_co_u32 v4, vcc_lo, s14, v4
	v_add_co_ci_u32_e64 v5, null, s15, v5, vcc_lo
	global_load_dword v6, v[6:7], off
	s_waitcnt vmcnt(0)
	v_mul_f32_e32 v7, 0x3f7df9cf, v6
	v_fmac_f32_e32 v40, 0x3f7df9cf, v6
	global_store_dword v[4:5], v7, off
	v_lshlrev_b64 v[6:7], 2, v[0:1]
	v_add_nc_u32_e32 v0, s0, v0
	v_add_co_u32 v8, vcc_lo, s12, v6
	v_add_co_ci_u32_e64 v9, null, s13, v7, vcc_lo
	v_add_co_u32 v6, vcc_lo, s14, v6
	v_add_co_ci_u32_e64 v7, null, s15, v7, vcc_lo
	global_load_dword v8, v[8:9], off
	s_waitcnt vmcnt(0)
	v_mul_f32_e32 v9, 0x3d80013b, v8
	v_fmac_f32_e32 v40, 0x3d80013b, v8
	;; [unrolled: 11-line block ×20, first 2 shown]
	global_store_dword v[34:35], v37, off
	v_lshlrev_b64 v[36:37], 2, v[0:1]
	v_add_co_u32 v41, vcc_lo, s12, v36
	v_add_co_ci_u32_e64 v42, null, s13, v37, vcc_lo
	v_add_co_u32 v36, vcc_lo, s14, v36
	v_add_co_ci_u32_e64 v37, null, s15, v37, vcc_lo
	global_load_dword v41, v[41:42], off
	s_waitcnt vmcnt(0)
	v_fmac_f32_e32 v40, 0x3d12373b, v41
	v_mul_f32_e32 v42, 0x3d12373b, v41
	v_mul_f32_e32 v39, v39, v40
	global_store_dword v[36:37], v42, off
	v_mul_f32_e32 v39, 0x4c9e9632, v39
	v_div_scale_f32 v40, null, v39, v39, 1.0
	v_rcp_f32_e32 v41, v40
	v_fma_f32 v42, -v40, v41, 1.0
	v_fmac_f32_e32 v41, v42, v41
	v_div_scale_f32 v42, vcc_lo, 1.0, v39, 1.0
	v_mul_f32_e32 v43, v42, v41
	v_fma_f32 v44, -v40, v43, v42
	v_fmac_f32_e32 v43, v44, v41
	v_fma_f32 v40, -v40, v43, v42
	v_div_fmas_f32 v40, v40, v41, v43
	v_div_fixup_f32 v39, v40, v39, 1.0
	v_mul_f32_e32 v38, v38, v39
	global_load_dword v39, v[2:3], off
	s_waitcnt vmcnt(0)
	v_max_f32_e32 v39, v39, v39
	v_max_f32_e32 v39, 0x800000, v39
	v_mul_f32_e32 v39, v38, v39
	global_store_dword v[2:3], v39, off
	global_load_dword v2, v[4:5], off
	s_waitcnt vmcnt(0)
	v_max_f32_e32 v2, v2, v2
	v_max_f32_e32 v2, 0x800000, v2
	v_mul_f32_e32 v2, v38, v2
	global_store_dword v[4:5], v2, off
	v_mad_u64_u32 v[2:3], null, 0xffffffed, s0, v[0:1]
	v_mov_b32_e32 v3, v1
	v_lshlrev_b64 v[3:4], 2, v[2:3]
	v_add_co_u32 v3, vcc_lo, s14, v3
	v_add_co_ci_u32_e64 v4, null, s15, v4, vcc_lo
	global_load_dword v0, v[3:4], off
	s_waitcnt vmcnt(0)
	v_max_f32_e32 v0, v0, v0
	v_max_f32_e32 v0, 0x800000, v0
	v_mul_f32_e32 v0, v38, v0
	global_store_dword v[3:4], v0, off
	global_load_dword v0, v[6:7], off
	s_waitcnt vmcnt(0)
	v_max_f32_e32 v0, v0, v0
	v_max_f32_e32 v0, 0x800000, v0
	v_mul_f32_e32 v0, v38, v0
	global_store_dword v[6:7], v0, off
	v_lshl_add_u32 v0, s0, 1, v2
	v_lshlrev_b64 v[2:3], 2, v[0:1]
	v_lshl_add_u32 v0, s0, 2, v0
	v_add_co_u32 v2, vcc_lo, s14, v2
	v_add_co_ci_u32_e64 v3, null, s15, v3, vcc_lo
	global_load_dword v4, v[2:3], off
	s_waitcnt vmcnt(0)
	v_max_f32_e32 v4, v4, v4
	v_max_f32_e32 v4, 0x800000, v4
	v_mul_f32_e32 v4, v38, v4
	global_store_dword v[2:3], v4, off
	global_load_dword v2, v[8:9], off
	s_waitcnt vmcnt(0)
	v_max_f32_e32 v2, v2, v2
	v_max_f32_e32 v2, 0x800000, v2
	v_mul_f32_e32 v2, v38, v2
	global_store_dword v[8:9], v2, off
	;; [unrolled: 6-line block ×4, first 2 shown]
	v_lshlrev_b64 v[2:3], 2, v[0:1]
	v_lshl_add_u32 v0, s0, 3, v0
	v_add_co_u32 v2, vcc_lo, s14, v2
	v_add_co_ci_u32_e64 v3, null, s15, v3, vcc_lo
	v_lshlrev_b64 v[0:1], 2, v[0:1]
	global_load_dword v4, v[2:3], off
	v_add_co_u32 v0, vcc_lo, s14, v0
	v_add_co_ci_u32_e64 v1, null, s15, v1, vcc_lo
	s_waitcnt vmcnt(0)
	v_max_f32_e32 v4, v4, v4
	v_max_f32_e32 v4, 0x800000, v4
	v_mul_f32_e32 v4, v38, v4
	global_store_dword v[2:3], v4, off
	global_load_dword v2, v[14:15], off
	s_waitcnt vmcnt(0)
	v_max_f32_e32 v2, v2, v2
	v_max_f32_e32 v2, 0x800000, v2
	v_mul_f32_e32 v2, v38, v2
	global_store_dword v[14:15], v2, off
	global_load_dword v2, v[16:17], off
	;; [unrolled: 6-line block ×13, first 2 shown]
	s_waitcnt vmcnt(0)
	v_max_f32_e32 v0, v0, v0
	v_max_f32_e32 v0, 0x800000, v0
	v_mul_f32_e32 v0, v38, v0
	global_store_dword v[36:37], v0, off
	s_endpgm
	.section	.rodata,"a",@progbits
	.p2align	6, 0x0
	.amdhsa_kernel _Z7gr_baseIfEvPKT_S2_S2_PS0_S0_S0_
		.amdhsa_group_segment_fixed_size 0
		.amdhsa_private_segment_fixed_size 0
		.amdhsa_kernarg_size 296
		.amdhsa_user_sgpr_count 6
		.amdhsa_user_sgpr_private_segment_buffer 1
		.amdhsa_user_sgpr_dispatch_ptr 0
		.amdhsa_user_sgpr_queue_ptr 0
		.amdhsa_user_sgpr_kernarg_segment_ptr 1
		.amdhsa_user_sgpr_dispatch_id 0
		.amdhsa_user_sgpr_flat_scratch_init 0
		.amdhsa_user_sgpr_private_segment_size 0
		.amdhsa_wavefront_size32 1
		.amdhsa_uses_dynamic_stack 0
		.amdhsa_system_sgpr_private_segment_wavefront_offset 0
		.amdhsa_system_sgpr_workgroup_id_x 1
		.amdhsa_system_sgpr_workgroup_id_y 0
		.amdhsa_system_sgpr_workgroup_id_z 0
		.amdhsa_system_sgpr_workgroup_info 0
		.amdhsa_system_vgpr_workitem_id 0
		.amdhsa_next_free_vgpr 45
		.amdhsa_next_free_sgpr 16
		.amdhsa_reserve_vcc 1
		.amdhsa_reserve_flat_scratch 0
		.amdhsa_float_round_mode_32 0
		.amdhsa_float_round_mode_16_64 0
		.amdhsa_float_denorm_mode_32 3
		.amdhsa_float_denorm_mode_16_64 3
		.amdhsa_dx10_clamp 1
		.amdhsa_ieee_mode 1
		.amdhsa_fp16_overflow 0
		.amdhsa_workgroup_processor_mode 1
		.amdhsa_memory_ordered 1
		.amdhsa_forward_progress 1
		.amdhsa_shared_vgpr_count 0
		.amdhsa_exception_fp_ieee_invalid_op 0
		.amdhsa_exception_fp_denorm_src 0
		.amdhsa_exception_fp_ieee_div_zero 0
		.amdhsa_exception_fp_ieee_overflow 0
		.amdhsa_exception_fp_ieee_underflow 0
		.amdhsa_exception_fp_ieee_inexact 0
		.amdhsa_exception_int_div_zero 0
	.end_amdhsa_kernel
	.section	.text._Z7gr_baseIfEvPKT_S2_S2_PS0_S0_S0_,"axG",@progbits,_Z7gr_baseIfEvPKT_S2_S2_PS0_S0_S0_,comdat
.Lfunc_end2:
	.size	_Z7gr_baseIfEvPKT_S2_S2_PS0_S0_S0_, .Lfunc_end2-_Z7gr_baseIfEvPKT_S2_S2_PS0_S0_S0_
                                        ; -- End function
	.set _Z7gr_baseIfEvPKT_S2_S2_PS0_S0_S0_.num_vgpr, 45
	.set _Z7gr_baseIfEvPKT_S2_S2_PS0_S0_S0_.num_agpr, 0
	.set _Z7gr_baseIfEvPKT_S2_S2_PS0_S0_S0_.numbered_sgpr, 16
	.set _Z7gr_baseIfEvPKT_S2_S2_PS0_S0_S0_.num_named_barrier, 0
	.set _Z7gr_baseIfEvPKT_S2_S2_PS0_S0_S0_.private_seg_size, 0
	.set _Z7gr_baseIfEvPKT_S2_S2_PS0_S0_S0_.uses_vcc, 1
	.set _Z7gr_baseIfEvPKT_S2_S2_PS0_S0_S0_.uses_flat_scratch, 0
	.set _Z7gr_baseIfEvPKT_S2_S2_PS0_S0_S0_.has_dyn_sized_stack, 0
	.set _Z7gr_baseIfEvPKT_S2_S2_PS0_S0_S0_.has_recursion, 0
	.set _Z7gr_baseIfEvPKT_S2_S2_PS0_S0_S0_.has_indirect_call, 0
	.section	.AMDGPU.csdata,"",@progbits
; Kernel info:
; codeLenInByte = 2908
; TotalNumSgprs: 18
; NumVgprs: 45
; ScratchSize: 0
; MemoryBound: 0
; FloatMode: 240
; IeeeMode: 1
; LDSByteSize: 0 bytes/workgroup (compile time only)
; SGPRBlocks: 0
; VGPRBlocks: 5
; NumSGPRsForWavesPerEU: 18
; NumVGPRsForWavesPerEU: 45
; Occupancy: 16
; WaveLimiterHint : 0
; COMPUTE_PGM_RSRC2:SCRATCH_EN: 0
; COMPUTE_PGM_RSRC2:USER_SGPR: 6
; COMPUTE_PGM_RSRC2:TRAP_HANDLER: 0
; COMPUTE_PGM_RSRC2:TGID_X_EN: 1
; COMPUTE_PGM_RSRC2:TGID_Y_EN: 0
; COMPUTE_PGM_RSRC2:TGID_Z_EN: 0
; COMPUTE_PGM_RSRC2:TIDIG_COMP_CNT: 0
	.section	.text._Z12ratt2_kernelIfEvPKT_S2_PS0_S2_S0_,"axG",@progbits,_Z12ratt2_kernelIfEvPKT_S2_PS0_S2_S0_,comdat
	.protected	_Z12ratt2_kernelIfEvPKT_S2_PS0_S2_S0_ ; -- Begin function _Z12ratt2_kernelIfEvPKT_S2_PS0_S2_S0_
	.globl	_Z12ratt2_kernelIfEvPKT_S2_PS0_S2_S0_
	.p2align	8
	.type	_Z12ratt2_kernelIfEvPKT_S2_PS0_S2_S0_,@function
_Z12ratt2_kernelIfEvPKT_S2_PS0_S2_S0_:  ; @_Z12ratt2_kernelIfEvPKT_S2_PS0_S2_S0_
; %bb.0:
	s_clause 0x3
	s_load_dwordx8 s[8:15], s[4:5], 0x0
	s_load_dword s0, s[4:5], 0x20
	s_load_dword s1, s[4:5], 0x28
	;; [unrolled: 1-line block ×3, first 2 shown]
	s_waitcnt lgkmcnt(0)
	s_and_b32 s2, s2, 0xffff
	v_mad_u64_u32 v[0:1], null, s6, s2, v[0:1]
	v_mov_b32_e32 v1, 0
	v_lshlrev_b64 v[2:3], 2, v[0:1]
	v_add_co_u32 v4, vcc_lo, s8, v2
	v_add_co_ci_u32_e64 v5, null, s9, v3, vcc_lo
	global_load_dword v4, v[4:5], off
	s_waitcnt vmcnt(0)
	v_mul_f32_e32 v4, s0, v4
	s_mul_i32 s0, s1, s2
	s_lshl_b32 s1, s0, 1
	v_mul_f32_e32 v4, 0x4c9e9632, v4
	v_div_scale_f32 v5, null, v4, v4, 1.0
	v_rcp_f32_e32 v6, v5
	v_fma_f32 v7, -v5, v6, 1.0
	v_fmac_f32_e32 v6, v7, v6
	v_div_scale_f32 v7, vcc_lo, 1.0, v4, 1.0
	v_mul_f32_e32 v8, v7, v6
	v_fma_f32 v9, -v5, v8, v7
	v_fmac_f32_e32 v8, v9, v6
	v_fma_f32 v5, -v5, v8, v7
	v_div_fmas_f32 v5, v5, v6, v8
	v_div_fixup_f32 v4, v5, v4, 1.0
	v_mov_b32_e32 v5, v1
	v_mul_f32_e32 v20, 0x49776020, v4
	v_add_nc_u32_e32 v4, s0, v0
	v_add_nc_u32_e32 v0, s1, v0
	v_lshlrev_b64 v[8:9], 2, v[4:5]
	v_add_nc_u32_e32 v4, s1, v4
	v_lshlrev_b64 v[28:29], 2, v[0:1]
	;; [unrolled: 2-line block ×3, first 2 shown]
	v_add_co_u32 v12, vcc_lo, s14, v8
	v_lshlrev_b64 v[14:15], 2, v[0:1]
	v_add_co_ci_u32_e64 v13, null, s15, v9, vcc_lo
	v_add_co_u32 v4, vcc_lo, s14, v16
	v_add_co_ci_u32_e64 v5, null, s15, v17, vcc_lo
	v_add_co_u32 v6, vcc_lo, s14, v28
	;; [unrolled: 2-line block ×3, first 2 shown]
	v_add_co_ci_u32_e64 v11, null, s15, v15, vcc_lo
	s_clause 0x5
	global_load_dword v18, v[12:13], off
	global_load_dword v19, v[4:5], off
	;; [unrolled: 1-line block ×6, first 2 shown]
	v_add_nc_u32_e32 v0, s0, v0
	global_load_dword v12, v[12:13], off
	s_waitcnt vmcnt(5)
	v_mul_f32_e32 v22, v18, v19
	s_waitcnt vmcnt(3)
	v_mul_f32_e32 v21, v24, v25
	;; [unrolled: 2-line block ×3, first 2 shown]
	v_div_scale_f32 v23, null, v21, v21, 1.0
	v_rcp_f32_e32 v26, v23
	v_fma_f32 v27, -v23, v26, 1.0
	v_fmac_f32_e32 v26, v27, v26
	v_div_scale_f32 v27, vcc_lo, 1.0, v21, 1.0
	v_mul_f32_e32 v30, v27, v26
	v_fma_f32 v31, -v23, v30, v27
	v_fmac_f32_e32 v30, v31, v26
	v_fma_f32 v23, -v23, v30, v27
	v_div_fmas_f32 v23, v23, v26, v30
	v_add_co_u32 v26, vcc_lo, s10, v2
	v_add_co_ci_u32_e64 v27, null, s11, v3, vcc_lo
	v_div_fixup_f32 v21, v23, v21, 1.0
	global_load_dword v23, v[26:27], off
	v_add_co_u32 v26, vcc_lo, s12, v2
	v_mul_f32_e32 v21, v22, v21
	v_add_co_ci_u32_e64 v27, null, s13, v3, vcc_lo
	v_add_co_u32 v2, vcc_lo, s14, v2
	v_min_f32_e32 v21, 0x7cf0bdc2, v21
	v_add_co_ci_u32_e64 v3, null, s15, v3, vcc_lo
	v_mul_f32_e32 v22, v22, v20
	s_waitcnt vmcnt(0)
	v_mul_f32_e32 v21, v23, v21
	global_store_dword v[26:27], v21, off
	global_load_dword v21, v[2:3], off
	v_mul_f32_e32 v27, v18, v25
	global_load_dword v2, v[2:3], off
	v_div_scale_f32 v26, null, v27, v27, 1.0
	v_rcp_f32_e32 v30, v26
	v_fma_f32 v31, -v26, v30, 1.0
	v_fmac_f32_e32 v30, v31, v30
	v_div_scale_f32 v31, vcc_lo, 1.0, v27, 1.0
	v_mul_f32_e32 v32, v31, v30
	v_fma_f32 v33, -v26, v32, v31
	v_fmac_f32_e32 v32, v33, v30
	v_fma_f32 v26, -v26, v32, v31
	v_div_fmas_f32 v26, v26, v30, v32
	v_add_co_u32 v30, vcc_lo, s10, v8
	v_add_co_ci_u32_e64 v31, null, s11, v9, vcc_lo
	v_div_fixup_f32 v26, v26, v27, 1.0
	v_add_co_u32 v8, vcc_lo, s12, v8
	v_add_co_ci_u32_e64 v9, null, s13, v9, vcc_lo
	v_mul_f32_e32 v27, v20, v27
	s_waitcnt vmcnt(1)
	v_mul_f32_e32 v23, v24, v21
	v_mul_f32_e32 v23, v26, v23
	global_load_dword v26, v[30:31], off
	v_lshlrev_b64 v[30:31], 2, v[0:1]
	v_add_nc_u32_e32 v0, s0, v0
	v_min_f32_e32 v23, 0x7cf0bdc2, v23
	s_waitcnt vmcnt(0)
	v_mul_f32_e32 v23, v26, v23
	global_store_dword v[8:9], v23, off
	v_add_co_u32 v8, vcc_lo, s14, v30
	v_add_co_ci_u32_e64 v9, null, s15, v31, vcc_lo
	v_mul_f32_e32 v23, v25, v21
	global_load_dword v34, v[8:9], off
	s_waitcnt vmcnt(0)
	v_mul_f32_e32 v26, v18, v34
	v_div_scale_f32 v32, null, v26, v26, 1.0
	v_rcp_f32_e32 v33, v32
	v_fma_f32 v35, -v32, v33, 1.0
	v_fmac_f32_e32 v33, v35, v33
	v_div_scale_f32 v35, vcc_lo, 1.0, v26, 1.0
	v_mul_f32_e32 v36, v35, v33
	v_fma_f32 v37, -v32, v36, v35
	v_fmac_f32_e32 v36, v37, v33
	v_fma_f32 v32, -v32, v36, v35
	v_div_fmas_f32 v32, v32, v33, v36
	v_div_fixup_f32 v26, v32, v26, 1.0
	v_add_co_u32 v32, vcc_lo, s10, v28
	v_add_co_ci_u32_e64 v33, null, s11, v29, vcc_lo
	v_mul_f32_e32 v23, v23, v26
	v_add_co_u32 v28, vcc_lo, s12, v28
	global_load_dword v26, v[32:33], off
	v_add_co_ci_u32_e64 v29, null, s13, v29, vcc_lo
	v_min_f32_e32 v23, 0x7cf0bdc2, v23
	s_waitcnt vmcnt(0)
	v_mul_f32_e32 v23, v26, v23
	v_mul_f32_e32 v26, v25, v25
	global_store_dword v[28:29], v23, off
	v_mul_f32_e32 v23, v24, v34
	v_div_scale_f32 v28, null, v23, v23, 1.0
	v_rcp_f32_e32 v29, v28
	v_fma_f32 v32, -v28, v29, 1.0
	v_fmac_f32_e32 v29, v32, v29
	v_div_scale_f32 v32, vcc_lo, 1.0, v23, 1.0
	v_mul_f32_e32 v33, v32, v29
	v_fma_f32 v35, -v28, v33, v32
	v_fmac_f32_e32 v33, v35, v29
	v_fma_f32 v28, -v28, v33, v32
	v_div_fmas_f32 v28, v28, v29, v33
	v_div_fixup_f32 v23, v28, v23, 1.0
	v_add_co_u32 v28, vcc_lo, s10, v16
	v_add_co_ci_u32_e64 v29, null, s11, v17, vcc_lo
	v_mul_f32_e32 v32, v26, v23
	v_add_co_u32 v16, vcc_lo, s12, v16
	global_load_dword v28, v[28:29], off
	v_add_co_ci_u32_e64 v17, null, s13, v17, vcc_lo
	v_min_f32_e32 v29, 0x7cf0bdc2, v32
	s_waitcnt vmcnt(0)
	v_mul_f32_e32 v28, v28, v29
	global_store_dword v[16:17], v28, off
	v_div_scale_f32 v17, null, v21, v21, 1.0
	v_mul_f32_e32 v16, v18, v18
	v_rcp_f32_e32 v28, v17
	v_mul_f32_e32 v16, v16, v20
	v_fma_f32 v29, -v17, v28, 1.0
	v_fmac_f32_e32 v28, v29, v28
	v_div_scale_f32 v29, vcc_lo, 1.0, v21, 1.0
	v_mul_f32_e32 v32, v29, v28
	v_fma_f32 v33, -v17, v32, v29
	v_fmac_f32_e32 v32, v33, v28
	v_fma_f32 v17, -v17, v32, v29
	v_div_fmas_f32 v17, v17, v28, v32
	v_div_fixup_f32 v17, v17, v21, 1.0
	v_mul_f32_e32 v28, v16, v17
	v_add_co_u32 v16, vcc_lo, s10, v14
	v_add_co_ci_u32_e64 v17, null, s11, v15, vcc_lo
	v_min_f32_e32 v32, 0x7cf0bdc2, v28
	v_add_co_u32 v14, vcc_lo, s12, v14
	global_load_dword v16, v[16:17], off
	v_add_co_ci_u32_e64 v15, null, s13, v15, vcc_lo
	s_waitcnt vmcnt(0)
	v_mul_f32_e32 v16, v32, v16
	global_store_dword v[14:15], v16, off
	v_add_co_u32 v14, vcc_lo, s10, v30
	v_add_co_ci_u32_e64 v15, null, s11, v31, vcc_lo
	global_load_dword v14, v[14:15], off
	s_waitcnt vmcnt(0)
	v_mul_f32_e32 v16, v32, v14
	v_add_co_u32 v14, vcc_lo, s12, v30
	v_add_co_ci_u32_e64 v15, null, s13, v31, vcc_lo
	global_store_dword v[14:15], v16, off
	v_lshlrev_b64 v[16:17], 2, v[0:1]
	v_add_nc_u32_e32 v0, s0, v0
	v_add_co_u32 v14, vcc_lo, s10, v16
	v_add_co_ci_u32_e64 v15, null, s11, v17, vcc_lo
	global_load_dword v14, v[14:15], off
	s_waitcnt vmcnt(0)
	v_mul_f32_e32 v28, v32, v14
	v_add_co_u32 v14, vcc_lo, s12, v16
	v_add_co_ci_u32_e64 v15, null, s13, v17, vcc_lo
	global_store_dword v[14:15], v28, off
	v_lshlrev_b64 v[14:15], 2, v[0:1]
	v_add_nc_u32_e32 v0, s0, v0
	v_add_co_u32 v28, vcc_lo, s10, v14
	v_add_co_ci_u32_e64 v29, null, s11, v15, vcc_lo
	global_load_dword v28, v[28:29], off
	s_waitcnt vmcnt(0)
	v_mul_f32_e32 v30, v32, v28
	v_add_co_u32 v28, vcc_lo, s12, v14
	v_add_co_ci_u32_e64 v29, null, s13, v15, vcc_lo
	global_store_dword v[28:29], v30, off
	v_div_scale_f32 v28, null, v34, v34, 1.0
	v_rcp_f32_e32 v29, v28
	v_fma_f32 v30, -v28, v29, 1.0
	v_fmac_f32_e32 v29, v30, v29
	v_div_scale_f32 v30, vcc_lo, 1.0, v34, 1.0
	v_mul_f32_e32 v31, v30, v29
	v_fma_f32 v32, -v28, v31, v30
	v_fmac_f32_e32 v31, v32, v29
	v_fma_f32 v28, -v28, v31, v30
	v_div_fmas_f32 v28, v28, v29, v31
	v_div_fixup_f32 v28, v28, v34, 1.0
	v_mul_f32_e32 v31, v27, v28
	v_lshlrev_b64 v[27:28], 2, v[0:1]
	v_add_nc_u32_e32 v0, s0, v0
	v_add_co_u32 v29, vcc_lo, s10, v27
	v_add_co_ci_u32_e64 v30, null, s11, v28, vcc_lo
	v_add_co_u32 v27, vcc_lo, s12, v27
	v_add_co_ci_u32_e64 v28, null, s13, v28, vcc_lo
	global_load_dword v29, v[29:30], off
	v_min_f32_e32 v30, 0x7cf0bdc2, v31
	s_waitcnt vmcnt(0)
	v_mul_f32_e32 v29, v30, v29
	global_store_dword v[27:28], v29, off
	v_div_scale_f32 v28, null, v25, v25, 1.0
	v_mul_f32_e32 v27, v18, v24
	v_mul_f32_e32 v24, v24, v24
	v_rcp_f32_e32 v29, v28
	v_mul_f32_e32 v27, v27, v20
	v_mul_f32_e32 v24, v24, v20
	v_fma_f32 v30, -v28, v29, 1.0
	v_fmac_f32_e32 v29, v30, v29
	v_div_scale_f32 v30, vcc_lo, 1.0, v25, 1.0
	v_mul_f32_e32 v31, v30, v29
	v_fma_f32 v32, -v28, v31, v30
	v_fmac_f32_e32 v31, v32, v29
	v_fma_f32 v28, -v28, v31, v30
	v_div_fmas_f32 v28, v28, v29, v31
	v_div_fixup_f32 v25, v28, v25, 1.0
	v_mul_f32_e32 v25, v27, v25
	v_lshlrev_b64 v[27:28], 2, v[0:1]
	v_add_nc_u32_e32 v0, s0, v0
	v_min_f32_e32 v25, 0x7cf0bdc2, v25
	v_add_co_u32 v29, vcc_lo, s10, v27
	v_add_co_ci_u32_e64 v30, null, s11, v28, vcc_lo
	v_add_co_u32 v27, vcc_lo, s12, v27
	v_add_co_ci_u32_e64 v28, null, s13, v28, vcc_lo
	global_load_dword v29, v[29:30], off
	s_waitcnt vmcnt(0)
	v_mul_f32_e32 v25, v25, v29
	global_store_dword v[27:28], v25, off
	v_div_scale_f32 v25, null, v19, v19, 1.0
	v_rcp_f32_e32 v27, v25
	v_fma_f32 v28, -v25, v27, 1.0
	v_fmac_f32_e32 v27, v28, v27
	v_div_scale_f32 v28, vcc_lo, 1.0, v19, 1.0
	v_mul_f32_e32 v29, v28, v27
	v_fma_f32 v30, -v25, v29, v28
	v_fmac_f32_e32 v29, v30, v27
	v_fma_f32 v25, -v25, v29, v28
	v_div_fmas_f32 v25, v25, v27, v29
	v_div_fixup_f32 v25, v25, v19, 1.0
	v_mul_f32_e32 v29, v25, v24
	v_lshlrev_b64 v[24:25], 2, v[0:1]
	v_add_nc_u32_e32 v0, s0, v0
	v_add_co_u32 v27, vcc_lo, s10, v24
	v_add_co_ci_u32_e64 v28, null, s11, v25, vcc_lo
	v_add_co_u32 v24, vcc_lo, s12, v24
	v_add_co_ci_u32_e64 v25, null, s13, v25, vcc_lo
	;; [unrolled: 2-line block ×3, first 2 shown]
	global_load_dword v27, v[27:28], off
	v_min_f32_e32 v28, 0x7cf0bdc2, v29
	global_load_dword v16, v[16:17], off
	s_waitcnt vmcnt(1)
	v_mul_f32_e32 v27, v28, v27
	s_waitcnt vmcnt(0)
	v_div_scale_f32 v17, null, v16, v16, 1.0
	global_store_dword v[24:25], v27, off
	v_mul_f32_e32 v13, v12, v16
	v_mul_f32_e32 v6, v6, v16
	v_rcp_f32_e32 v24, v17
	v_mul_f32_e32 v2, v2, v16
	v_div_scale_f32 v3, null, v2, v2, 1.0
	v_fma_f32 v25, -v17, v24, 1.0
	v_fmac_f32_e32 v24, v25, v24
	v_div_scale_f32 v25, vcc_lo, 1.0, v16, 1.0
	v_mul_f32_e32 v27, v25, v24
	v_fma_f32 v28, -v17, v27, v25
	v_fmac_f32_e32 v27, v28, v24
	v_fma_f32 v17, -v17, v27, v25
	v_div_fmas_f32 v17, v17, v24, v27
	v_lshlrev_b64 v[24:25], 2, v[0:1]
	v_add_nc_u32_e32 v0, s0, v0
	v_div_fixup_f32 v17, v17, v16, 1.0
	v_add_co_u32 v27, vcc_lo, s10, v24
	v_add_co_ci_u32_e64 v28, null, s11, v25, vcc_lo
	v_mul_f32_e32 v17, v22, v17
	v_add_co_u32 v24, vcc_lo, s12, v24
	global_load_dword v22, v[27:28], off
	v_add_co_ci_u32_e64 v25, null, s13, v25, vcc_lo
	v_min_f32_e32 v17, 0x7cf0bdc2, v17
	s_waitcnt vmcnt(0)
	v_mul_f32_e32 v22, v22, v17
	global_store_dword v[24:25], v22, off
	v_lshlrev_b64 v[24:25], 2, v[0:1]
	v_add_nc_u32_e32 v0, s0, v0
	v_add_co_u32 v27, vcc_lo, s10, v24
	v_add_co_ci_u32_e64 v28, null, s11, v25, vcc_lo
	v_add_co_u32 v24, vcc_lo, s12, v24
	v_add_co_ci_u32_e64 v25, null, s13, v25, vcc_lo
	global_load_dword v22, v[27:28], off
	s_waitcnt vmcnt(0)
	v_mul_f32_e32 v22, v22, v17
	global_store_dword v[24:25], v22, off
	v_lshlrev_b64 v[24:25], 2, v[0:1]
	v_add_nc_u32_e32 v0, s0, v0
	v_add_co_u32 v27, vcc_lo, s10, v24
	v_add_co_ci_u32_e64 v28, null, s11, v25, vcc_lo
	v_add_co_u32 v24, vcc_lo, s12, v24
	v_add_co_ci_u32_e64 v25, null, s13, v25, vcc_lo
	global_load_dword v22, v[27:28], off
	s_waitcnt vmcnt(0)
	v_mul_f32_e32 v22, v17, v22
	global_store_dword v[24:25], v22, off
	v_lshlrev_b64 v[24:25], 2, v[0:1]
	v_add_nc_u32_e32 v0, s0, v0
	v_add_co_u32 v27, vcc_lo, s10, v24
	v_add_co_ci_u32_e64 v28, null, s11, v25, vcc_lo
	v_add_co_u32 v24, vcc_lo, s12, v24
	v_add_co_ci_u32_e64 v25, null, s13, v25, vcc_lo
	;; [unrolled: 2-line block ×3, first 2 shown]
	global_load_dword v22, v[27:28], off
	global_load_dword v14, v[14:15], off
	s_waitcnt vmcnt(1)
	v_mul_f32_e32 v17, v17, v22
	s_waitcnt vmcnt(0)
	v_div_scale_f32 v15, null, v14, v14, 1.0
	global_store_dword v[24:25], v17, off
	v_mul_f32_e32 v17, v20, v26
	v_rcp_f32_e32 v20, v15
	v_fma_f32 v22, -v15, v20, 1.0
	v_fmac_f32_e32 v20, v22, v20
	v_div_scale_f32 v22, vcc_lo, 1.0, v14, 1.0
	v_mul_f32_e32 v24, v22, v20
	v_fma_f32 v25, -v15, v24, v22
	v_fmac_f32_e32 v24, v25, v20
	v_fma_f32 v15, -v15, v24, v22
	v_div_fmas_f32 v15, v15, v20, v24
	v_lshlrev_b64 v[24:25], 2, v[0:1]
	v_add_nc_u32_e32 v0, s0, v0
	v_div_fixup_f32 v15, v15, v14, 1.0
	v_add_co_u32 v26, vcc_lo, s10, v24
	v_add_co_ci_u32_e64 v27, null, s11, v25, vcc_lo
	v_mul_f32_e32 v15, v17, v15
	v_add_co_u32 v24, vcc_lo, s12, v24
	global_load_dword v17, v[26:27], off
	v_add_co_ci_u32_e64 v25, null, s13, v25, vcc_lo
	v_min_f32_e32 v15, 0x7cf0bdc2, v15
	s_waitcnt vmcnt(0)
	v_mul_f32_e32 v15, v17, v15
	global_store_dword v[24:25], v15, off
	v_mul_f32_e32 v15, v18, v16
	v_lshlrev_b64 v[17:18], 2, v[0:1]
	v_add_nc_u32_e32 v0, s0, v0
	v_mul_f32_e32 v20, v23, v15
	v_add_co_u32 v22, vcc_lo, s10, v17
	v_add_co_ci_u32_e64 v23, null, s11, v18, vcc_lo
	v_min_f32_e32 v20, 0x7cf0bdc2, v20
	v_add_co_u32 v17, vcc_lo, s12, v17
	global_load_dword v22, v[22:23], off
	v_add_co_ci_u32_e64 v18, null, s13, v18, vcc_lo
	s_waitcnt vmcnt(0)
	v_mul_f32_e32 v20, v20, v22
	global_store_dword v[17:18], v20, off
	v_mul_f32_e32 v17, v19, v21
	v_div_scale_f32 v18, null, v17, v17, 1.0
	v_rcp_f32_e32 v19, v18
	v_fma_f32 v20, -v18, v19, 1.0
	v_fmac_f32_e32 v19, v20, v19
	v_div_scale_f32 v20, vcc_lo, 1.0, v17, 1.0
	v_mul_f32_e32 v21, v20, v19
	v_fma_f32 v22, -v18, v21, v20
	v_fmac_f32_e32 v21, v22, v19
	v_fma_f32 v18, -v18, v21, v20
	v_div_fmas_f32 v18, v18, v19, v21
	v_div_fixup_f32 v17, v18, v17, 1.0
	v_mul_f32_e32 v15, v17, v15
	v_lshlrev_b64 v[17:18], 2, v[0:1]
	v_add_nc_u32_e32 v0, s0, v0
	v_min_f32_e32 v15, 0x7cf0bdc2, v15
	v_add_co_u32 v19, vcc_lo, s10, v17
	v_add_co_ci_u32_e64 v20, null, s11, v18, vcc_lo
	v_add_co_u32 v17, vcc_lo, s12, v17
	v_add_co_ci_u32_e64 v18, null, s13, v18, vcc_lo
	global_load_dword v19, v[19:20], off
	s_waitcnt vmcnt(0)
	v_mul_f32_e32 v15, v15, v19
	global_store_dword v[17:18], v15, off
	v_div_scale_f32 v15, null, v11, v11, 1.0
	v_rcp_f32_e32 v17, v15
	v_fma_f32 v18, -v15, v17, 1.0
	v_fmac_f32_e32 v17, v18, v17
	v_div_scale_f32 v18, vcc_lo, 1.0, v11, 1.0
	v_mul_f32_e32 v19, v18, v17
	v_fma_f32 v20, -v15, v19, v18
	v_fmac_f32_e32 v19, v20, v17
	v_fma_f32 v15, -v15, v19, v18
	v_div_fmas_f32 v15, v15, v17, v19
	v_lshlrev_b64 v[17:18], 2, v[0:1]
	v_add_nc_u32_e32 v0, s0, v0
	v_div_fixup_f32 v11, v15, v11, 1.0
	v_add_co_u32 v19, vcc_lo, s10, v17
	v_add_co_ci_u32_e64 v20, null, s11, v18, vcc_lo
	v_mul_f32_e32 v11, v13, v11
	v_add_co_u32 v17, vcc_lo, s12, v17
	global_load_dword v13, v[19:20], off
	v_add_co_ci_u32_e64 v18, null, s13, v18, vcc_lo
	v_min_f32_e32 v11, 0x7cf0bdc2, v11
	s_waitcnt vmcnt(0)
	v_mul_f32_e32 v11, v13, v11
	global_store_dword v[17:18], v11, off
	global_load_dword v11, v[4:5], off
	s_waitcnt vmcnt(0)
	v_mul_f32_e32 v4, v11, v10
	v_div_scale_f32 v5, null, v4, v4, 1.0
	v_rcp_f32_e32 v7, v5
	v_fma_f32 v13, -v5, v7, 1.0
	v_fmac_f32_e32 v7, v13, v7
	v_div_scale_f32 v13, vcc_lo, 1.0, v4, 1.0
	v_mul_f32_e32 v15, v13, v7
	v_fma_f32 v17, -v5, v15, v13
	v_fmac_f32_e32 v15, v17, v7
	v_fma_f32 v5, -v5, v15, v13
	v_div_fmas_f32 v5, v5, v7, v15
	v_div_fixup_f32 v4, v5, v4, 1.0
	v_mul_f32_e32 v13, v6, v4
	v_lshlrev_b64 v[4:5], 2, v[0:1]
	v_add_nc_u32_e32 v0, s0, v0
	v_add_co_u32 v6, vcc_lo, s10, v4
	v_add_co_ci_u32_e64 v7, null, s11, v5, vcc_lo
	v_add_co_u32 v4, vcc_lo, s12, v4
	v_add_co_ci_u32_e64 v5, null, s13, v5, vcc_lo
	global_load_dword v6, v[6:7], off
	v_min_f32_e32 v7, 0x7cf0bdc2, v13
	s_waitcnt vmcnt(0)
	v_mul_f32_e32 v6, v6, v7
	global_store_dword v[4:5], v6, off
	global_load_dword v4, v[8:9], off
	v_mul_f32_e32 v5, v10, v16
	s_waitcnt vmcnt(0)
	v_mul_f32_e32 v6, v11, v4
	v_div_scale_f32 v7, null, v6, v6, 1.0
	v_rcp_f32_e32 v8, v7
	v_fma_f32 v9, -v7, v8, 1.0
	v_fmac_f32_e32 v8, v9, v8
	v_div_scale_f32 v9, vcc_lo, 1.0, v6, 1.0
	v_mul_f32_e32 v13, v9, v8
	v_fma_f32 v15, -v7, v13, v9
	v_fmac_f32_e32 v13, v15, v8
	v_fma_f32 v7, -v7, v13, v9
	v_div_fmas_f32 v7, v7, v8, v13
	v_div_fixup_f32 v6, v7, v6, 1.0
	v_mul_f32_e32 v9, v5, v6
	v_lshlrev_b64 v[5:6], 2, v[0:1]
	v_add_nc_u32_e32 v0, s0, v0
	v_add_co_u32 v7, vcc_lo, s10, v5
	v_add_co_ci_u32_e64 v8, null, s11, v6, vcc_lo
	v_add_co_u32 v5, vcc_lo, s12, v5
	v_add_co_ci_u32_e64 v6, null, s13, v6, vcc_lo
	global_load_dword v7, v[7:8], off
	v_min_f32_e32 v8, 0x7cf0bdc2, v9
	s_waitcnt vmcnt(0)
	v_mul_f32_e32 v7, v7, v8
	global_store_dword v[5:6], v7, off
	v_mul_f32_e32 v6, v11, v14
	v_mul_f32_e32 v5, v16, v16
	v_div_scale_f32 v7, null, v6, v6, 1.0
	v_rcp_f32_e32 v8, v7
	v_fma_f32 v9, -v7, v8, 1.0
	v_fmac_f32_e32 v8, v9, v8
	v_div_scale_f32 v9, vcc_lo, 1.0, v6, 1.0
	v_mul_f32_e32 v11, v9, v8
	v_fma_f32 v13, -v7, v11, v9
	v_fmac_f32_e32 v11, v13, v8
	v_fma_f32 v7, -v7, v11, v9
	v_div_fmas_f32 v7, v7, v8, v11
	v_div_fixup_f32 v6, v7, v6, 1.0
	v_mul_f32_e32 v9, v5, v6
	v_lshlrev_b64 v[5:6], 2, v[0:1]
	v_add_nc_u32_e32 v0, s0, v0
	v_min_f32_e32 v9, 0x7cf0bdc2, v9
	v_add_co_u32 v7, vcc_lo, s10, v5
	v_add_co_ci_u32_e64 v8, null, s11, v6, vcc_lo
	v_add_co_u32 v5, vcc_lo, s12, v5
	v_add_co_ci_u32_e64 v6, null, s13, v6, vcc_lo
	global_load_dword v7, v[7:8], off
	s_waitcnt vmcnt(0)
	v_mul_f32_e32 v7, v7, v9
	global_store_dword v[5:6], v7, off
	v_lshlrev_b64 v[5:6], 2, v[0:1]
	v_add_nc_u32_e32 v0, s0, v0
	v_add_co_u32 v7, vcc_lo, s10, v5
	v_add_co_ci_u32_e64 v8, null, s11, v6, vcc_lo
	v_add_co_u32 v5, vcc_lo, s12, v5
	v_add_co_ci_u32_e64 v6, null, s13, v6, vcc_lo
	global_load_dword v7, v[7:8], off
	s_waitcnt vmcnt(0)
	v_mul_f32_e32 v7, v7, v9
	global_store_dword v[5:6], v7, off
	v_rcp_f32_e32 v6, v3
	v_mul_f32_e32 v5, v12, v14
	v_fma_f32 v7, -v3, v6, 1.0
	v_fmac_f32_e32 v6, v7, v6
	v_div_scale_f32 v7, vcc_lo, 1.0, v2, 1.0
	v_mul_f32_e32 v8, v7, v6
	v_fma_f32 v9, -v3, v8, v7
	v_fmac_f32_e32 v8, v9, v6
	v_fma_f32 v3, -v3, v8, v7
	v_div_fmas_f32 v3, v3, v6, v8
	v_div_fixup_f32 v2, v3, v2, 1.0
	v_mul_f32_e32 v8, v5, v2
	v_lshlrev_b64 v[2:3], 2, v[0:1]
	v_add_nc_u32_e32 v0, s0, v0
	v_add_co_u32 v6, vcc_lo, s10, v2
	v_add_co_ci_u32_e64 v7, null, s11, v3, vcc_lo
	v_add_co_u32 v2, vcc_lo, s12, v2
	v_add_co_ci_u32_e64 v3, null, s13, v3, vcc_lo
	global_load_dword v6, v[6:7], off
	v_min_f32_e32 v7, 0x7cf0bdc2, v8
	v_lshlrev_b64 v[0:1], 2, v[0:1]
	s_waitcnt vmcnt(0)
	v_mul_f32_e32 v6, v6, v7
	global_store_dword v[2:3], v6, off
	v_mul_f32_e32 v2, v10, v4
	v_div_scale_f32 v3, null, v2, v2, 1.0
	v_rcp_f32_e32 v4, v3
	v_fma_f32 v6, -v3, v4, 1.0
	v_fmac_f32_e32 v4, v6, v4
	v_div_scale_f32 v6, vcc_lo, 1.0, v2, 1.0
	v_mul_f32_e32 v7, v6, v4
	v_fma_f32 v8, -v3, v7, v6
	v_fmac_f32_e32 v7, v8, v4
	v_fma_f32 v3, -v3, v7, v6
	v_div_fmas_f32 v3, v3, v4, v7
	v_div_fixup_f32 v2, v3, v2, 1.0
	v_mul_f32_e32 v4, v5, v2
	v_add_co_u32 v2, vcc_lo, s10, v0
	v_add_co_ci_u32_e64 v3, null, s11, v1, vcc_lo
	v_add_co_u32 v0, vcc_lo, s12, v0
	v_add_co_ci_u32_e64 v1, null, s13, v1, vcc_lo
	global_load_dword v2, v[2:3], off
	v_min_f32_e32 v3, 0x7cf0bdc2, v4
	s_waitcnt vmcnt(0)
	v_mul_f32_e32 v2, v2, v3
	global_store_dword v[0:1], v2, off
	s_endpgm
	.section	.rodata,"a",@progbits
	.p2align	6, 0x0
	.amdhsa_kernel _Z12ratt2_kernelIfEvPKT_S2_PS0_S2_S0_
		.amdhsa_group_segment_fixed_size 0
		.amdhsa_private_segment_fixed_size 0
		.amdhsa_kernarg_size 296
		.amdhsa_user_sgpr_count 6
		.amdhsa_user_sgpr_private_segment_buffer 1
		.amdhsa_user_sgpr_dispatch_ptr 0
		.amdhsa_user_sgpr_queue_ptr 0
		.amdhsa_user_sgpr_kernarg_segment_ptr 1
		.amdhsa_user_sgpr_dispatch_id 0
		.amdhsa_user_sgpr_flat_scratch_init 0
		.amdhsa_user_sgpr_private_segment_size 0
		.amdhsa_wavefront_size32 1
		.amdhsa_uses_dynamic_stack 0
		.amdhsa_system_sgpr_private_segment_wavefront_offset 0
		.amdhsa_system_sgpr_workgroup_id_x 1
		.amdhsa_system_sgpr_workgroup_id_y 0
		.amdhsa_system_sgpr_workgroup_id_z 0
		.amdhsa_system_sgpr_workgroup_info 0
		.amdhsa_system_vgpr_workitem_id 0
		.amdhsa_next_free_vgpr 38
		.amdhsa_next_free_sgpr 16
		.amdhsa_reserve_vcc 1
		.amdhsa_reserve_flat_scratch 0
		.amdhsa_float_round_mode_32 0
		.amdhsa_float_round_mode_16_64 0
		.amdhsa_float_denorm_mode_32 3
		.amdhsa_float_denorm_mode_16_64 3
		.amdhsa_dx10_clamp 1
		.amdhsa_ieee_mode 1
		.amdhsa_fp16_overflow 0
		.amdhsa_workgroup_processor_mode 1
		.amdhsa_memory_ordered 1
		.amdhsa_forward_progress 1
		.amdhsa_shared_vgpr_count 0
		.amdhsa_exception_fp_ieee_invalid_op 0
		.amdhsa_exception_fp_denorm_src 0
		.amdhsa_exception_fp_ieee_div_zero 0
		.amdhsa_exception_fp_ieee_overflow 0
		.amdhsa_exception_fp_ieee_underflow 0
		.amdhsa_exception_fp_ieee_inexact 0
		.amdhsa_exception_int_div_zero 0
	.end_amdhsa_kernel
	.section	.text._Z12ratt2_kernelIfEvPKT_S2_PS0_S2_S0_,"axG",@progbits,_Z12ratt2_kernelIfEvPKT_S2_PS0_S2_S0_,comdat
.Lfunc_end3:
	.size	_Z12ratt2_kernelIfEvPKT_S2_PS0_S2_S0_, .Lfunc_end3-_Z12ratt2_kernelIfEvPKT_S2_PS0_S2_S0_
                                        ; -- End function
	.set _Z12ratt2_kernelIfEvPKT_S2_PS0_S2_S0_.num_vgpr, 38
	.set _Z12ratt2_kernelIfEvPKT_S2_PS0_S2_S0_.num_agpr, 0
	.set _Z12ratt2_kernelIfEvPKT_S2_PS0_S2_S0_.numbered_sgpr, 16
	.set _Z12ratt2_kernelIfEvPKT_S2_PS0_S2_S0_.num_named_barrier, 0
	.set _Z12ratt2_kernelIfEvPKT_S2_PS0_S2_S0_.private_seg_size, 0
	.set _Z12ratt2_kernelIfEvPKT_S2_PS0_S2_S0_.uses_vcc, 1
	.set _Z12ratt2_kernelIfEvPKT_S2_PS0_S2_S0_.uses_flat_scratch, 0
	.set _Z12ratt2_kernelIfEvPKT_S2_PS0_S2_S0_.has_dyn_sized_stack, 0
	.set _Z12ratt2_kernelIfEvPKT_S2_PS0_S2_S0_.has_recursion, 0
	.set _Z12ratt2_kernelIfEvPKT_S2_PS0_S2_S0_.has_indirect_call, 0
	.section	.AMDGPU.csdata,"",@progbits
; Kernel info:
; codeLenInByte = 3732
; TotalNumSgprs: 18
; NumVgprs: 38
; ScratchSize: 0
; MemoryBound: 0
; FloatMode: 240
; IeeeMode: 1
; LDSByteSize: 0 bytes/workgroup (compile time only)
; SGPRBlocks: 0
; VGPRBlocks: 4
; NumSGPRsForWavesPerEU: 18
; NumVGPRsForWavesPerEU: 38
; Occupancy: 16
; WaveLimiterHint : 0
; COMPUTE_PGM_RSRC2:SCRATCH_EN: 0
; COMPUTE_PGM_RSRC2:USER_SGPR: 6
; COMPUTE_PGM_RSRC2:TRAP_HANDLER: 0
; COMPUTE_PGM_RSRC2:TGID_X_EN: 1
; COMPUTE_PGM_RSRC2:TGID_Y_EN: 0
; COMPUTE_PGM_RSRC2:TGID_Z_EN: 0
; COMPUTE_PGM_RSRC2:TIDIG_COMP_CNT: 0
	.section	.text._Z12ratt3_kernelIfEvPKT_S2_PS0_S2_S0_,"axG",@progbits,_Z12ratt3_kernelIfEvPKT_S2_PS0_S2_S0_,comdat
	.protected	_Z12ratt3_kernelIfEvPKT_S2_PS0_S2_S0_ ; -- Begin function _Z12ratt3_kernelIfEvPKT_S2_PS0_S2_S0_
	.globl	_Z12ratt3_kernelIfEvPKT_S2_PS0_S2_S0_
	.p2align	8
	.type	_Z12ratt3_kernelIfEvPKT_S2_PS0_S2_S0_,@function
_Z12ratt3_kernelIfEvPKT_S2_PS0_S2_S0_:  ; @_Z12ratt3_kernelIfEvPKT_S2_PS0_S2_S0_
; %bb.0:
	s_clause 0x2
	s_load_dword s0, s[4:5], 0x34
	s_load_dword s2, s[4:5], 0x28
	s_load_dwordx8 s[8:15], s[4:5], 0x0
	s_waitcnt lgkmcnt(0)
	s_and_b32 s0, s0, 0xffff
	v_mad_u64_u32 v[0:1], null, s6, s0, v[0:1]
	v_mov_b32_e32 v1, 0
	s_mul_i32 s2, s2, s0
	s_lshl_b32 s0, s2, 1
	s_mul_i32 s6, s2, 19
	v_mov_b32_e32 v3, v1
	v_add_nc_u32_e32 v2, s0, v0
	v_lshlrev_b64 v[6:7], 2, v[0:1]
	v_mov_b32_e32 v13, v1
	v_mov_b32_e32 v17, v1
	v_add_nc_u32_e32 v0, s2, v0
	v_mad_u64_u32 v[4:5], null, s2, 5, v[2:3]
	v_mov_b32_e32 v5, v1
	v_add_co_u32 v10, vcc_lo, s8, v6
	v_add_co_ci_u32_e64 v11, null, s9, v7, vcc_lo
	v_lshlrev_b64 v[2:3], 2, v[2:3]
	v_mad_u64_u32 v[8:9], null, s2, -3, v[4:5]
	v_mov_b32_e32 v9, v1
	global_load_dword v20, v[10:11], off
	v_lshlrev_b64 v[4:5], 2, v[4:5]
	s_mul_i32 s1, s2, 28
	s_mul_i32 s3, s2, 14
	v_mov_b32_e32 v21, v1
	v_add_nc_u32_e32 v12, s0, v8
	v_lshlrev_b64 v[8:9], 2, v[8:9]
	s_load_dword s0, s[4:5], 0x20
	s_mul_i32 s4, s2, -13
	v_mov_b32_e32 v49, v1
	v_lshlrev_b64 v[10:11], 2, v[12:13]
	v_add_nc_u32_e32 v16, s6, v12
	v_add_co_u32 v8, vcc_lo, s14, v8
	v_add_co_ci_u32_e64 v9, null, s15, v9, vcc_lo
	v_add_co_u32 v10, vcc_lo, s14, v10
	v_add_co_ci_u32_e64 v11, null, s15, v11, vcc_lo
	v_add_co_u32 v4, vcc_lo, s14, v4
	s_clause 0x1
	global_load_dword v35, v[8:9], off
	global_load_dword v36, v[10:11], off
	v_add_co_ci_u32_e64 v5, null, s15, v5, vcc_lo
	v_add_co_u32 v2, vcc_lo, s14, v2
	v_add_co_ci_u32_e64 v3, null, s15, v3, vcc_lo
	s_clause 0x1
	global_load_dword v37, v[4:5], off
	global_load_dword v34, v[2:3], off
	v_lshlrev_b64 v[28:29], 2, v[16:17]
	v_mad_u64_u32 v[32:33], null, 0xffffffec, s2, v[16:17]
	v_mov_b32_e32 v33, v1
	v_add_co_u32 v4, vcc_lo, s10, v28
	v_add_co_ci_u32_e64 v5, null, s11, v29, vcc_lo
	v_add_co_u32 v12, vcc_lo, s14, v6
	v_add_co_ci_u32_e64 v13, null, s15, v7, vcc_lo
	global_load_dword v38, v[4:5], off
	v_lshlrev_b64 v[4:5], 2, v[0:1]
	v_add_nc_u32_e32 v0, s1, v0
	s_clause 0x3
	global_load_dword v10, v[10:11], off
	global_load_dword v8, v[8:9], off
	;; [unrolled: 1-line block ×4, first 2 shown]
	v_lshlrev_b64 v[42:43], 2, v[32:33]
	v_mad_u64_u32 v[32:33], null, s2, 21, v[32:33]
	v_lshlrev_b64 v[6:7], 2, v[0:1]
	v_add_nc_u32_e32 v0, s4, v0
	v_add_co_u32 v14, vcc_lo, s14, v4
	v_add_co_ci_u32_e64 v15, null, s15, v5, vcc_lo
	v_lshlrev_b64 v[4:5], 2, v[0:1]
	v_add_nc_u32_e32 v0, s3, v0
	v_add_co_u32 v18, vcc_lo, s10, v6
	v_add_co_ci_u32_e64 v19, null, s11, v7, vcc_lo
	v_mad_u64_u32 v[30:31], null, 0xffffffe5, s2, v[0:1]
	v_lshlrev_b64 v[26:27], 2, v[0:1]
	v_add_co_u32 v6, vcc_lo, s12, v6
	v_add_co_ci_u32_e64 v7, null, s13, v7, vcc_lo
	v_add_co_u32 v22, vcc_lo, s14, v4
	v_mov_b32_e32 v31, v1
	v_add_nc_u32_e32 v0, s1, v30
	v_add_co_ci_u32_e64 v23, null, s15, v5, vcc_lo
	v_add_co_u32 v24, vcc_lo, s10, v26
	v_add_co_ci_u32_e64 v25, null, s11, v27, vcc_lo
	v_add_co_u32 v4, vcc_lo, s12, v26
	v_add_co_ci_u32_e64 v5, null, s13, v27, vcc_lo
	v_lshlrev_b64 v[26:27], 2, v[30:31]
	v_lshlrev_b64 v[30:31], 2, v[0:1]
	v_add_nc_u32_e32 v0, s2, v0
	v_mov_b32_e32 v33, v1
	v_add_co_u32 v26, vcc_lo, s14, v26
	v_lshlrev_b64 v[2:3], 2, v[0:1]
	v_mad_u64_u32 v[40:41], null, 0xffffffe8, s2, v[0:1]
	v_add_co_ci_u32_e64 v27, null, s15, v27, vcc_lo
	v_add_co_u32 v28, vcc_lo, s12, v28
	v_add_co_ci_u32_e64 v29, null, s13, v29, vcc_lo
	v_add_co_u32 v44, vcc_lo, s10, v30
	;; [unrolled: 2-line block ×3, first 2 shown]
	v_add_co_ci_u32_e64 v31, null, s13, v31, vcc_lo
	v_mov_b32_e32 v41, v1
	v_add_co_u32 v46, s1, s10, v2
	v_add_co_ci_u32_e64 v47, null, s11, v3, s1
	v_add_co_u32 v2, s1, s12, v2
	v_add_co_ci_u32_e64 v3, null, s13, v3, s1
	;; [unrolled: 2-line block ×3, first 2 shown]
	s_waitcnt vmcnt(9) lgkmcnt(0)
	v_mul_f32_e32 v16, s0, v20
	v_mul_f32_e32 v39, 0x4c9e9632, v16
	v_div_scale_f32 v16, null, v39, v39, 1.0
	v_div_scale_f32 v50, vcc_lo, 1.0, v39, 1.0
	v_rcp_f32_e32 v52, v16
	s_waitcnt vmcnt(7)
	v_mul_f32_e32 v48, v35, v36
	v_fma_f32 v20, -v16, v52, 1.0
	v_div_scale_f32 v53, null, v48, v48, 1.0
	v_div_scale_f32 v54, s0, 1.0, v48, 1.0
	v_fmac_f32_e32 v52, v20, v52
	v_rcp_f32_e32 v0, v53
	v_mul_f32_e32 v55, v50, v52
	v_fma_f32 v20, -v53, v0, 1.0
	v_fmac_f32_e32 v0, v20, v0
	v_fma_f32 v20, -v16, v55, v50
	v_mul_f32_e32 v56, v54, v0
	v_fmac_f32_e32 v55, v20, v52
	v_fma_f32 v20, -v53, v56, v54
	v_fma_f32 v16, -v16, v55, v50
	v_lshlrev_b64 v[50:51], 2, v[40:41]
	v_mad_u64_u32 v[40:41], null, s2, 25, v[40:41]
	v_fmac_f32_e32 v56, v20, v0
	v_div_fmas_f32 v64, v16, v52, v55
	s_mov_b32 vcc_lo, s0
	s_waitcnt vmcnt(5)
	v_mul_f32_e32 v16, v34, v37
	v_add_nc_u32_e32 v20, s2, v32
	v_fma_f32 v53, -v53, v56, v54
	v_mov_b32_e32 v41, v1
	v_lshlrev_b64 v[32:33], 2, v[32:33]
	v_div_fmas_f32 v0, v53, v0, v56
	v_lshlrev_b64 v[52:53], 2, v[20:21]
	v_mad_u64_u32 v[20:21], null, s2, -14, v[20:21]
	v_mad_u64_u32 v[56:57], null, 0xffffffee, s2, v[40:41]
	v_div_fixup_f32 v0, v0, v48, 1.0
	v_mov_b32_e32 v21, v1
	v_add_co_u32 v50, vcc_lo, s14, v50
	v_mov_b32_e32 v57, v1
	v_mul_f32_e32 v0, v16, v0
	v_add_nc_u32_e32 v16, s2, v20
	v_add_co_ci_u32_e64 v51, null, s15, v51, vcc_lo
	v_add_co_u32 v54, vcc_lo, s10, v32
	v_min_f32_e32 v0, 0x7cf0bdc2, v0
	v_add_co_ci_u32_e64 v55, null, s11, v33, vcc_lo
	v_add_co_u32 v32, vcc_lo, s12, v32
	s_waitcnt vmcnt(4)
	v_mul_f32_e32 v0, v38, v0
	v_lshlrev_b64 v[20:21], 2, v[20:21]
	v_add_nc_u32_e32 v48, s3, v16
	v_add_co_ci_u32_e64 v33, null, s13, v33, vcc_lo
	global_store_dword v[28:29], v0, off
	v_add_co_u32 v58, vcc_lo, s10, v52
	v_lshlrev_b64 v[28:29], 2, v[56:57]
	v_add_co_ci_u32_e64 v59, null, s11, v53, vcc_lo
	v_add_co_u32 v52, vcc_lo, s12, v52
	v_add_nc_u32_e32 v0, s6, v56
	v_lshlrev_b64 v[56:57], 2, v[16:17]
	v_add_co_ci_u32_e64 v53, null, s13, v53, vcc_lo
	v_add_co_u32 v60, vcc_lo, s14, v20
	v_lshlrev_b64 v[16:17], 2, v[48:49]
	v_add_co_ci_u32_e64 v61, null, s15, v21, vcc_lo
	v_add_co_u32 v62, vcc_lo, s14, v28
	v_add_co_ci_u32_e64 v63, null, s15, v29, vcc_lo
	v_add_co_u32 v48, vcc_lo, s14, v56
	;; [unrolled: 2-line block ×4, first 2 shown]
	v_add_co_ci_u32_e64 v57, null, s13, v17, vcc_lo
	s_clause 0x1
	global_load_dword v65, v[14:15], off
	global_load_dword v14, v[14:15], off
	;; [unrolled: 1-line block ×3, first 2 shown]
	s_clause 0x4
	global_load_dword v28, v[42:43], off
	global_load_dword v17, v[42:43], off
	;; [unrolled: 1-line block ×6, first 2 shown]
	s_clause 0x1
	global_load_dword v24, v[26:27], off
	global_load_dword v13, v[26:27], off
	s_clause 0x3
	global_load_dword v23, v[54:55], off
	global_load_dword v27, v[58:59], off
	;; [unrolled: 1-line block ×5, first 2 shown]
	v_mul_f32_e32 v26, v37, v35
	s_waitcnt vmcnt(12)
	v_mul_f32_e32 v18, v36, v28
	v_div_scale_f32 v15, null, v18, v18, 1.0
	v_div_scale_f32 v22, vcc_lo, 1.0, v18, 1.0
	s_waitcnt vmcnt(0)
	v_mul_f32_e32 v58, v20, v65
	v_rcp_f32_e32 v16, v15
	v_fma_f32 v19, -v15, v16, 1.0
	v_fmac_f32_e32 v16, v19, v16
	v_mul_f32_e32 v25, v22, v16
	v_fma_f32 v19, -v15, v25, v22
	v_fmac_f32_e32 v25, v19, v16
	global_load_dword v19, v[48:49], off
	v_fma_f32 v15, -v15, v25, v22
	v_div_fmas_f32 v21, v15, v16, v25
	v_mad_u64_u32 v[15:16], null, 0xffffffe7, s2, v[0:1]
	v_mov_b32_e32 v16, v1
	v_div_fixup_f32 v25, v21, v18, 1.0
	v_lshlrev_b64 v[21:22], 2, v[15:16]
	s_clause 0x1
	global_load_dword v18, v[48:49], off
	global_load_dword v16, v[60:61], off
	v_mul_f32_e32 v37, v26, v25
	global_load_dword v49, v[46:47], off
	v_add_co_u32 v25, vcc_lo, s14, v21
	v_min_f32_e32 v45, 0x7cf0bdc2, v37
	v_lshlrev_b64 v[37:38], 2, v[40:41]
	v_add_co_ci_u32_e64 v26, null, s15, v22, vcc_lo
	global_load_dword v21, v[50:51], off
	v_mul_f32_e32 v22, v23, v45
	v_mul_f32_e32 v27, v27, v45
	;; [unrolled: 1-line block ×3, first 2 shown]
	global_store_dword v[32:33], v22, off
	v_add_co_u32 v22, vcc_lo, s10, v37
	v_add_co_ci_u32_e64 v23, null, s11, v38, vcc_lo
	global_store_dword v[52:53], v27, off
	global_load_dword v50, v[22:23], off
	v_div_fixup_f32 v22, v64, v39, 1.0
	v_div_scale_f32 v47, null, v66, v66, 1.0
	v_rcp_f32_e32 v51, v47
	s_waitcnt vmcnt(5)
	v_div_scale_f32 v42, null, v19, v19, 1.0
	v_mul_f32_e32 v44, v19, v65
	v_mul_f32_e32 v27, v34, v19
	v_rcp_f32_e32 v48, v42
	v_div_scale_f32 v46, null, v44, v44, 1.0
	v_rcp_f32_e32 v41, v46
	v_fma_f32 v32, -v42, v48, 1.0
	s_waitcnt vmcnt(3)
	v_mul_f32_e32 v17, v17, v16
	v_fmac_f32_e32 v48, v32, v48
	v_div_scale_f32 v32, vcc_lo, 1.0, v19, 1.0
	v_fma_f32 v23, -v46, v41, 1.0
	v_mul_f32_e32 v39, v32, v48
	v_fmac_f32_e32 v41, v23, v41
	v_fma_f32 v23, -v42, v39, v32
	v_fmac_f32_e32 v39, v23, v48
	v_div_scale_f32 v23, s0, 1.0, v44, 1.0
	v_fma_f32 v40, -v42, v39, v32
	v_mul_f32_e32 v42, v23, v41
	v_fma_f32 v32, -v46, v42, v23
	v_fmac_f32_e32 v42, v32, v41
	v_mad_u64_u32 v[32:33], null, s2, 26, v[15:16]
	v_div_fmas_f32 v33, v40, v48, v39
	v_mul_f32_e32 v15, 0x49776020, v22
	v_fma_f32 v23, -v46, v42, v23
	s_mov_b32 vcc_lo, s0
	v_div_scale_f32 v48, null, v27, v27, 1.0
	v_mul_f32_e32 v45, v15, v45
	v_div_fmas_f32 v22, v23, v41, v42
	v_div_fixup_f32 v33, v33, v19, 1.0
	v_mul_f32_e32 v23, v35, v20
	v_lshlrev_b64 v[39:40], 2, v[0:1]
	v_add_nc_u32_e32 v0, s2, v32
	v_div_fixup_f32 v22, v22, v44, 1.0
	v_mul_f32_e32 v33, v45, v33
	v_rcp_f32_e32 v52, v48
	v_div_scale_f32 v53, s0, 1.0, v27, 1.0
	v_mul_f32_e32 v22, v23, v22
	v_lshlrev_b64 v[41:42], 2, v[0:1]
	v_fma_f32 v23, -v47, v51, 1.0
	v_min_f32_e32 v33, 0x7cf0bdc2, v33
	v_add_nc_u32_e32 v0, s2, v0
	v_min_f32_e32 v22, 0x7cf0bdc2, v22
	v_fmac_f32_e32 v51, v23, v51
	v_mul_f32_e32 v23, v43, v33
	v_lshlrev_b64 v[43:44], 2, v[0:1]
	v_add_nc_u32_e32 v0, s4, v0
	v_mul_f32_e32 v29, v29, v22
	v_div_scale_f32 v33, vcc_lo, 1.0, v66, 1.0
	v_fma_f32 v45, -v48, v52, 1.0
	global_store_dword v[56:57], v23, off
	v_lshlrev_b64 v[22:23], 2, v[0:1]
	global_store_dword v[6:7], v29, off
	v_mul_f32_e32 v29, v33, v51
	v_fmac_f32_e32 v52, v45, v52
	v_add_nc_u32_e32 v0, s3, v0
	v_add_co_u32 v45, s1, s14, v22
	v_add_co_ci_u32_e64 v46, null, s15, v23, s1
	v_fma_f32 v6, -v47, v29, v33
	v_mul_f32_e32 v23, v53, v52
	v_fmac_f32_e32 v29, v6, v51
	v_fma_f32 v6, -v48, v23, v53
	v_fma_f32 v22, -v47, v29, v33
	v_fmac_f32_e32 v23, v6, v52
	s_clause 0x2
	global_load_dword v55, v[62:63], off
	global_load_dword v6, v[62:63], off
	;; [unrolled: 1-line block ×3, first 2 shown]
	v_add_co_u32 v47, s1, s10, v39
	v_div_fmas_f32 v29, v22, v51, v29
	v_fma_f32 v33, -v48, v23, v53
	v_mul_f32_e32 v22, v20, v67
	v_mul_f32_e32 v51, v35, v19
	s_mov_b32 vcc_lo, s0
	v_add_co_ci_u32_e64 v48, null, s11, v40, s1
	v_div_fmas_f32 v52, v33, v52, v23
	v_mul_f32_e32 v33, v15, v22
	v_div_fixup_f32 v23, v29, v66, 1.0
	v_div_scale_f32 v29, null, v51, v51, 1.0
	global_load_dword v47, v[47:48], off
	global_load_dword v60, v[45:46], off
	v_mul_f32_e32 v33, v33, v23
	v_rcp_f32_e32 v48, v29
	s_waitcnt vmcnt(6)
	v_mul_f32_e32 v35, v35, v21
	v_mul_f32_e32 v19, v19, v21
	v_min_f32_e32 v53, 0x7cf0bdc2, v33
	v_mov_b32_e32 v33, v1
	v_mul_f32_e32 v53, v68, v53
	v_lshlrev_b64 v[32:33], 2, v[32:33]
	v_fma_f32 v56, -v29, v48, 1.0
	global_store_dword v[4:5], v53, off
	v_fmac_f32_e32 v48, v56, v48
	v_div_scale_f32 v56, vcc_lo, 1.0, v51, 1.0
	v_add_co_u32 v4, s0, s10, v32
	v_add_co_ci_u32_e64 v5, null, s11, v33, s0
	v_mul_f32_e32 v53, v56, v48
	global_load_dword v57, v[4:5], off
	v_div_fixup_f32 v5, v52, v27, 1.0
	v_mul_f32_e32 v27, v20, v24
	v_fma_f32 v4, -v29, v53, v56
	v_mul_f32_e32 v24, v24, v21
	v_mul_f32_e32 v27, v5, v27
	v_fmac_f32_e32 v53, v4, v48
	v_add_co_u32 v4, s0, s10, v41
	v_add_co_ci_u32_e64 v5, null, s11, v42, s0
	v_min_f32_e32 v27, 0x7cf0bdc2, v27
	global_load_dword v52, v[4:5], off
	v_fma_f32 v4, -v29, v53, v56
	v_mul_f32_e32 v27, v54, v27
	v_div_scale_f32 v54, null, v58, v58, 1.0
	v_div_fmas_f32 v48, v4, v48, v53
	global_store_dword v[30:31], v27, off
	v_rcp_f32_e32 v56, v54
	v_add_co_u32 v29, vcc_lo, s10, v43
	v_add_co_ci_u32_e64 v30, null, s11, v44, vcc_lo
	global_load_dword v59, v[29:30], off
	v_div_scale_f32 v30, vcc_lo, 1.0, v58, 1.0
	v_fma_f32 v4, -v54, v56, 1.0
	v_fmac_f32_e32 v56, v4, v56
	s_waitcnt vmcnt(7)
	v_mul_f32_e32 v5, v65, v55
	s_waitcnt vmcnt(6)
	v_mul_f32_e32 v11, v11, v6
	;; [unrolled: 2-line block ×3, first 2 shown]
	v_div_scale_f32 v53, null, v5, v5, 1.0
	v_div_scale_f32 v31, s0, 1.0, v5, 1.0
	v_rcp_f32_e32 v27, v53
	v_fma_f32 v29, -v53, v27, 1.0
	v_fmac_f32_e32 v27, v29, v27
	v_mul_f32_e32 v29, v30, v56
	v_mul_f32_e32 v45, v31, v27
	v_fma_f32 v4, -v54, v29, v30
	v_fmac_f32_e32 v29, v4, v56
	v_fma_f32 v4, -v53, v45, v31
	v_fmac_f32_e32 v45, v4, v27
	s_clause 0x1
	global_load_dword v46, v[25:26], off
	global_load_dword v4, v[25:26], off
	v_fma_f32 v25, -v54, v29, v30
	v_mul_f32_e32 v54, v65, v66
	v_fma_f32 v30, -v53, v45, v31
	v_div_fmas_f32 v31, v25, v56, v29
	s_mov_b32 vcc_lo, s0
	v_lshlrev_b64 v[25:26], 2, v[0:1]
	v_div_fmas_f32 v27, v30, v27, v45
	v_add_nc_u32_e32 v0, s2, v0
	v_div_fixup_f32 v31, v31, v58, 1.0
	v_add_co_u32 v29, vcc_lo, s10, v25
	v_add_co_ci_u32_e64 v30, null, s11, v26, vcc_lo
	v_div_fixup_f32 v27, v27, v5, 1.0
	global_load_dword v53, v[29:30], off
	v_mul_f32_e32 v29, v36, v20
	v_div_fixup_f32 v30, v48, v51, 1.0
	v_mul_f32_e32 v36, v34, v21
	v_mul_f32_e32 v27, v35, v27
	;; [unrolled: 1-line block ×4, first 2 shown]
	v_div_scale_f32 v31, null, v54, v54, 1.0
	v_min_f32_e32 v27, 0x7cf0bdc2, v27
	v_min_f32_e32 v29, 0x7cf0bdc2, v29
	;; [unrolled: 1-line block ×3, first 2 shown]
	s_waitcnt vmcnt(7)
	v_mul_f32_e32 v27, v47, v27
	v_mul_f32_e32 v29, v29, v49
	;; [unrolled: 1-line block ×3, first 2 shown]
	v_rcp_f32_e32 v49, v31
	global_store_dword v[2:3], v29, off
	v_lshlrev_b64 v[29:30], 2, v[0:1]
	v_add_co_u32 v2, s0, s12, v37
	v_add_co_ci_u32_e64 v3, null, s13, v38, s0
	v_add_nc_u32_e32 v0, s2, v0
	s_waitcnt vmcnt(2)
	v_mul_f32_e32 v45, v65, v46
	s_waitcnt vmcnt(1)
	v_mul_f32_e32 v9, v9, v4
	v_div_scale_f32 v46, null, v45, v45, 1.0
	v_div_scale_f32 v51, vcc_lo, 1.0, v45, 1.0
	v_rcp_f32_e32 v56, v46
	v_fma_f32 v48, -v46, v56, 1.0
	v_fmac_f32_e32 v56, v48, v56
	v_mul_f32_e32 v48, v51, v56
	v_fma_f32 v35, -v46, v48, v51
	v_fmac_f32_e32 v48, v35, v56
	v_add_co_u32 v35, s0, s12, v39
	v_add_co_ci_u32_e64 v36, null, s13, v40, s0
	v_add_co_u32 v37, s0, s10, v29
	v_add_co_ci_u32_e64 v38, null, s11, v30, s0
	v_fma_f32 v39, -v46, v48, v51
	v_fma_f32 v40, -v31, v49, 1.0
	v_div_scale_f32 v46, s0, 1.0, v54, 1.0
	global_load_dword v51, v[37:38], off
	v_lshlrev_b64 v[37:38], 2, v[0:1]
	v_fmac_f32_e32 v49, v40, v49
	v_div_fmas_f32 v47, v39, v56, v48
	v_mul_f32_e32 v56, v34, v55
	v_add_nc_u32_e32 v0, s2, v0
	v_mul_f32_e32 v55, v20, v55
	v_add_co_u32 v39, vcc_lo, s10, v37
	v_mul_f32_e32 v48, v46, v49
	v_add_co_ci_u32_e64 v40, null, s11, v38, vcc_lo
	v_div_fixup_f32 v34, v47, v45, 1.0
	s_mov_b32 vcc_lo, s0
	v_fma_f32 v45, -v31, v48, v46
	global_load_dword v58, v[39:40], off
	v_div_scale_f32 v39, null, v56, v56, 1.0
	v_mul_f32_e32 v40, v67, v21
	v_fmac_f32_e32 v48, v45, v49
	global_store_dword v[2:3], v50, off
	global_store_dword v[35:36], v27, off
	v_rcp_f32_e32 v45, v39
	v_mul_f32_e32 v20, v20, v21
	v_mul_f32_e32 v34, v40, v34
	v_fma_f32 v2, -v31, v48, v46
	v_mul_f32_e32 v31, v28, v21
	v_mul_f32_e32 v20, v15, v20
	v_min_f32_e32 v27, 0x7cf0bdc2, v34
	v_div_fmas_f32 v2, v2, v49, v48
	v_div_scale_f32 v35, vcc_lo, 1.0, v56, 1.0
	v_fma_f32 v3, -v39, v45, 1.0
	v_mul_f32_e32 v36, v57, v27
	v_div_fixup_f32 v34, v2, v54, 1.0
	v_add_co_u32 v27, s0, s12, v32
	v_fmac_f32_e32 v45, v3, v45
	v_lshlrev_b64 v[2:3], 2, v[0:1]
	v_add_nc_u32_e32 v0, s2, v0
	v_add_co_ci_u32_e64 v28, null, s13, v33, s0
	v_mul_f32_e32 v46, v35, v45
	v_mul_f32_e32 v40, v34, v31
	v_lshlrev_b64 v[33:34], 2, v[0:1]
	v_add_nc_u32_e32 v0, s2, v0
	global_store_dword v[27:28], v36, off
	v_fma_f32 v47, -v39, v46, v35
	v_add_co_u32 v31, s0, s10, v2
	v_lshlrev_b64 v[27:28], 2, v[0:1]
	v_add_nc_u32_e32 v0, s2, v0
	v_fmac_f32_e32 v46, v47, v45
	v_add_co_ci_u32_e64 v32, null, s11, v3, s0
	v_min_f32_e32 v48, 0x7cf0bdc2, v40
	v_fma_f32 v47, -v39, v46, v35
	v_lshlrev_b64 v[35:36], 2, v[0:1]
	v_add_nc_u32_e32 v0, s2, v0
	global_load_dword v49, v[31:32], off
	v_add_co_u32 v31, s0, s12, v41
	v_add_co_ci_u32_e64 v32, null, s13, v42, s0
	v_lshlrev_b64 v[41:42], 2, v[0:1]
	v_add_nc_u32_e32 v0, s2, v0
	v_add_co_u32 v39, s0, s10, v33
	v_div_fmas_f32 v47, v47, v45, v46
	v_add_co_ci_u32_e64 v40, null, s11, v34, s0
	v_mad_u64_u32 v[45:46], null, 0xffffffdd, s2, v[0:1]
	v_mov_b32_e32 v46, v1
	global_load_dword v50, v[39:40], off
	v_add_co_u32 v39, vcc_lo, s10, v27
	v_div_fixup_f32 v54, v47, v56, 1.0
	v_add_co_ci_u32_e64 v40, null, s11, v28, vcc_lo
	v_lshlrev_b64 v[46:47], 2, v[45:46]
	v_mul_f32_e32 v48, v48, v52
	v_mul_f32_e32 v24, v24, v54
	global_load_dword v52, v[39:40], off
	v_div_scale_f32 v54, null, v60, v60, 1.0
	v_add_co_u32 v39, vcc_lo, s14, v46
	v_add_co_ci_u32_e64 v40, null, s15, v47, vcc_lo
	v_add_co_u32 v46, vcc_lo, s10, v35
	v_add_co_ci_u32_e64 v47, null, s11, v36, vcc_lo
	global_load_dword v56, v[39:40], off
	v_div_scale_f32 v39, null, v55, v55, 1.0
	global_load_dword v47, v[46:47], off
	v_rcp_f32_e32 v46, v54
	global_store_dword v[31:32], v48, off
	v_rcp_f32_e32 v48, v39
	v_min_f32_e32 v24, 0x7cf0bdc2, v24
	v_add_co_u32 v31, vcc_lo, s12, v43
	v_add_co_ci_u32_e64 v32, null, s13, v44, vcc_lo
	v_mul_f32_e32 v24, v24, v59
	v_fma_f32 v40, -v54, v46, 1.0
	v_fma_f32 v43, -v39, v48, 1.0
	global_store_dword v[31:32], v24, off
	v_add_co_u32 v31, s0, s10, v41
	v_fmac_f32_e32 v46, v40, v46
	v_div_scale_f32 v40, vcc_lo, 1.0, v60, 1.0
	v_add_co_ci_u32_e64 v32, null, s11, v42, s0
	v_fmac_f32_e32 v48, v43, v48
	v_mul_f32_e32 v24, v40, v46
	v_div_scale_f32 v43, s0, 1.0, v55, 1.0
	global_load_dword v57, v[31:32], off
	v_fma_f32 v44, -v54, v24, v40
	v_mul_f32_e32 v59, v43, v48
	v_fmac_f32_e32 v24, v44, v46
	v_fma_f32 v32, -v39, v59, v43
	v_fma_f32 v31, -v54, v24, v40
	v_fmac_f32_e32 v59, v32, v48
	v_div_fmas_f32 v54, v31, v46, v24
	v_lshlrev_b64 v[31:32], 2, v[0:1]
	v_fma_f32 v0, -v39, v59, v43
	v_mad_u64_u32 v[39:40], null, s2, 36, v[45:46]
	v_mov_b32_e32 v40, v1
	v_add_co_u32 v24, vcc_lo, s12, v25
	v_add_co_ci_u32_e64 v25, null, s13, v26, vcc_lo
	v_add_co_u32 v43, vcc_lo, s10, v31
	v_lshlrev_b64 v[45:46], 2, v[39:40]
	v_add_co_ci_u32_e64 v44, null, s11, v32, vcc_lo
	s_mov_b32 vcc_lo, s0
	v_div_fmas_f32 v26, v0, v48, v59
	v_add_nc_u32_e32 v0, s2, v39
	v_add_co_u32 v39, vcc_lo, s10, v45
	v_add_co_ci_u32_e64 v40, null, s11, v46, vcc_lo
	global_load_dword v48, v[43:44], off
	v_div_fixup_f32 v26, v26, v55, 1.0
	global_load_dword v59, v[39:40], off
	v_lshlrev_b64 v[43:44], 2, v[0:1]
	v_add_nc_u32_e32 v0, s2, v0
	v_mul_f32_e32 v19, v19, v26
	v_add_co_u32 v39, vcc_lo, s10, v43
	v_lshlrev_b64 v[0:1], 2, v[0:1]
	v_add_co_ci_u32_e64 v40, null, s11, v44, vcc_lo
	v_min_f32_e32 v19, 0x7cf0bdc2, v19
	global_load_dword v61, v[39:40], off
	v_add_co_u32 v39, vcc_lo, s10, v0
	v_add_co_ci_u32_e64 v40, null, s11, v1, vcc_lo
	global_load_dword v39, v[39:40], off
	v_div_fixup_f32 v40, v54, v60, 1.0
	v_mul_f32_e32 v20, v20, v40
	v_div_scale_f32 v40, null, v22, v22, 1.0
	v_min_f32_e32 v20, 0x7cf0bdc2, v20
	s_waitcnt vmcnt(12)
	v_mul_f32_e32 v20, v53, v20
	v_rcp_f32_e32 v53, v40
	global_store_dword v[24:25], v20, off
	v_mul_f32_e32 v24, v8, v16
	v_mul_f32_e32 v20, v15, v5
	;; [unrolled: 1-line block ×3, first 2 shown]
	v_fma_f32 v21, -v40, v53, 1.0
	v_div_scale_f32 v26, null, v24, v24, 1.0
	v_mul_f32_e32 v20, v23, v20
	v_fmac_f32_e32 v53, v21, v53
	v_div_scale_f32 v21, vcc_lo, 1.0, v22, 1.0
	v_rcp_f32_e32 v23, v26
	v_min_f32_e32 v20, 0x7cf0bdc2, v20
	v_mul_f32_e32 v54, v21, v53
	v_fma_f32 v25, -v40, v54, v21
	v_fmac_f32_e32 v54, v25, v53
	s_waitcnt vmcnt(11)
	v_mul_f32_e32 v25, v19, v51
	v_fma_f32 v19, -v40, v54, v21
	v_mul_f32_e32 v40, v14, v18
	v_fma_f32 v51, -v26, v23, 1.0
	v_div_fmas_f32 v21, v19, v53, v54
	v_div_scale_f32 v53, null, v40, v40, 1.0
	v_add_co_u32 v18, vcc_lo, s12, v29
	v_add_co_ci_u32_e64 v19, null, s13, v30, vcc_lo
	v_rcp_f32_e32 v30, v53
	v_div_fixup_f32 v22, v21, v22, 1.0
	v_fmac_f32_e32 v23, v51, v23
	v_div_scale_f32 v51, vcc_lo, 1.0, v24, 1.0
	s_waitcnt vmcnt(10)
	v_mul_f32_e32 v29, v20, v58
	v_add_co_u32 v20, s0, s12, v37
	v_add_co_ci_u32_e64 v21, null, s13, v38, s0
	v_mul_f32_e32 v37, v51, v23
	v_fma_f32 v38, -v53, v30, 1.0
	v_mul_f32_e32 v5, v22, v5
	v_div_scale_f32 v22, null, v17, v17, 1.0
	v_fma_f32 v54, -v26, v37, v51
	v_fmac_f32_e32 v30, v38, v30
	v_div_scale_f32 v38, s0, 1.0, v40, 1.0
	v_rcp_f32_e32 v55, v22
	v_fmac_f32_e32 v37, v54, v23
	global_store_dword v[18:19], v25, off
	global_store_dword v[20:21], v29, off
	v_mul_f32_e32 v54, v38, v30
	v_min_f32_e32 v5, 0x7cf0bdc2, v5
	v_fma_f32 v18, -v26, v37, v51
	v_fma_f32 v19, -v53, v54, v38
	v_fma_f32 v20, -v22, v55, 1.0
	v_div_fmas_f32 v18, v18, v23, v37
	s_mov_b32 vcc_lo, s0
	v_fmac_f32_e32 v54, v19, v30
	v_div_scale_f32 v19, s1, 1.0, v17, 1.0
	v_fmac_f32_e32 v55, v20, v55
	v_mul_f32_e32 v20, v14, v16
	v_div_fixup_f32 v18, v18, v24, 1.0
	v_fma_f32 v21, -v53, v54, v38
	v_mul_f32_e32 v16, v10, v16
	v_mul_f32_e32 v23, v19, v55
	v_div_scale_f32 v24, null, v20, v20, 1.0
	v_div_fmas_f32 v21, v21, v30, v54
	v_add_co_u32 v2, vcc_lo, s12, v2
	v_fma_f32 v25, -v22, v23, v19
	v_rcp_f32_e32 v26, v24
	v_div_fixup_f32 v21, v21, v40, 1.0
	v_add_co_ci_u32_e64 v3, null, s13, v3, vcc_lo
	v_fmac_f32_e32 v23, v25, v55
	s_mov_b32 vcc_lo, s1
	v_mul_f32_e32 v18, v11, v18
	v_mul_f32_e32 v11, v11, v21
	v_div_scale_f32 v29, null, v16, v16, 1.0
	v_fma_f32 v19, -v22, v23, v19
	v_fma_f32 v22, -v24, v26, 1.0
	v_min_f32_e32 v18, 0x7cf0bdc2, v18
	v_min_f32_e32 v11, 0x7cf0bdc2, v11
	s_waitcnt vmcnt(9)
	v_mul_f32_e32 v5, v5, v49
	v_div_fmas_f32 v19, v19, v55, v23
	v_fmac_f32_e32 v26, v22, v26
	v_div_scale_f32 v21, vcc_lo, 1.0, v20, 1.0
	s_waitcnt vmcnt(8)
	v_mul_f32_e32 v22, v50, v18
	v_div_fixup_f32 v19, v19, v17, 1.0
	v_add_co_u32 v17, s0, s12, v33
	v_mul_f32_e32 v23, v21, v26
	v_add_co_ci_u32_e64 v18, null, s13, v34, s0
	v_mul_f32_e32 v8, v8, v19
	v_add_co_u32 v10, s0, s12, v27
	v_fma_f32 v19, -v24, v23, v21
	s_waitcnt vmcnt(7)
	v_mul_f32_e32 v25, v52, v11
	v_add_co_ci_u32_e64 v11, null, s13, v28, s0
	global_store_dword v[2:3], v5, off
	global_store_dword v[17:18], v22, off
	v_fmac_f32_e32 v23, v19, v26
	v_rcp_f32_e32 v19, v29
	global_store_dword v[10:11], v25, off
	s_waitcnt vmcnt(6)
	v_div_scale_f32 v10, null, v56, v56, 1.0
	v_fma_f32 v2, -v24, v23, v21
	v_min_f32_e32 v8, 0x7cf0bdc2, v8
	v_rcp_f32_e32 v18, v10
	v_div_fmas_f32 v2, v2, v26, v23
	v_fma_f32 v3, -v29, v19, 1.0
	s_waitcnt vmcnt(5)
	v_mul_f32_e32 v5, v47, v8
	v_mul_f32_e32 v8, v15, v6
	v_div_scale_f32 v17, vcc_lo, 1.0, v16, 1.0
	v_div_fixup_f32 v11, v2, v20, 1.0
	v_mul_f32_e32 v20, v14, v56
	v_add_co_u32 v2, s0, s12, v35
	v_fmac_f32_e32 v19, v3, v19
	v_add_co_ci_u32_e64 v3, null, s13, v36, s0
	v_mul_f32_e32 v8, v8, v11
	v_div_scale_f32 v21, null, v20, v20, 1.0
	v_mul_f32_e32 v11, v17, v19
	global_store_dword v[2:3], v5, off
	v_fma_f32 v2, -v10, v18, 1.0
	v_div_scale_f32 v23, null, v7, v7, 1.0
	v_min_f32_e32 v3, 0x7cf0bdc2, v8
	v_rcp_f32_e32 v8, v21
	v_fma_f32 v5, -v29, v11, v17
	v_fmac_f32_e32 v18, v2, v18
	v_div_scale_f32 v22, s0, 1.0, v56, 1.0
	v_rcp_f32_e32 v26, v23
	v_fmac_f32_e32 v11, v5, v19
	v_add_co_u32 v2, s1, s12, v41
	v_mul_f32_e32 v5, v22, v18
	v_fma_f32 v25, -v21, v8, 1.0
	v_mul_f32_e32 v6, v13, v6
	v_fma_f32 v13, -v29, v11, v17
	s_waitcnt vmcnt(4)
	v_mul_f32_e32 v24, v57, v3
	v_fma_f32 v17, -v10, v5, v22
	v_fma_f32 v27, -v23, v26, 1.0
	v_add_co_ci_u32_e64 v3, null, s13, v42, s1
	v_fmac_f32_e32 v8, v25, v8
	v_div_scale_f32 v25, s1, 1.0, v20, 1.0
	v_div_fmas_f32 v11, v13, v19, v11
	v_fmac_f32_e32 v5, v17, v18
	v_fmac_f32_e32 v26, v27, v26
	v_div_scale_f32 v17, s2, 1.0, v7, 1.0
	v_mul_f32_e32 v13, v25, v8
	v_div_fixup_f32 v11, v11, v16, 1.0
	v_fma_f32 v10, -v10, v5, v22
	v_mul_f32_e32 v16, v17, v26
	s_mov_b32 vcc_lo, s0
	v_fma_f32 v19, -v21, v13, v25
	v_mul_f32_e32 v14, v14, v4
	v_div_fmas_f32 v5, v10, v18, v5
	v_fma_f32 v10, -v23, v16, v17
	v_mul_f32_e32 v6, v6, v11
	v_fmac_f32_e32 v13, v19, v8
	v_mul_f32_e32 v11, v15, v14
	s_mov_b32 vcc_lo, s1
	v_fmac_f32_e32 v16, v10, v26
	v_div_fixup_f32 v5, v5, v56, 1.0
	v_fma_f32 v14, -v21, v13, v25
	v_min_f32_e32 v6, 0x7cf0bdc2, v6
	v_fma_f32 v10, -v23, v16, v17
	v_mul_f32_e32 v5, v11, v5
	v_div_fmas_f32 v8, v14, v8, v13
	s_mov_b32 vcc_lo, s2
	v_mul_f32_e32 v11, v12, v4
	v_div_fmas_f32 v10, v10, v26, v16
	s_waitcnt vmcnt(3)
	v_mul_f32_e32 v12, v48, v6
	v_div_fixup_f32 v8, v8, v20, 1.0
	v_min_f32_e32 v6, 0x7cf0bdc2, v5
	v_add_co_u32 v4, vcc_lo, s12, v31
	v_div_fixup_f32 v7, v10, v7, 1.0
	v_mul_f32_e32 v8, v11, v8
	v_add_co_ci_u32_e64 v5, null, s13, v32, vcc_lo
	s_waitcnt vmcnt(2)
	v_mul_f32_e32 v10, v59, v6
	v_mul_f32_e32 v9, v9, v7
	v_min_f32_e32 v8, 0x7cf0bdc2, v8
	v_add_co_u32 v6, vcc_lo, s12, v45
	v_add_co_ci_u32_e64 v7, null, s13, v46, vcc_lo
	v_min_f32_e32 v13, 0x7cf0bdc2, v9
	s_waitcnt vmcnt(1)
	v_mul_f32_e32 v11, v61, v8
	v_add_co_u32 v8, vcc_lo, s12, v43
	v_add_co_ci_u32_e64 v9, null, s13, v44, vcc_lo
	v_add_co_u32 v0, vcc_lo, s12, v0
	s_waitcnt vmcnt(0)
	v_mul_f32_e32 v13, v39, v13
	v_add_co_ci_u32_e64 v1, null, s13, v1, vcc_lo
	global_store_dword v[2:3], v24, off
	global_store_dword v[4:5], v12, off
	;; [unrolled: 1-line block ×5, first 2 shown]
	s_endpgm
	.section	.rodata,"a",@progbits
	.p2align	6, 0x0
	.amdhsa_kernel _Z12ratt3_kernelIfEvPKT_S2_PS0_S2_S0_
		.amdhsa_group_segment_fixed_size 0
		.amdhsa_private_segment_fixed_size 0
		.amdhsa_kernarg_size 296
		.amdhsa_user_sgpr_count 6
		.amdhsa_user_sgpr_private_segment_buffer 1
		.amdhsa_user_sgpr_dispatch_ptr 0
		.amdhsa_user_sgpr_queue_ptr 0
		.amdhsa_user_sgpr_kernarg_segment_ptr 1
		.amdhsa_user_sgpr_dispatch_id 0
		.amdhsa_user_sgpr_flat_scratch_init 0
		.amdhsa_user_sgpr_private_segment_size 0
		.amdhsa_wavefront_size32 1
		.amdhsa_uses_dynamic_stack 0
		.amdhsa_system_sgpr_private_segment_wavefront_offset 0
		.amdhsa_system_sgpr_workgroup_id_x 1
		.amdhsa_system_sgpr_workgroup_id_y 0
		.amdhsa_system_sgpr_workgroup_id_z 0
		.amdhsa_system_sgpr_workgroup_info 0
		.amdhsa_system_vgpr_workitem_id 0
		.amdhsa_next_free_vgpr 69
		.amdhsa_next_free_sgpr 16
		.amdhsa_reserve_vcc 1
		.amdhsa_reserve_flat_scratch 0
		.amdhsa_float_round_mode_32 0
		.amdhsa_float_round_mode_16_64 0
		.amdhsa_float_denorm_mode_32 3
		.amdhsa_float_denorm_mode_16_64 3
		.amdhsa_dx10_clamp 1
		.amdhsa_ieee_mode 1
		.amdhsa_fp16_overflow 0
		.amdhsa_workgroup_processor_mode 1
		.amdhsa_memory_ordered 1
		.amdhsa_forward_progress 1
		.amdhsa_shared_vgpr_count 0
		.amdhsa_exception_fp_ieee_invalid_op 0
		.amdhsa_exception_fp_denorm_src 0
		.amdhsa_exception_fp_ieee_div_zero 0
		.amdhsa_exception_fp_ieee_overflow 0
		.amdhsa_exception_fp_ieee_underflow 0
		.amdhsa_exception_fp_ieee_inexact 0
		.amdhsa_exception_int_div_zero 0
	.end_amdhsa_kernel
	.section	.text._Z12ratt3_kernelIfEvPKT_S2_PS0_S2_S0_,"axG",@progbits,_Z12ratt3_kernelIfEvPKT_S2_PS0_S2_S0_,comdat
.Lfunc_end4:
	.size	_Z12ratt3_kernelIfEvPKT_S2_PS0_S2_S0_, .Lfunc_end4-_Z12ratt3_kernelIfEvPKT_S2_PS0_S2_S0_
                                        ; -- End function
	.set _Z12ratt3_kernelIfEvPKT_S2_PS0_S2_S0_.num_vgpr, 69
	.set _Z12ratt3_kernelIfEvPKT_S2_PS0_S2_S0_.num_agpr, 0
	.set _Z12ratt3_kernelIfEvPKT_S2_PS0_S2_S0_.numbered_sgpr, 16
	.set _Z12ratt3_kernelIfEvPKT_S2_PS0_S2_S0_.num_named_barrier, 0
	.set _Z12ratt3_kernelIfEvPKT_S2_PS0_S2_S0_.private_seg_size, 0
	.set _Z12ratt3_kernelIfEvPKT_S2_PS0_S2_S0_.uses_vcc, 1
	.set _Z12ratt3_kernelIfEvPKT_S2_PS0_S2_S0_.uses_flat_scratch, 0
	.set _Z12ratt3_kernelIfEvPKT_S2_PS0_S2_S0_.has_dyn_sized_stack, 0
	.set _Z12ratt3_kernelIfEvPKT_S2_PS0_S2_S0_.has_recursion, 0
	.set _Z12ratt3_kernelIfEvPKT_S2_PS0_S2_S0_.has_indirect_call, 0
	.section	.AMDGPU.csdata,"",@progbits
; Kernel info:
; codeLenInByte = 4944
; TotalNumSgprs: 18
; NumVgprs: 69
; ScratchSize: 0
; MemoryBound: 0
; FloatMode: 240
; IeeeMode: 1
; LDSByteSize: 0 bytes/workgroup (compile time only)
; SGPRBlocks: 0
; VGPRBlocks: 8
; NumSGPRsForWavesPerEU: 18
; NumVGPRsForWavesPerEU: 69
; Occupancy: 12
; WaveLimiterHint : 0
; COMPUTE_PGM_RSRC2:SCRATCH_EN: 0
; COMPUTE_PGM_RSRC2:USER_SGPR: 6
; COMPUTE_PGM_RSRC2:TRAP_HANDLER: 0
; COMPUTE_PGM_RSRC2:TGID_X_EN: 1
; COMPUTE_PGM_RSRC2:TGID_Y_EN: 0
; COMPUTE_PGM_RSRC2:TGID_Z_EN: 0
; COMPUTE_PGM_RSRC2:TIDIG_COMP_CNT: 0
	.section	.text._Z12ratt4_kernelIfEvPKT_S2_PS0_S2_S0_,"axG",@progbits,_Z12ratt4_kernelIfEvPKT_S2_PS0_S2_S0_,comdat
	.protected	_Z12ratt4_kernelIfEvPKT_S2_PS0_S2_S0_ ; -- Begin function _Z12ratt4_kernelIfEvPKT_S2_PS0_S2_S0_
	.globl	_Z12ratt4_kernelIfEvPKT_S2_PS0_S2_S0_
	.p2align	8
	.type	_Z12ratt4_kernelIfEvPKT_S2_PS0_S2_S0_,@function
_Z12ratt4_kernelIfEvPKT_S2_PS0_S2_S0_:  ; @_Z12ratt4_kernelIfEvPKT_S2_PS0_S2_S0_
; %bb.0:
	s_clause 0x3
	s_load_dwordx8 s[8:15], s[4:5], 0x0
	s_load_dword s0, s[4:5], 0x20
	s_load_dword s1, s[4:5], 0x28
	;; [unrolled: 1-line block ×3, first 2 shown]
	s_waitcnt lgkmcnt(0)
	s_and_b32 s2, s2, 0xffff
	v_mad_u64_u32 v[0:1], null, s6, s2, v[0:1]
	v_mov_b32_e32 v1, 0
	v_lshlrev_b64 v[18:19], 2, v[0:1]
	v_add_co_u32 v2, vcc_lo, s8, v18
	v_add_co_ci_u32_e64 v3, null, s9, v19, vcc_lo
	global_load_dword v2, v[2:3], off
	s_waitcnt vmcnt(0)
	v_mul_f32_e32 v2, s0, v2
	s_mul_i32 s0, s1, s2
	s_mul_i32 s2, s0, 3
	;; [unrolled: 1-line block ×3, first 2 shown]
	v_mul_f32_e32 v2, 0x4c9e9632, v2
	v_div_scale_f32 v3, null, v2, v2, 1.0
	v_rcp_f32_e32 v4, v3
	v_fma_f32 v5, -v3, v4, 1.0
	v_fmac_f32_e32 v4, v5, v4
	v_div_scale_f32 v5, vcc_lo, 1.0, v2, 1.0
	v_mul_f32_e32 v6, v5, v4
	v_fma_f32 v7, -v3, v6, v5
	v_fmac_f32_e32 v6, v7, v4
	v_fma_f32 v3, -v3, v6, v5
	v_mov_b32_e32 v5, v1
	v_div_fmas_f32 v3, v3, v4, v6
	v_add_nc_u32_e32 v4, s2, v0
	v_add_nc_u32_e32 v0, s0, v0
	v_div_fixup_f32 v2, v3, v2, 1.0
	v_mul_f32_e32 v26, 0x49776020, v2
	v_lshlrev_b64 v[2:3], 2, v[4:5]
	v_mad_u64_u32 v[4:5], null, s0, 6, v[4:5]
	v_mov_b32_e32 v5, v1
	v_add_co_u32 v2, vcc_lo, s14, v2
	v_add_co_ci_u32_e64 v3, null, s15, v3, vcc_lo
	v_lshlrev_b64 v[5:6], 2, v[4:5]
	global_load_dword v27, v[2:3], off
	v_add_co_u32 v12, vcc_lo, s14, v5
	v_add_co_ci_u32_e64 v13, null, s15, v6, vcc_lo
	v_mad_u64_u32 v[6:7], null, s0, -5, v[4:5]
	v_mov_b32_e32 v7, v1
	global_load_dword v31, v[12:13], off
	v_mad_u64_u32 v[8:9], null, s0, 11, v[6:7]
	v_mov_b32_e32 v9, v1
	v_lshlrev_b64 v[4:5], 2, v[6:7]
	v_lshlrev_b64 v[6:7], 2, v[8:9]
	v_add_co_u32 v4, vcc_lo, s14, v4
	v_add_co_ci_u32_e64 v5, null, s15, v5, vcc_lo
	v_mad_u64_u32 v[8:9], null, s0, 35, v[8:9]
	v_add_co_u32 v6, vcc_lo, s14, v6
	v_add_co_ci_u32_e64 v7, null, s15, v7, vcc_lo
	global_load_dword v28, v[4:5], off
	v_mov_b32_e32 v9, v1
	s_clause 0x1
	global_load_dword v29, v[6:7], off
	global_load_dword v12, v[12:13], off
	v_lshlrev_b64 v[8:9], 2, v[8:9]
	s_waitcnt vmcnt(3)
	v_mul_f32_e32 v20, v27, v31
	s_waitcnt vmcnt(2)
	v_mul_f32_e32 v24, v31, v28
	;; [unrolled: 2-line block ×3, first 2 shown]
	s_waitcnt vmcnt(0)
	v_div_scale_f32 v13, null, v12, v12, 1.0
	v_div_scale_f32 v11, null, v10, v10, 1.0
	v_rcp_f32_e32 v14, v11
	v_fma_f32 v15, -v11, v14, 1.0
	v_fmac_f32_e32 v14, v15, v14
	v_div_scale_f32 v15, vcc_lo, 1.0, v10, 1.0
	v_mul_f32_e32 v16, v15, v14
	v_fma_f32 v17, -v11, v16, v15
	v_fmac_f32_e32 v16, v17, v14
	v_fma_f32 v11, -v11, v16, v15
	v_div_fmas_f32 v11, v11, v14, v16
	v_div_fixup_f32 v10, v11, v10, 1.0
	v_mul_f32_e32 v14, v20, v10
	v_add_co_u32 v10, vcc_lo, s10, v8
	v_add_co_ci_u32_e64 v11, null, s11, v9, vcc_lo
	v_add_co_u32 v8, vcc_lo, s12, v8
	v_add_co_ci_u32_e64 v9, null, s13, v9, vcc_lo
	global_load_dword v10, v[10:11], off
	v_min_f32_e32 v11, 0x7cf0bdc2, v14
	s_waitcnt vmcnt(0)
	v_mul_f32_e32 v10, v10, v11
	global_store_dword v[8:9], v10, off
	v_lshlrev_b64 v[8:9], 2, v[0:1]
	v_add_co_u32 v14, vcc_lo, s14, v8
	v_add_co_ci_u32_e64 v15, null, s15, v9, vcc_lo
	v_mad_u64_u32 v[8:9], null, s0, 13, v[0:1]
	v_mov_b32_e32 v9, v1
	global_load_dword v30, v[14:15], off
	v_lshlrev_b64 v[9:10], 2, v[8:9]
	v_add_co_u32 v16, vcc_lo, s14, v9
	v_add_co_ci_u32_e64 v17, null, s15, v10, vcc_lo
	global_load_dword v0, v[16:17], off
	s_waitcnt vmcnt(1)
	v_mul_f32_e32 v11, v30, v30
	v_mul_f32_e32 v29, v29, v30
	s_waitcnt vmcnt(0)
	v_mul_f32_e32 v0, v11, v0
	v_mul_f32_e32 v0, v26, v0
	v_div_scale_f32 v9, null, v0, v0, 1.0
	v_rcp_f32_e32 v10, v9
	v_fma_f32 v11, -v9, v10, 1.0
	v_fmac_f32_e32 v10, v11, v10
	v_div_scale_f32 v11, vcc_lo, 1.0, v0, 1.0
	v_mul_f32_e32 v21, v11, v10
	v_fma_f32 v22, -v9, v21, v11
	v_fmac_f32_e32 v21, v22, v10
	v_fma_f32 v9, -v9, v21, v11
	v_div_fmas_f32 v9, v9, v10, v21
	v_div_fixup_f32 v0, v9, v0, 1.0
	v_mad_u64_u32 v[8:9], null, s0, 37, v[8:9]
	v_mov_b32_e32 v9, v1
	v_mul_f32_e32 v0, v20, v0
	v_lshlrev_b64 v[9:10], 2, v[8:9]
	v_min_f32_e32 v0, 0x7cf0bdc2, v0
	v_add_co_u32 v20, vcc_lo, s10, v9
	v_add_co_ci_u32_e64 v21, null, s11, v10, vcc_lo
	v_add_co_u32 v9, vcc_lo, s12, v9
	v_add_co_ci_u32_e64 v10, null, s13, v10, vcc_lo
	global_load_dword v11, v[20:21], off
	s_waitcnt vmcnt(0)
	v_mul_f32_e32 v0, v11, v0
	global_store_dword v[9:10], v0, off
	v_mad_u64_u32 v[8:9], null, 0xffffffdd, s0, v[8:9]
	v_mov_b32_e32 v9, v1
	v_lshlrev_b64 v[10:11], 2, v[8:9]
	v_mad_u64_u32 v[8:9], null, s0, 36, v[8:9]
	v_mov_b32_e32 v9, v1
	v_add_co_u32 v20, vcc_lo, s14, v10
	v_add_co_ci_u32_e64 v21, null, s15, v11, vcc_lo
	global_load_dword v35, v[20:21], off
	s_waitcnt vmcnt(0)
	v_mul_f32_e32 v0, v30, v35
	v_div_scale_f32 v10, null, v0, v0, 1.0
	v_rcp_f32_e32 v11, v10
	v_fma_f32 v22, -v10, v11, 1.0
	v_fmac_f32_e32 v11, v22, v11
	v_div_scale_f32 v22, vcc_lo, 1.0, v0, 1.0
	v_mul_f32_e32 v23, v22, v11
	v_fma_f32 v25, -v10, v23, v22
	v_fmac_f32_e32 v23, v25, v11
	v_fma_f32 v10, -v10, v23, v22
	v_div_fmas_f32 v10, v10, v11, v23
	v_div_fixup_f32 v33, v10, v0, 1.0
	v_lshlrev_b64 v[9:10], 2, v[8:9]
	v_mul_f32_e32 v0, v24, v33
	v_add_co_u32 v22, vcc_lo, s10, v9
	v_add_co_ci_u32_e64 v23, null, s11, v10, vcc_lo
	v_min_f32_e32 v0, 0x7cf0bdc2, v0
	v_add_co_u32 v9, vcc_lo, s12, v9
	global_load_dword v11, v[22:23], off
	v_add_co_ci_u32_e64 v10, null, s13, v10, vcc_lo
	s_waitcnt vmcnt(0)
	v_mul_f32_e32 v0, v11, v0
	global_store_dword v[9:10], v0, off
	v_add_nc_u32_e32 v0, s1, v8
	v_lshlrev_b64 v[8:9], 2, v[0:1]
	v_add_nc_u32_e32 v0, s2, v0
	s_mul_i32 s2, s0, 48
	v_add_co_u32 v10, vcc_lo, s14, v8
	v_add_co_ci_u32_e64 v11, null, s15, v9, vcc_lo
	v_lshlrev_b64 v[8:9], 2, v[0:1]
	global_load_dword v32, v[10:11], off
	v_add_co_u32 v8, vcc_lo, s14, v8
	v_add_co_ci_u32_e64 v9, null, s15, v9, vcc_lo
	global_load_dword v34, v[8:9], off
	s_waitcnt vmcnt(0)
	v_mul_f32_e32 v8, v32, v34
	v_div_scale_f32 v9, null, v8, v8, 1.0
	v_rcp_f32_e32 v22, v9
	v_fma_f32 v23, -v9, v22, 1.0
	v_fmac_f32_e32 v22, v23, v22
	v_div_scale_f32 v23, vcc_lo, 1.0, v8, 1.0
	v_mul_f32_e32 v25, v23, v22
	v_fma_f32 v36, -v9, v25, v23
	v_fmac_f32_e32 v25, v36, v22
	v_fma_f32 v9, -v9, v25, v23
	v_div_fmas_f32 v9, v9, v22, v25
	v_div_fixup_f32 v8, v9, v8, 1.0
	v_mul_f32_e32 v36, v24, v8
	v_mad_u64_u32 v[8:9], null, s0, 45, v[0:1]
	v_mov_b32_e32 v9, v1
	v_lshlrev_b64 v[22:23], 2, v[8:9]
	v_min_f32_e32 v9, 0x7cf0bdc2, v36
	v_add_co_u32 v24, vcc_lo, s10, v22
	v_add_co_ci_u32_e64 v25, null, s11, v23, vcc_lo
	v_add_co_u32 v22, vcc_lo, s12, v22
	v_add_co_ci_u32_e64 v23, null, s13, v23, vcc_lo
	global_load_dword v0, v[24:25], off
	s_waitcnt vmcnt(0)
	v_mul_f32_e32 v0, v0, v9
	global_store_dword v[22:23], v0, off
	v_add_nc_u32_e32 v0, s1, v8
	v_mul_f32_e32 v23, v28, v35
	v_lshlrev_b64 v[8:9], 2, v[0:1]
	v_div_scale_f32 v24, null, v23, v23, 1.0
	v_add_nc_u32_e32 v0, s2, v0
	v_add_co_u32 v8, vcc_lo, s14, v8
	v_add_co_ci_u32_e64 v9, null, s15, v9, vcc_lo
	v_rcp_f32_e32 v25, v24
	global_load_dword v22, v[8:9], off
	v_fma_f32 v35, -v24, v25, 1.0
	v_fmac_f32_e32 v25, v35, v25
	v_div_scale_f32 v35, vcc_lo, 1.0, v23, 1.0
	v_mul_f32_e32 v36, v35, v25
	v_fma_f32 v37, -v24, v36, v35
	v_fmac_f32_e32 v36, v37, v25
	v_fma_f32 v24, -v24, v36, v35
	v_div_fmas_f32 v24, v24, v25, v36
	v_div_fixup_f32 v23, v24, v23, 1.0
	s_waitcnt vmcnt(0)
	v_mul_f32_e32 v22, v31, v22
	v_mul_f32_e32 v35, v23, v22
	v_lshlrev_b64 v[22:23], 2, v[0:1]
	v_add_co_u32 v24, vcc_lo, s10, v22
	v_add_co_ci_u32_e64 v25, null, s11, v23, vcc_lo
	v_add_co_u32 v22, vcc_lo, s12, v22
	v_add_co_ci_u32_e64 v23, null, s13, v23, vcc_lo
	global_load_dword v24, v[24:25], off
	v_min_f32_e32 v25, 0x7cf0bdc2, v35
	s_waitcnt vmcnt(0)
	v_mul_f32_e32 v24, v24, v25
	global_store_dword v[22:23], v24, off
	v_mad_u64_u32 v[24:25], null, 0xffffffd7, s0, v[0:1]
	v_mov_b32_e32 v25, v1
	v_lshlrev_b64 v[22:23], 2, v[24:25]
	v_mad_u64_u32 v[24:25], null, s0, 12, v[24:25]
	v_mov_b32_e32 v25, v1
	v_add_co_u32 v22, vcc_lo, s14, v22
	v_add_co_ci_u32_e64 v23, null, s15, v23, vcc_lo
	v_lshlrev_b64 v[36:37], 2, v[24:25]
	v_mad_u64_u32 v[24:25], null, s0, 30, v[24:25]
	global_load_dword v35, v[22:23], off
	v_mov_b32_e32 v25, v1
	v_add_co_u32 v36, vcc_lo, s14, v36
	v_add_co_ci_u32_e64 v37, null, s15, v37, vcc_lo
	global_load_dword v36, v[36:37], off
	s_waitcnt vmcnt(1)
	v_mul_f32_e32 v0, v31, v35
	v_mul_f32_e32 v0, v26, v0
	s_waitcnt vmcnt(0)
	v_div_scale_f32 v37, null, v36, v36, 1.0
	v_rcp_f32_e32 v38, v37
	v_fma_f32 v39, -v37, v38, 1.0
	v_fmac_f32_e32 v38, v39, v38
	v_div_scale_f32 v39, vcc_lo, 1.0, v36, 1.0
	v_mul_f32_e32 v40, v39, v38
	v_fma_f32 v41, -v37, v40, v39
	v_fmac_f32_e32 v40, v41, v38
	v_fma_f32 v37, -v37, v40, v39
	v_div_fmas_f32 v37, v37, v38, v40
	v_div_fixup_f32 v36, v37, v36, 1.0
	v_mul_f32_e32 v0, v0, v36
	v_lshlrev_b64 v[36:37], 2, v[24:25]
	v_mad_u64_u32 v[24:25], null, 0xffffffdb, s0, v[24:25]
	v_mov_b32_e32 v25, v1
	v_min_f32_e32 v0, 0x7cf0bdc2, v0
	v_add_co_u32 v38, vcc_lo, s10, v36
	v_add_co_ci_u32_e64 v39, null, s11, v37, vcc_lo
	v_add_co_u32 v36, vcc_lo, s12, v36
	v_add_co_ci_u32_e64 v37, null, s13, v37, vcc_lo
	global_load_dword v38, v[38:39], off
	s_waitcnt vmcnt(0)
	v_mul_f32_e32 v0, v38, v0
	global_store_dword v[36:37], v0, off
	v_lshlrev_b64 v[36:37], 2, v[24:25]
	v_mul_f32_e32 v0, v31, v34
	v_add_co_u32 v36, vcc_lo, s14, v36
	v_add_co_ci_u32_e64 v37, null, s15, v37, vcc_lo
	global_load_dword v39, v[36:37], off
	s_waitcnt vmcnt(0)
	v_mul_f32_e32 v36, v30, v39
	v_div_scale_f32 v37, null, v36, v36, 1.0
	v_rcp_f32_e32 v38, v37
	v_fma_f32 v40, -v37, v38, 1.0
	v_fmac_f32_e32 v38, v40, v38
	v_div_scale_f32 v40, vcc_lo, 1.0, v36, 1.0
	v_mul_f32_e32 v41, v40, v38
	v_fma_f32 v42, -v37, v41, v40
	v_fmac_f32_e32 v41, v42, v38
	v_fma_f32 v37, -v37, v41, v40
	v_div_fmas_f32 v37, v37, v38, v41
	v_div_fixup_f32 v36, v37, v36, 1.0
	v_mul_f32_e32 v0, v0, v36
	v_mad_u64_u32 v[36:37], null, s0, 38, v[24:25]
	v_mov_b32_e32 v37, v1
	v_min_f32_e32 v0, 0x7cf0bdc2, v0
	v_lshlrev_b64 v[24:25], 2, v[36:37]
	v_add_co_u32 v37, vcc_lo, s10, v24
	v_add_co_ci_u32_e64 v38, null, s11, v25, vcc_lo
	v_add_co_u32 v24, vcc_lo, s12, v24
	v_add_co_ci_u32_e64 v25, null, s13, v25, vcc_lo
	global_load_dword v37, v[37:38], off
	s_waitcnt vmcnt(0)
	v_mul_f32_e32 v0, v37, v0
	global_store_dword v[24:25], v0, off
	v_add_co_u32 v24, vcc_lo, s14, v18
	v_add_co_ci_u32_e64 v25, null, s15, v19, vcc_lo
	v_mul_f32_e32 v0, v31, v31
	global_load_dword v43, v[24:25], off
	s_waitcnt vmcnt(0)
	v_mul_f32_e32 v18, v39, v43
	v_div_scale_f32 v19, null, v18, v18, 1.0
	v_rcp_f32_e32 v37, v19
	v_fma_f32 v38, -v19, v37, 1.0
	v_fmac_f32_e32 v37, v38, v37
	v_div_scale_f32 v38, vcc_lo, 1.0, v18, 1.0
	v_mul_f32_e32 v39, v38, v37
	v_fma_f32 v40, -v19, v39, v38
	v_fmac_f32_e32 v39, v40, v37
	v_fma_f32 v19, -v19, v39, v38
	v_div_fmas_f32 v19, v19, v37, v39
	v_div_fixup_f32 v18, v19, v18, 1.0
	v_mul_f32_e32 v38, v0, v18
	v_add_nc_u32_e32 v0, s0, v36
	v_lshlrev_b64 v[18:19], 2, v[0:1]
	v_add_nc_u32_e32 v0, s1, v0
	v_add_co_u32 v36, vcc_lo, s10, v18
	v_add_co_ci_u32_e64 v37, null, s11, v19, vcc_lo
	v_add_co_u32 v18, vcc_lo, s12, v18
	v_add_co_ci_u32_e64 v19, null, s13, v19, vcc_lo
	global_load_dword v36, v[36:37], off
	v_min_f32_e32 v37, 0x7cf0bdc2, v38
	s_waitcnt vmcnt(0)
	v_mul_f32_e32 v36, v36, v37
	global_store_dword v[18:19], v36, off
	v_lshlrev_b64 v[18:19], 2, v[0:1]
	v_add_nc_u32_e32 v0, s2, v0
	v_add_co_u32 v36, vcc_lo, s14, v18
	v_add_co_ci_u32_e64 v37, null, s15, v19, vcc_lo
	v_div_scale_f32 v18, null, v31, v31, 1.0
	global_load_dword v44, v[36:37], off
	v_rcp_f32_e32 v19, v18
	v_fma_f32 v38, -v18, v19, 1.0
	v_fmac_f32_e32 v19, v38, v19
	v_div_scale_f32 v38, vcc_lo, 1.0, v31, 1.0
	v_mul_f32_e32 v39, v38, v19
	v_fma_f32 v40, -v18, v39, v38
	v_fmac_f32_e32 v39, v40, v19
	v_fma_f32 v18, -v18, v39, v38
	v_div_fmas_f32 v18, v18, v19, v39
	v_div_fixup_f32 v18, v18, v31, 1.0
	s_waitcnt vmcnt(0)
	v_mul_f32_e32 v31, v18, v44
	v_lshlrev_b64 v[18:19], 2, v[0:1]
	v_add_nc_u32_e32 v0, s0, v0
	v_min_f32_e32 v31, 0x7cf0bdc2, v31
	v_add_co_u32 v38, vcc_lo, s10, v18
	v_add_co_ci_u32_e64 v39, null, s11, v19, vcc_lo
	v_add_co_u32 v18, vcc_lo, s12, v18
	v_add_co_ci_u32_e64 v19, null, s13, v19, vcc_lo
	global_load_dword v38, v[38:39], off
	s_waitcnt vmcnt(0)
	v_mul_f32_e32 v31, v38, v31
	global_store_dword v[18:19], v31, off
	v_mul_f32_e32 v19, v34, v43
	v_mul_f32_e32 v18, v30, v44
	v_div_scale_f32 v31, null, v19, v19, 1.0
	v_rcp_f32_e32 v34, v31
	v_fma_f32 v38, -v31, v34, 1.0
	v_fmac_f32_e32 v34, v38, v34
	v_div_scale_f32 v38, vcc_lo, 1.0, v19, 1.0
	v_mul_f32_e32 v39, v38, v34
	v_fma_f32 v40, -v31, v39, v38
	v_fmac_f32_e32 v39, v40, v34
	v_fma_f32 v31, -v31, v39, v38
	v_div_fmas_f32 v31, v31, v34, v39
	v_div_fixup_f32 v19, v31, v19, 1.0
	v_mul_f32_e32 v31, v19, v18
	v_lshlrev_b64 v[18:19], 2, v[0:1]
	v_min_f32_e32 v31, 0x7cf0bdc2, v31
	v_add_co_u32 v38, vcc_lo, s10, v18
	v_add_co_ci_u32_e64 v39, null, s11, v19, vcc_lo
	v_add_co_u32 v18, vcc_lo, s12, v18
	v_add_co_ci_u32_e64 v19, null, s13, v19, vcc_lo
	global_load_dword v34, v[38:39], off
	v_mad_u64_u32 v[38:39], null, 0xffffffc7, s0, v[0:1]
	v_mov_b32_e32 v39, v1
	s_waitcnt vmcnt(0)
	v_mul_f32_e32 v31, v34, v31
	global_store_dword v[18:19], v31, off
	v_mul_f32_e32 v31, v35, v43
	v_lshlrev_b64 v[18:19], 2, v[38:39]
	v_div_scale_f32 v34, null, v31, v31, 1.0
	v_add_co_u32 v18, vcc_lo, s14, v18
	v_add_co_ci_u32_e64 v19, null, s15, v19, vcc_lo
	v_rcp_f32_e32 v39, v34
	global_load_dword v0, v[18:19], off
	v_fma_f32 v40, -v34, v39, 1.0
	v_fmac_f32_e32 v39, v40, v39
	v_div_scale_f32 v40, vcc_lo, 1.0, v31, 1.0
	v_mul_f32_e32 v41, v40, v39
	v_fma_f32 v42, -v34, v41, v40
	v_fmac_f32_e32 v41, v42, v39
	v_fma_f32 v34, -v34, v41, v40
	v_div_fmas_f32 v34, v34, v39, v41
	v_mad_u64_u32 v[38:39], null, s0, 58, v[38:39]
	v_mov_b32_e32 v39, v1
	v_div_fixup_f32 v31, v34, v31, 1.0
	v_lshlrev_b64 v[39:40], 2, v[38:39]
	v_add_co_u32 v41, vcc_lo, s10, v39
	v_add_co_ci_u32_e64 v42, null, s11, v40, vcc_lo
	v_add_co_u32 v39, vcc_lo, s12, v39
	v_add_co_ci_u32_e64 v40, null, s13, v40, vcc_lo
	global_load_dword v34, v[41:42], off
	s_waitcnt vmcnt(1)
	v_mul_f32_e32 v0, v44, v0
	v_mul_f32_e32 v31, v31, v0
	v_min_f32_e32 v31, 0x7cf0bdc2, v31
	s_waitcnt vmcnt(0)
	v_mul_f32_e32 v31, v34, v31
	global_store_dword v[39:40], v31, off
	v_div_scale_f32 v31, null, v29, v29, 1.0
	v_rcp_f32_e32 v34, v31
	v_fma_f32 v39, -v31, v34, 1.0
	v_fmac_f32_e32 v34, v39, v34
	v_div_scale_f32 v39, vcc_lo, 1.0, v29, 1.0
	v_mul_f32_e32 v40, v39, v34
	v_fma_f32 v41, -v31, v40, v39
	v_fmac_f32_e32 v40, v41, v34
	v_fma_f32 v31, -v31, v40, v39
	v_div_fmas_f32 v31, v31, v34, v40
	v_div_fixup_f32 v29, v31, v29, 1.0
	v_mul_f32_e32 v29, v29, v0
	v_add_nc_u32_e32 v0, s0, v38
	v_min_f32_e32 v29, 0x7cf0bdc2, v29
	v_lshlrev_b64 v[38:39], 2, v[0:1]
	v_add_nc_u32_e32 v0, s0, v0
	v_add_co_u32 v40, vcc_lo, s10, v38
	v_add_co_ci_u32_e64 v41, null, s11, v39, vcc_lo
	v_add_co_u32 v38, vcc_lo, s12, v38
	v_add_co_ci_u32_e64 v39, null, s13, v39, vcc_lo
	global_load_dword v31, v[40:41], off
	s_waitcnt vmcnt(0)
	v_mul_f32_e32 v29, v31, v29
	global_store_dword v[38:39], v29, off
	v_mul_f32_e32 v29, v28, v44
	v_mul_f32_e32 v29, v33, v29
	v_lshlrev_b64 v[33:34], 2, v[0:1]
	v_min_f32_e32 v29, 0x7cf0bdc2, v29
	v_add_co_u32 v38, vcc_lo, s10, v33
	v_add_co_ci_u32_e64 v39, null, s11, v34, vcc_lo
	v_add_co_u32 v33, vcc_lo, s12, v33
	v_add_co_ci_u32_e64 v34, null, s13, v34, vcc_lo
	global_load_dword v31, v[38:39], off
	s_waitcnt vmcnt(0)
	v_mul_f32_e32 v29, v29, v31
	global_store_dword v[33:34], v29, off
	v_mad_u64_u32 v[33:34], null, 0xffffffcd, s0, v[0:1]
	v_mov_b32_e32 v34, v1
	v_mul_f32_e32 v29, v43, v44
	v_lshlrev_b64 v[38:39], 2, v[33:34]
	v_mad_u64_u32 v[33:34], null, s0, 52, v[33:34]
	v_mov_b32_e32 v34, v1
	v_add_co_u32 v38, vcc_lo, s14, v38
	v_add_co_ci_u32_e64 v39, null, s15, v39, vcc_lo
	global_load_dword v0, v[38:39], off
	s_waitcnt vmcnt(0)
	v_mul_f32_e32 v0, v30, v0
	v_div_scale_f32 v31, null, v0, v0, 1.0
	v_rcp_f32_e32 v38, v31
	v_fma_f32 v39, -v31, v38, 1.0
	v_fmac_f32_e32 v38, v39, v38
	v_div_scale_f32 v39, vcc_lo, 1.0, v0, 1.0
	v_mul_f32_e32 v40, v39, v38
	v_fma_f32 v41, -v31, v40, v39
	v_fmac_f32_e32 v40, v41, v38
	v_fma_f32 v31, -v31, v40, v39
	v_div_fmas_f32 v31, v31, v38, v40
	v_lshlrev_b64 v[38:39], 2, v[33:34]
	v_div_fixup_f32 v0, v31, v0, 1.0
	v_mul_f32_e32 v31, v27, v44
	v_add_co_u32 v40, vcc_lo, s10, v38
	v_add_co_ci_u32_e64 v41, null, s11, v39, vcc_lo
	v_mul_f32_e32 v0, v29, v0
	v_add_co_u32 v38, vcc_lo, s12, v38
	global_load_dword v29, v[40:41], off
	v_add_co_ci_u32_e64 v39, null, s13, v39, vcc_lo
	v_min_f32_e32 v0, 0x7cf0bdc2, v0
	s_waitcnt vmcnt(0)
	v_mul_f32_e32 v0, v29, v0
	global_store_dword v[38:39], v0, off
	v_mul_f32_e32 v0, v28, v30
	v_mul_f32_e32 v0, v0, v35
	;; [unrolled: 1-line block ×3, first 2 shown]
	v_div_scale_f32 v27, null, v0, v0, 1.0
	v_rcp_f32_e32 v28, v27
	v_fma_f32 v29, -v27, v28, 1.0
	v_fmac_f32_e32 v28, v29, v28
	v_div_scale_f32 v29, vcc_lo, 1.0, v0, 1.0
	v_mul_f32_e32 v30, v29, v28
	v_fma_f32 v34, -v27, v30, v29
	v_fmac_f32_e32 v30, v34, v28
	v_fma_f32 v27, -v27, v30, v29
	v_div_fmas_f32 v27, v27, v28, v30
	v_div_fixup_f32 v0, v27, v0, 1.0
	v_mul_f32_e32 v34, v0, v31
	v_add_nc_u32_e32 v0, s0, v33
	v_lshlrev_b64 v[27:28], 2, v[0:1]
	v_add_nc_u32_e32 v0, s0, v0
	v_add_co_u32 v29, vcc_lo, s10, v27
	v_add_co_ci_u32_e64 v30, null, s11, v28, vcc_lo
	v_add_co_u32 v27, vcc_lo, s12, v27
	v_add_co_ci_u32_e64 v28, null, s13, v28, vcc_lo
	global_load_dword v29, v[29:30], off
	v_min_f32_e32 v30, 0x7cf0bdc2, v34
	s_waitcnt vmcnt(0)
	v_mul_f32_e32 v29, v30, v29
	global_store_dword v[27:28], v29, off
	v_mul_f32_e32 v27, v32, v35
	v_div_scale_f32 v28, null, v27, v27, 1.0
	v_rcp_f32_e32 v29, v28
	v_fma_f32 v30, -v28, v29, 1.0
	v_fmac_f32_e32 v29, v30, v29
	v_div_scale_f32 v30, vcc_lo, 1.0, v27, 1.0
	v_mul_f32_e32 v32, v30, v29
	v_fma_f32 v33, -v28, v32, v30
	v_fmac_f32_e32 v32, v33, v29
	v_fma_f32 v28, -v28, v32, v30
	v_div_fmas_f32 v28, v28, v29, v32
	v_div_fixup_f32 v27, v28, v27, 1.0
	v_mul_f32_e32 v31, v27, v31
	v_lshlrev_b64 v[27:28], 2, v[0:1]
	v_add_nc_u32_e32 v0, s0, v0
	v_add_co_u32 v29, vcc_lo, s10, v27
	v_add_co_ci_u32_e64 v30, null, s11, v28, vcc_lo
	v_add_co_u32 v27, vcc_lo, s12, v27
	v_add_co_ci_u32_e64 v28, null, s13, v28, vcc_lo
	global_load_dword v29, v[29:30], off
	v_min_f32_e32 v30, 0x7cf0bdc2, v31
	s_waitcnt vmcnt(0)
	v_mul_f32_e32 v29, v30, v29
	global_store_dword v[27:28], v29, off
	v_rcp_f32_e32 v27, v13
	v_fma_f32 v28, -v13, v27, 1.0
	v_fmac_f32_e32 v27, v28, v27
	v_div_scale_f32 v28, vcc_lo, 1.0, v12, 1.0
	v_mul_f32_e32 v29, v28, v27
	v_fma_f32 v30, -v13, v29, v28
	v_fmac_f32_e32 v29, v30, v27
	v_fma_f32 v13, -v13, v29, v28
	v_div_fmas_f32 v13, v13, v27, v29
	v_div_fixup_f32 v29, v13, v12, 1.0
	v_lshlrev_b64 v[12:13], 2, v[0:1]
	v_add_nc_u32_e32 v0, s0, v0
	v_mul_f32_e32 v30, v44, v29
	v_add_co_u32 v27, vcc_lo, s10, v12
	v_add_co_ci_u32_e64 v28, null, s11, v13, vcc_lo
	v_add_co_u32 v12, vcc_lo, s12, v12
	v_add_co_ci_u32_e64 v13, null, s13, v13, vcc_lo
	global_load_dword v27, v[27:28], off
	v_min_f32_e32 v28, 0x7cf0bdc2, v30
	global_load_dword v30, v[36:37], off
	s_waitcnt vmcnt(1)
	v_mul_f32_e32 v27, v27, v28
	s_waitcnt vmcnt(0)
	v_mul_f32_e32 v29, v30, v29
	global_store_dword v[12:13], v27, off
	v_lshlrev_b64 v[12:13], 2, v[0:1]
	v_min_f32_e32 v29, 0x7cf0bdc2, v29
	v_add_nc_u32_e32 v0, s0, v0
	v_add_co_u32 v27, vcc_lo, s10, v12
	v_add_co_ci_u32_e64 v28, null, s11, v13, vcc_lo
	v_add_co_u32 v12, vcc_lo, s12, v12
	v_add_co_ci_u32_e64 v13, null, s13, v13, vcc_lo
	global_load_dword v27, v[27:28], off
	s_waitcnt vmcnt(0)
	v_mul_f32_e32 v27, v27, v29
	global_store_dword v[12:13], v27, off
	v_lshlrev_b64 v[12:13], 2, v[0:1]
	v_add_nc_u32_e32 v0, s0, v0
	v_add_co_u32 v27, vcc_lo, s10, v12
	v_add_co_ci_u32_e64 v28, null, s11, v13, vcc_lo
	v_add_co_u32 v12, vcc_lo, s12, v12
	v_add_co_ci_u32_e64 v13, null, s13, v13, vcc_lo
	global_load_dword v27, v[27:28], off
	s_waitcnt vmcnt(0)
	v_mul_f32_e32 v27, v27, v29
	global_store_dword v[12:13], v27, off
	s_clause 0x2
	global_load_dword v12, v[16:17], off
	global_load_dword v13, v[22:23], off
	;; [unrolled: 1-line block ×3, first 2 shown]
	s_waitcnt vmcnt(2)
	v_mul_f32_e32 v12, v30, v12
	s_waitcnt vmcnt(0)
	v_mul_f32_e32 v13, v13, v16
	v_div_scale_f32 v17, null, v13, v13, 1.0
	v_rcp_f32_e32 v20, v17
	v_fma_f32 v21, -v17, v20, 1.0
	v_fmac_f32_e32 v20, v21, v20
	v_div_scale_f32 v21, vcc_lo, 1.0, v13, 1.0
	v_mul_f32_e32 v22, v21, v20
	v_fma_f32 v23, -v17, v22, v21
	v_fmac_f32_e32 v22, v23, v20
	v_fma_f32 v17, -v17, v22, v21
	v_div_fmas_f32 v17, v17, v20, v22
	v_div_fixup_f32 v13, v17, v13, 1.0
	v_mul_f32_e32 v17, v12, v13
	v_lshlrev_b64 v[12:13], 2, v[0:1]
	v_min_f32_e32 v17, 0x7cf0bdc2, v17
	v_add_co_u32 v20, vcc_lo, s10, v12
	v_add_co_ci_u32_e64 v21, null, s11, v13, vcc_lo
	v_add_co_u32 v12, vcc_lo, s12, v12
	v_add_co_ci_u32_e64 v13, null, s13, v13, vcc_lo
	global_load_dword v20, v[20:21], off
	s_waitcnt vmcnt(0)
	v_mul_f32_e32 v17, v20, v17
	global_store_dword v[12:13], v17, off
	global_load_dword v12, v[14:15], off
	s_waitcnt vmcnt(0)
	v_mul_f32_e32 v14, v12, v16
	v_mad_u64_u32 v[12:13], null, 0xffffffcc, s0, v[0:1]
	v_mov_b32_e32 v13, v1
	v_mul_f32_e32 v15, v26, v14
	v_lshlrev_b64 v[20:21], 2, v[12:13]
	v_add_co_u32 v20, vcc_lo, s14, v20
	v_add_co_ci_u32_e64 v21, null, s15, v21, vcc_lo
	global_load_dword v0, v[20:21], off
	s_waitcnt vmcnt(0)
	v_div_scale_f32 v13, null, v0, v0, 1.0
	v_rcp_f32_e32 v17, v13
	v_fma_f32 v20, -v13, v17, 1.0
	v_fmac_f32_e32 v17, v20, v17
	v_div_scale_f32 v20, vcc_lo, 1.0, v0, 1.0
	v_mul_f32_e32 v21, v20, v17
	v_fma_f32 v22, -v13, v21, v20
	v_fmac_f32_e32 v21, v22, v17
	v_fma_f32 v13, -v13, v21, v20
	v_div_fmas_f32 v13, v13, v17, v21
	v_div_fixup_f32 v0, v13, v0, 1.0
	v_mad_u64_u32 v[12:13], null, s0, 53, v[12:13]
	v_mov_b32_e32 v13, v1
	v_mul_f32_e32 v0, v15, v0
	v_lshlrev_b64 v[20:21], 2, v[12:13]
	v_min_f32_e32 v0, 0x7cf0bdc2, v0
	v_add_co_u32 v22, vcc_lo, s10, v20
	v_add_co_ci_u32_e64 v23, null, s11, v21, vcc_lo
	v_add_co_u32 v20, vcc_lo, s12, v20
	v_add_co_ci_u32_e64 v21, null, s13, v21, vcc_lo
	global_load_dword v13, v[22:23], off
	s_waitcnt vmcnt(0)
	v_mul_f32_e32 v0, v13, v0
	global_store_dword v[20:21], v0, off
	s_clause 0x3
	global_load_dword v0, v[24:25], off
	global_load_dword v6, v[6:7], off
	;; [unrolled: 1-line block ×4, first 2 shown]
	s_waitcnt vmcnt(2)
	v_mul_f32_e32 v0, v0, v6
	s_waitcnt vmcnt(1)
	v_mul_f32_e32 v2, v2, v16
	;; [unrolled: 2-line block ×3, first 2 shown]
	v_div_scale_f32 v7, null, v0, v0, 1.0
	v_rcp_f32_e32 v13, v7
	v_fma_f32 v15, -v7, v13, 1.0
	v_fmac_f32_e32 v13, v15, v13
	v_div_scale_f32 v15, vcc_lo, 1.0, v0, 1.0
	v_mul_f32_e32 v17, v15, v13
	v_fma_f32 v20, -v7, v17, v15
	v_fmac_f32_e32 v17, v20, v13
	v_fma_f32 v7, -v7, v17, v15
	v_div_fmas_f32 v7, v7, v13, v17
	v_div_fixup_f32 v0, v7, v0, 1.0
	v_mul_f32_e32 v7, v14, v0
	v_add_nc_u32_e32 v0, s0, v12
	v_min_f32_e32 v7, 0x7cf0bdc2, v7
	v_lshlrev_b64 v[12:13], 2, v[0:1]
	v_add_nc_u32_e32 v0, s0, v0
	v_add_co_u32 v14, vcc_lo, s10, v12
	v_add_co_ci_u32_e64 v15, null, s11, v13, vcc_lo
	v_add_co_u32 v12, vcc_lo, s12, v12
	v_add_co_ci_u32_e64 v13, null, s13, v13, vcc_lo
	global_load_dword v14, v[14:15], off
	s_waitcnt vmcnt(0)
	v_mul_f32_e32 v7, v14, v7
	global_load_dword v14, v[4:5], off
	global_store_dword v[12:13], v7, off
	global_load_dword v7, v[18:19], off
	s_waitcnt vmcnt(1)
	v_mul_f32_e32 v4, v14, v6
	v_div_scale_f32 v5, null, v4, v4, 1.0
	s_waitcnt vmcnt(0)
	v_mul_f32_e32 v7, v7, v16
	v_rcp_f32_e32 v12, v5
	v_fma_f32 v13, -v5, v12, 1.0
	v_fmac_f32_e32 v12, v13, v12
	v_div_scale_f32 v13, vcc_lo, 1.0, v4, 1.0
	v_mul_f32_e32 v15, v13, v12
	v_fma_f32 v17, -v5, v15, v13
	v_fmac_f32_e32 v15, v17, v12
	v_fma_f32 v5, -v5, v15, v13
	v_div_fmas_f32 v5, v5, v12, v15
	v_div_fixup_f32 v4, v5, v4, 1.0
	v_mul_f32_e32 v7, v7, v4
	v_lshlrev_b64 v[4:5], 2, v[0:1]
	v_add_nc_u32_e32 v0, s0, v0
	v_min_f32_e32 v7, 0x7cf0bdc2, v7
	v_add_co_u32 v12, vcc_lo, s10, v4
	v_add_co_ci_u32_e64 v13, null, s11, v5, vcc_lo
	v_add_co_u32 v4, vcc_lo, s12, v4
	v_add_co_ci_u32_e64 v5, null, s13, v5, vcc_lo
	global_load_dword v12, v[12:13], off
	s_waitcnt vmcnt(0)
	v_mul_f32_e32 v7, v12, v7
	global_store_dword v[4:5], v7, off
	global_load_dword v5, v[10:11], off
	v_mul_f32_e32 v4, v14, v16
	s_waitcnt vmcnt(0)
	v_mul_f32_e32 v5, v5, v6
	v_div_scale_f32 v7, null, v5, v5, 1.0
	v_rcp_f32_e32 v10, v7
	v_fma_f32 v11, -v7, v10, 1.0
	v_fmac_f32_e32 v10, v11, v10
	v_div_scale_f32 v11, vcc_lo, 1.0, v5, 1.0
	v_mul_f32_e32 v12, v11, v10
	v_fma_f32 v13, -v7, v12, v11
	v_fmac_f32_e32 v12, v13, v10
	v_fma_f32 v7, -v7, v12, v11
	v_div_fmas_f32 v7, v7, v10, v12
	v_div_fixup_f32 v5, v7, v5, 1.0
	v_mul_f32_e32 v7, v4, v5
	v_lshlrev_b64 v[4:5], 2, v[0:1]
	v_add_nc_u32_e32 v0, s0, v0
	v_min_f32_e32 v7, 0x7cf0bdc2, v7
	v_add_co_u32 v10, vcc_lo, s10, v4
	v_add_co_ci_u32_e64 v11, null, s11, v5, vcc_lo
	v_add_co_u32 v4, vcc_lo, s12, v4
	v_add_co_ci_u32_e64 v5, null, s13, v5, vcc_lo
	global_load_dword v10, v[10:11], off
	v_lshlrev_b64 v[0:1], 2, v[0:1]
	s_waitcnt vmcnt(0)
	v_mul_f32_e32 v7, v10, v7
	global_store_dword v[4:5], v7, off
	v_div_scale_f32 v4, null, v3, v3, 1.0
	v_rcp_f32_e32 v5, v4
	v_fma_f32 v6, -v4, v5, 1.0
	v_fmac_f32_e32 v5, v6, v5
	v_div_scale_f32 v6, vcc_lo, 1.0, v3, 1.0
	v_mul_f32_e32 v7, v6, v5
	v_fma_f32 v8, -v4, v7, v6
	v_fmac_f32_e32 v7, v8, v5
	v_fma_f32 v4, -v4, v7, v6
	v_div_fmas_f32 v4, v4, v5, v7
	v_div_fixup_f32 v3, v4, v3, 1.0
	v_mul_f32_e32 v2, v2, v3
	v_add_co_u32 v3, vcc_lo, s10, v0
	v_add_co_ci_u32_e64 v4, null, s11, v1, vcc_lo
	v_min_f32_e32 v2, 0x7cf0bdc2, v2
	v_add_co_u32 v0, vcc_lo, s12, v0
	global_load_dword v3, v[3:4], off
	v_add_co_ci_u32_e64 v1, null, s13, v1, vcc_lo
	s_waitcnt vmcnt(0)
	v_mul_f32_e32 v2, v3, v2
	global_store_dword v[0:1], v2, off
	s_endpgm
	.section	.rodata,"a",@progbits
	.p2align	6, 0x0
	.amdhsa_kernel _Z12ratt4_kernelIfEvPKT_S2_PS0_S2_S0_
		.amdhsa_group_segment_fixed_size 0
		.amdhsa_private_segment_fixed_size 0
		.amdhsa_kernarg_size 296
		.amdhsa_user_sgpr_count 6
		.amdhsa_user_sgpr_private_segment_buffer 1
		.amdhsa_user_sgpr_dispatch_ptr 0
		.amdhsa_user_sgpr_queue_ptr 0
		.amdhsa_user_sgpr_kernarg_segment_ptr 1
		.amdhsa_user_sgpr_dispatch_id 0
		.amdhsa_user_sgpr_flat_scratch_init 0
		.amdhsa_user_sgpr_private_segment_size 0
		.amdhsa_wavefront_size32 1
		.amdhsa_uses_dynamic_stack 0
		.amdhsa_system_sgpr_private_segment_wavefront_offset 0
		.amdhsa_system_sgpr_workgroup_id_x 1
		.amdhsa_system_sgpr_workgroup_id_y 0
		.amdhsa_system_sgpr_workgroup_id_z 0
		.amdhsa_system_sgpr_workgroup_info 0
		.amdhsa_system_vgpr_workitem_id 0
		.amdhsa_next_free_vgpr 45
		.amdhsa_next_free_sgpr 16
		.amdhsa_reserve_vcc 1
		.amdhsa_reserve_flat_scratch 0
		.amdhsa_float_round_mode_32 0
		.amdhsa_float_round_mode_16_64 0
		.amdhsa_float_denorm_mode_32 3
		.amdhsa_float_denorm_mode_16_64 3
		.amdhsa_dx10_clamp 1
		.amdhsa_ieee_mode 1
		.amdhsa_fp16_overflow 0
		.amdhsa_workgroup_processor_mode 1
		.amdhsa_memory_ordered 1
		.amdhsa_forward_progress 1
		.amdhsa_shared_vgpr_count 0
		.amdhsa_exception_fp_ieee_invalid_op 0
		.amdhsa_exception_fp_denorm_src 0
		.amdhsa_exception_fp_ieee_div_zero 0
		.amdhsa_exception_fp_ieee_overflow 0
		.amdhsa_exception_fp_ieee_underflow 0
		.amdhsa_exception_fp_ieee_inexact 0
		.amdhsa_exception_int_div_zero 0
	.end_amdhsa_kernel
	.section	.text._Z12ratt4_kernelIfEvPKT_S2_PS0_S2_S0_,"axG",@progbits,_Z12ratt4_kernelIfEvPKT_S2_PS0_S2_S0_,comdat
.Lfunc_end5:
	.size	_Z12ratt4_kernelIfEvPKT_S2_PS0_S2_S0_, .Lfunc_end5-_Z12ratt4_kernelIfEvPKT_S2_PS0_S2_S0_
                                        ; -- End function
	.set _Z12ratt4_kernelIfEvPKT_S2_PS0_S2_S0_.num_vgpr, 45
	.set _Z12ratt4_kernelIfEvPKT_S2_PS0_S2_S0_.num_agpr, 0
	.set _Z12ratt4_kernelIfEvPKT_S2_PS0_S2_S0_.numbered_sgpr, 16
	.set _Z12ratt4_kernelIfEvPKT_S2_PS0_S2_S0_.num_named_barrier, 0
	.set _Z12ratt4_kernelIfEvPKT_S2_PS0_S2_S0_.private_seg_size, 0
	.set _Z12ratt4_kernelIfEvPKT_S2_PS0_S2_S0_.uses_vcc, 1
	.set _Z12ratt4_kernelIfEvPKT_S2_PS0_S2_S0_.uses_flat_scratch, 0
	.set _Z12ratt4_kernelIfEvPKT_S2_PS0_S2_S0_.has_dyn_sized_stack, 0
	.set _Z12ratt4_kernelIfEvPKT_S2_PS0_S2_S0_.has_recursion, 0
	.set _Z12ratt4_kernelIfEvPKT_S2_PS0_S2_S0_.has_indirect_call, 0
	.section	.AMDGPU.csdata,"",@progbits
; Kernel info:
; codeLenInByte = 4992
; TotalNumSgprs: 18
; NumVgprs: 45
; ScratchSize: 0
; MemoryBound: 0
; FloatMode: 240
; IeeeMode: 1
; LDSByteSize: 0 bytes/workgroup (compile time only)
; SGPRBlocks: 0
; VGPRBlocks: 5
; NumSGPRsForWavesPerEU: 18
; NumVGPRsForWavesPerEU: 45
; Occupancy: 16
; WaveLimiterHint : 0
; COMPUTE_PGM_RSRC2:SCRATCH_EN: 0
; COMPUTE_PGM_RSRC2:USER_SGPR: 6
; COMPUTE_PGM_RSRC2:TRAP_HANDLER: 0
; COMPUTE_PGM_RSRC2:TGID_X_EN: 1
; COMPUTE_PGM_RSRC2:TGID_Y_EN: 0
; COMPUTE_PGM_RSRC2:TGID_Z_EN: 0
; COMPUTE_PGM_RSRC2:TIDIG_COMP_CNT: 0
	.section	.text._Z12ratt5_kernelIfEvPKT_S2_PS0_S2_S0_,"axG",@progbits,_Z12ratt5_kernelIfEvPKT_S2_PS0_S2_S0_,comdat
	.protected	_Z12ratt5_kernelIfEvPKT_S2_PS0_S2_S0_ ; -- Begin function _Z12ratt5_kernelIfEvPKT_S2_PS0_S2_S0_
	.globl	_Z12ratt5_kernelIfEvPKT_S2_PS0_S2_S0_
	.p2align	8
	.type	_Z12ratt5_kernelIfEvPKT_S2_PS0_S2_S0_,@function
_Z12ratt5_kernelIfEvPKT_S2_PS0_S2_S0_:  ; @_Z12ratt5_kernelIfEvPKT_S2_PS0_S2_S0_
; %bb.0:
	s_clause 0x3
	s_load_dwordx8 s[8:15], s[4:5], 0x0
	s_load_dword s0, s[4:5], 0x20
	s_load_dword s1, s[4:5], 0x28
	;; [unrolled: 1-line block ×3, first 2 shown]
	s_waitcnt lgkmcnt(0)
	s_and_b32 s2, s2, 0xffff
	v_mad_u64_u32 v[0:1], null, s6, s2, v[0:1]
	v_mov_b32_e32 v1, 0
	v_lshlrev_b64 v[12:13], 2, v[0:1]
	v_add_co_u32 v2, vcc_lo, s8, v12
	v_add_co_ci_u32_e64 v3, null, s9, v13, vcc_lo
	global_load_dword v2, v[2:3], off
	s_waitcnt vmcnt(0)
	v_mul_f32_e32 v2, s0, v2
	s_mul_i32 s0, s1, s2
	s_mul_i32 s1, s0, 0xffffffbf
	;; [unrolled: 1-line block ×3, first 2 shown]
	v_mul_f32_e32 v2, 0x4c9e9632, v2
	s_mul_i32 s3, s0, 0xffffffbb
	s_mul_i32 s4, s0, 0x45
	v_div_scale_f32 v3, null, v2, v2, 1.0
	v_rcp_f32_e32 v4, v3
	v_fma_f32 v5, -v3, v4, 1.0
	v_fmac_f32_e32 v4, v5, v4
	v_div_scale_f32 v5, vcc_lo, 1.0, v2, 1.0
	v_mul_f32_e32 v6, v5, v4
	v_fma_f32 v7, -v3, v6, v5
	v_fmac_f32_e32 v6, v7, v4
	v_fma_f32 v3, -v3, v6, v5
	v_div_fmas_f32 v3, v3, v4, v6
	v_div_fixup_f32 v2, v3, v2, 1.0
	v_mul_f32_e32 v20, 0x49776020, v2
	v_mad_u64_u32 v[2:3], null, s0, 6, v[0:1]
	v_mov_b32_e32 v3, v1
	v_add_nc_u32_e32 v0, s0, v0
	v_lshlrev_b64 v[3:4], 2, v[2:3]
	v_add_co_u32 v3, vcc_lo, s14, v3
	v_add_co_ci_u32_e64 v4, null, s15, v4, vcc_lo
	global_load_dword v24, v[3:4], off
	v_mad_u64_u32 v[4:5], null, s0, 10, v[2:3]
	v_mov_b32_e32 v5, v1
	v_lshlrev_b64 v[2:3], 2, v[4:5]
	v_mad_u64_u32 v[4:5], null, s0, -9, v[4:5]
	v_mov_b32_e32 v5, v1
	v_add_co_u32 v2, vcc_lo, s14, v2
	v_add_co_ci_u32_e64 v3, null, s15, v3, vcc_lo
	v_lshlrev_b64 v[5:6], 2, v[4:5]
	v_lshl_add_u32 v4, s0, 3, v4
	global_load_dword v21, v[2:3], off
	v_add_co_u32 v5, vcc_lo, s14, v5
	v_add_co_ci_u32_e64 v6, null, s15, v6, vcc_lo
	global_load_dword v25, v[5:6], off
	v_mov_b32_e32 v5, v1
	v_lshlrev_b64 v[6:7], 2, v[4:5]
	v_mad_u64_u32 v[4:5], null, s0, 60, v[4:5]
	v_mov_b32_e32 v5, v1
	v_add_co_u32 v6, vcc_lo, s14, v6
	v_add_co_ci_u32_e64 v7, null, s15, v7, vcc_lo
	global_load_dword v22, v[6:7], off
	s_waitcnt vmcnt(2)
	v_mul_f32_e32 v8, v24, v21
	s_waitcnt vmcnt(0)
	v_mul_f32_e32 v6, v25, v22
	v_div_scale_f32 v7, null, v6, v6, 1.0
	v_rcp_f32_e32 v9, v7
	v_fma_f32 v10, -v7, v9, 1.0
	v_fmac_f32_e32 v9, v10, v9
	v_div_scale_f32 v10, vcc_lo, 1.0, v6, 1.0
	v_mul_f32_e32 v11, v10, v9
	v_fma_f32 v14, -v7, v11, v10
	v_fmac_f32_e32 v11, v14, v9
	v_fma_f32 v7, -v7, v11, v10
	v_div_fmas_f32 v7, v7, v9, v11
	v_div_fixup_f32 v6, v7, v6, 1.0
	v_mul_f32_e32 v9, v8, v6
	v_lshlrev_b64 v[5:6], 2, v[4:5]
	v_add_co_u32 v7, vcc_lo, s10, v5
	v_add_co_ci_u32_e64 v8, null, s11, v6, vcc_lo
	v_add_co_u32 v5, vcc_lo, s12, v5
	v_add_co_ci_u32_e64 v6, null, s13, v6, vcc_lo
	global_load_dword v7, v[7:8], off
	v_min_f32_e32 v8, 0x7cf0bdc2, v9
	s_waitcnt vmcnt(0)
	v_mul_f32_e32 v7, v7, v8
	global_store_dword v[5:6], v7, off
	v_mad_u64_u32 v[4:5], null, 0xffffffbd, s0, v[4:5]
	v_mov_b32_e32 v5, v1
	v_lshlrev_b64 v[4:5], 2, v[4:5]
	v_add_co_u32 v4, vcc_lo, s14, v4
	v_add_co_ci_u32_e64 v5, null, s15, v5, vcc_lo
	global_load_dword v26, v[4:5], off
	v_lshlrev_b64 v[4:5], 2, v[0:1]
	v_add_co_u32 v14, vcc_lo, s14, v4
	v_add_co_ci_u32_e64 v15, null, s15, v5, vcc_lo
	v_mad_u64_u32 v[4:5], null, s0, 24, v[0:1]
	v_mov_b32_e32 v5, v1
	global_load_dword v23, v[14:15], off
	v_lshlrev_b64 v[5:6], 2, v[4:5]
	v_add_co_u32 v5, vcc_lo, s14, v5
	v_add_co_ci_u32_e64 v6, null, s15, v6, vcc_lo
	global_load_dword v0, v[5:6], off
	s_waitcnt vmcnt(2)
	v_mul_f32_e32 v7, v21, v26
	s_waitcnt vmcnt(0)
	v_mul_f32_e32 v0, v23, v0
	v_div_scale_f32 v5, null, v0, v0, 1.0
	v_rcp_f32_e32 v6, v5
	v_fma_f32 v8, -v5, v6, 1.0
	v_fmac_f32_e32 v6, v8, v6
	v_div_scale_f32 v8, vcc_lo, 1.0, v0, 1.0
	v_mul_f32_e32 v9, v8, v6
	v_fma_f32 v10, -v5, v9, v8
	v_fmac_f32_e32 v9, v10, v6
	v_fma_f32 v5, -v5, v9, v8
	v_div_fmas_f32 v5, v5, v6, v9
	v_div_fixup_f32 v0, v5, v0, 1.0
	v_mad_u64_u32 v[4:5], null, s0, 51, v[4:5]
	v_mov_b32_e32 v5, v1
	v_mul_f32_e32 v0, v7, v0
	v_lshlrev_b64 v[5:6], 2, v[4:5]
	v_min_f32_e32 v0, 0x7cf0bdc2, v0
	v_add_co_u32 v7, vcc_lo, s10, v5
	v_add_co_ci_u32_e64 v8, null, s11, v6, vcc_lo
	v_add_co_u32 v5, vcc_lo, s12, v5
	v_add_co_ci_u32_e64 v6, null, s13, v6, vcc_lo
	global_load_dword v7, v[7:8], off
	s_waitcnt vmcnt(0)
	v_mul_f32_e32 v0, v7, v0
	global_store_dword v[5:6], v0, off
	v_add_nc_u32_e32 v0, s1, v4
	v_lshlrev_b64 v[4:5], 2, v[0:1]
	v_add_nc_u32_e32 v0, s0, v0
	v_add_co_u32 v16, vcc_lo, s14, v4
	v_add_co_ci_u32_e64 v17, null, s15, v5, vcc_lo
	s_clause 0x1
	global_load_dword v27, v[16:17], off
	global_load_dword v16, v[16:17], off
	s_waitcnt vmcnt(1)
	v_mul_f32_e32 v4, v23, v27
	v_mul_f32_e32 v25, v25, v27
	;; [unrolled: 1-line block ×3, first 2 shown]
	s_waitcnt vmcnt(0)
	v_mul_f32_e32 v17, v16, v16
	v_mul_f32_e32 v6, v20, v4
	v_lshlrev_b64 v[4:5], 2, v[0:1]
	v_add_co_u32 v4, vcc_lo, s14, v4
	v_add_co_ci_u32_e64 v5, null, s15, v5, vcc_lo
	global_load_dword v28, v[4:5], off
	s_waitcnt vmcnt(0)
	v_div_scale_f32 v4, null, v28, v28, 1.0
	v_rcp_f32_e32 v5, v4
	v_fma_f32 v7, -v4, v5, 1.0
	v_fmac_f32_e32 v5, v7, v5
	v_div_scale_f32 v7, vcc_lo, 1.0, v28, 1.0
	v_mul_f32_e32 v8, v7, v5
	v_fma_f32 v9, -v4, v8, v7
	v_fmac_f32_e32 v8, v9, v5
	v_fma_f32 v4, -v4, v8, v7
	v_div_fmas_f32 v4, v4, v5, v8
	v_div_fixup_f32 v4, v4, v28, 1.0
	v_mul_f32_e32 v10, v6, v4
	v_mad_u64_u32 v[4:5], null, 0x41, s0, v[0:1]
	v_mov_b32_e32 v5, v1
	v_lshlrev_b64 v[6:7], 2, v[4:5]
	v_add_co_u32 v8, vcc_lo, s10, v6
	v_add_co_ci_u32_e64 v9, null, s11, v7, vcc_lo
	v_add_co_u32 v6, vcc_lo, s12, v6
	v_add_co_ci_u32_e64 v7, null, s13, v7, vcc_lo
	global_load_dword v0, v[8:9], off
	v_min_f32_e32 v8, 0x7cf0bdc2, v10
	s_waitcnt vmcnt(0)
	v_mul_f32_e32 v0, v0, v8
	v_mul_f32_e32 v8, v21, v23
	global_store_dword v[6:7], v0, off
	v_mad_u64_u32 v[6:7], null, 0xffffffb5, s0, v[4:5]
	v_mov_b32_e32 v7, v1
	v_div_scale_f32 v9, null, v8, v8, 1.0
	v_lshlrev_b64 v[4:5], 2, v[6:7]
	v_rcp_f32_e32 v10, v9
	v_mad_u64_u32 v[6:7], null, 0x4c, s0, v[6:7]
	v_mov_b32_e32 v7, v1
	v_add_co_u32 v4, vcc_lo, s14, v4
	v_add_co_ci_u32_e64 v5, null, s15, v5, vcc_lo
	v_fma_f32 v11, -v9, v10, 1.0
	global_load_dword v32, v[4:5], off
	v_fmac_f32_e32 v10, v11, v10
	v_div_scale_f32 v11, vcc_lo, 1.0, v8, 1.0
	v_mul_f32_e32 v18, v11, v10
	v_fma_f32 v19, -v9, v18, v11
	v_fmac_f32_e32 v18, v19, v10
	v_fma_f32 v9, -v9, v18, v11
	v_div_fmas_f32 v9, v9, v10, v18
	v_div_fixup_f32 v8, v9, v8, 1.0
	s_waitcnt vmcnt(0)
	v_mul_f32_e32 v0, v27, v32
	v_mul_f32_e32 v0, v8, v0
	v_lshlrev_b64 v[7:8], 2, v[6:7]
	v_min_f32_e32 v0, 0x7cf0bdc2, v0
	v_add_co_u32 v9, vcc_lo, s10, v7
	v_add_co_ci_u32_e64 v10, null, s11, v8, vcc_lo
	v_add_co_u32 v7, vcc_lo, s12, v7
	v_add_co_ci_u32_e64 v8, null, s13, v8, vcc_lo
	global_load_dword v9, v[9:10], off
	s_waitcnt vmcnt(0)
	v_mul_f32_e32 v0, v9, v0
	global_store_dword v[7:8], v0, off
	v_mad_u64_u32 v[6:7], null, 0xffffffb6, s0, v[6:7]
	v_mov_b32_e32 v7, v1
	v_lshlrev_b64 v[7:8], 2, v[6:7]
	v_add_nc_u32_e32 v0, s0, v6
	v_add_co_u32 v10, vcc_lo, s14, v7
	v_lshlrev_b64 v[6:7], 2, v[0:1]
	v_lshl_add_u32 v0, s0, 2, v0
	v_add_co_ci_u32_e64 v11, null, s15, v8, vcc_lo
	v_lshlrev_b64 v[8:9], 2, v[0:1]
	v_add_co_u32 v6, vcc_lo, s14, v6
	v_add_co_ci_u32_e64 v7, null, s15, v7, vcc_lo
	global_load_dword v31, v[10:11], off
	v_add_co_u32 v8, vcc_lo, s14, v8
	v_add_co_ci_u32_e64 v9, null, s15, v9, vcc_lo
	global_load_dword v34, v[6:7], off
	v_add_nc_u32_e32 v0, s2, v0
	global_load_dword v29, v[8:9], off
	s_waitcnt vmcnt(2)
	v_mul_f32_e32 v33, v27, v31
	s_waitcnt vmcnt(0)
	v_mul_f32_e32 v8, v34, v29
	v_div_scale_f32 v9, null, v8, v8, 1.0
	v_rcp_f32_e32 v18, v9
	v_fma_f32 v19, -v9, v18, 1.0
	v_fmac_f32_e32 v18, v19, v18
	v_div_scale_f32 v19, vcc_lo, 1.0, v8, 1.0
	v_mul_f32_e32 v30, v19, v18
	v_fma_f32 v35, -v9, v30, v19
	v_fmac_f32_e32 v30, v35, v18
	v_fma_f32 v9, -v9, v30, v19
	v_div_fmas_f32 v9, v9, v18, v30
	v_div_fixup_f32 v8, v9, v8, 1.0
	v_mul_f32_e32 v30, v33, v8
	v_lshlrev_b64 v[8:9], 2, v[0:1]
	v_add_nc_u32_e32 v0, s3, v0
	v_add_co_u32 v18, vcc_lo, s10, v8
	v_add_co_ci_u32_e64 v19, null, s11, v9, vcc_lo
	v_add_co_u32 v8, vcc_lo, s12, v8
	v_add_co_ci_u32_e64 v9, null, s13, v9, vcc_lo
	global_load_dword v18, v[18:19], off
	v_min_f32_e32 v19, 0x7cf0bdc2, v30
	s_waitcnt vmcnt(0)
	v_mul_f32_e32 v18, v18, v19
	global_store_dword v[8:9], v18, off
	v_lshlrev_b64 v[8:9], 2, v[0:1]
	v_add_nc_u32_e32 v0, s2, v0
	v_add_co_u32 v8, vcc_lo, s14, v8
	v_add_co_ci_u32_e64 v9, null, s15, v9, vcc_lo
	global_load_dword v30, v[8:9], off
	s_waitcnt vmcnt(0)
	v_mul_f32_e32 v18, v34, v30
	v_div_scale_f32 v19, null, v18, v18, 1.0
	v_rcp_f32_e32 v34, v19
	v_fma_f32 v35, -v19, v34, 1.0
	v_fmac_f32_e32 v34, v35, v34
	v_div_scale_f32 v35, vcc_lo, 1.0, v18, 1.0
	v_mul_f32_e32 v36, v35, v34
	v_fma_f32 v37, -v19, v36, v35
	v_fmac_f32_e32 v36, v37, v34
	v_fma_f32 v19, -v19, v36, v35
	v_div_fmas_f32 v19, v19, v34, v36
	v_div_fixup_f32 v18, v19, v18, 1.0
	v_mul_f32_e32 v35, v33, v18
	v_lshlrev_b64 v[18:19], 2, v[0:1]
	v_add_co_u32 v33, vcc_lo, s10, v18
	v_add_co_ci_u32_e64 v34, null, s11, v19, vcc_lo
	v_add_co_u32 v18, vcc_lo, s12, v18
	v_add_co_ci_u32_e64 v19, null, s13, v19, vcc_lo
	global_load_dword v33, v[33:34], off
	v_min_f32_e32 v34, 0x7cf0bdc2, v35
	s_waitcnt vmcnt(0)
	v_mul_f32_e32 v33, v33, v34
	global_store_dword v[18:19], v33, off
	v_mad_u64_u32 v[18:19], null, 0xffffffb3, s0, v[0:1]
	v_mov_b32_e32 v19, v1
	v_lshlrev_b64 v[33:34], 2, v[18:19]
	v_add_co_u32 v33, vcc_lo, s14, v33
	v_add_co_ci_u32_e64 v34, null, s15, v34, vcc_lo
	global_load_dword v36, v[33:34], off
	v_mad_u64_u32 v[33:34], null, s0, 14, v[18:19]
	v_mov_b32_e32 v34, v1
	v_lshlrev_b64 v[18:19], 2, v[33:34]
	v_add_co_u32 v18, vcc_lo, s14, v18
	v_add_co_ci_u32_e64 v19, null, s15, v19, vcc_lo
	global_load_dword v38, v[18:19], off
	s_waitcnt vmcnt(1)
	v_mul_f32_e32 v37, v27, v36
	s_waitcnt vmcnt(0)
	v_mul_f32_e32 v0, v32, v38
	v_div_scale_f32 v32, null, v0, v0, 1.0
	v_rcp_f32_e32 v34, v32
	v_fma_f32 v35, -v32, v34, 1.0
	v_fmac_f32_e32 v34, v35, v34
	v_div_scale_f32 v35, vcc_lo, 1.0, v0, 1.0
	v_mul_f32_e32 v39, v35, v34
	v_fma_f32 v40, -v32, v39, v35
	v_fmac_f32_e32 v39, v40, v34
	v_fma_f32 v32, -v32, v39, v35
	v_div_fmas_f32 v32, v32, v34, v39
	v_div_fixup_f32 v0, v32, v0, 1.0
	v_mul_f32_e32 v39, v37, v0
	v_lshl_add_u32 v0, s0, 6, v33
	v_lshlrev_b64 v[32:33], 2, v[0:1]
	v_add_nc_u32_e32 v0, s0, v0
	v_add_co_u32 v34, vcc_lo, s10, v32
	v_add_co_ci_u32_e64 v35, null, s11, v33, vcc_lo
	v_add_co_u32 v32, vcc_lo, s12, v32
	v_add_co_ci_u32_e64 v33, null, s13, v33, vcc_lo
	global_load_dword v34, v[34:35], off
	v_min_f32_e32 v35, 0x7cf0bdc2, v39
	s_waitcnt vmcnt(0)
	v_mul_f32_e32 v34, v34, v35
	global_store_dword v[32:33], v34, off
	v_mul_f32_e32 v32, v21, v31
	v_mul_f32_e32 v31, v31, v38
	v_div_scale_f32 v33, null, v32, v32, 1.0
	v_rcp_f32_e32 v34, v33
	v_fma_f32 v35, -v33, v34, 1.0
	v_fmac_f32_e32 v34, v35, v34
	v_div_scale_f32 v35, vcc_lo, 1.0, v32, 1.0
	v_mul_f32_e32 v39, v35, v34
	v_fma_f32 v40, -v33, v39, v35
	v_fmac_f32_e32 v39, v40, v34
	v_fma_f32 v33, -v33, v39, v35
	v_div_fmas_f32 v33, v33, v34, v39
	v_div_fixup_f32 v32, v33, v32, 1.0
	v_mul_f32_e32 v37, v32, v37
	v_lshlrev_b64 v[32:33], 2, v[0:1]
	v_add_nc_u32_e32 v0, s0, v0
	v_add_co_u32 v34, vcc_lo, s10, v32
	v_add_co_ci_u32_e64 v35, null, s11, v33, vcc_lo
	v_add_co_u32 v32, vcc_lo, s12, v32
	v_add_co_ci_u32_e64 v33, null, s13, v33, vcc_lo
	global_load_dword v34, v[34:35], off
	v_min_f32_e32 v35, 0x7cf0bdc2, v37
	v_mul_f32_e32 v37, v24, v27
	v_mul_f32_e32 v24, v24, v28
	s_waitcnt vmcnt(0)
	v_mul_f32_e32 v34, v35, v34
	global_store_dword v[32:33], v34, off
	v_mul_f32_e32 v32, v28, v36
	v_div_scale_f32 v33, null, v32, v32, 1.0
	v_rcp_f32_e32 v34, v33
	v_fma_f32 v35, -v33, v34, 1.0
	v_fmac_f32_e32 v34, v35, v34
	v_div_scale_f32 v35, vcc_lo, 1.0, v32, 1.0
	v_mul_f32_e32 v36, v35, v34
	v_fma_f32 v39, -v33, v36, v35
	v_fmac_f32_e32 v36, v39, v34
	v_fma_f32 v33, -v33, v36, v35
	v_div_fmas_f32 v33, v33, v34, v36
	v_div_fixup_f32 v32, v33, v32, 1.0
	v_mul_f32_e32 v36, v37, v32
	v_lshlrev_b64 v[32:33], 2, v[0:1]
	v_add_nc_u32_e32 v0, s0, v0
	v_add_co_u32 v34, vcc_lo, s10, v32
	v_add_co_ci_u32_e64 v35, null, s11, v33, vcc_lo
	v_add_co_u32 v32, vcc_lo, s12, v32
	v_add_co_ci_u32_e64 v33, null, s13, v33, vcc_lo
	global_load_dword v34, v[34:35], off
	v_min_f32_e32 v35, 0x7cf0bdc2, v36
	s_waitcnt vmcnt(0)
	v_mul_f32_e32 v34, v35, v34
	global_store_dword v[32:33], v34, off
	v_div_scale_f32 v32, null, v31, v31, 1.0
	v_rcp_f32_e32 v33, v32
	v_fma_f32 v34, -v32, v33, 1.0
	v_fmac_f32_e32 v33, v34, v33
	v_div_scale_f32 v34, vcc_lo, 1.0, v31, 1.0
	v_mul_f32_e32 v35, v34, v33
	v_fma_f32 v36, -v32, v35, v34
	v_fmac_f32_e32 v35, v36, v33
	v_fma_f32 v32, -v32, v35, v34
	v_div_fmas_f32 v32, v32, v33, v35
	v_div_fixup_f32 v31, v32, v31, 1.0
	v_mul_f32_e32 v35, v37, v31
	v_lshlrev_b64 v[31:32], 2, v[0:1]
	v_add_nc_u32_e32 v0, s0, v0
	v_add_co_u32 v33, vcc_lo, s10, v31
	v_add_co_ci_u32_e64 v34, null, s11, v32, vcc_lo
	v_add_co_u32 v31, vcc_lo, s12, v31
	v_add_co_ci_u32_e64 v32, null, s13, v32, vcc_lo
	global_load_dword v33, v[33:34], off
	v_min_f32_e32 v34, 0x7cf0bdc2, v35
	s_waitcnt vmcnt(0)
	v_mul_f32_e32 v33, v34, v33
	global_store_dword v[31:32], v33, off
	v_div_scale_f32 v31, null, v24, v24, 1.0
	v_rcp_f32_e32 v32, v31
	v_fma_f32 v33, -v31, v32, 1.0
	v_fmac_f32_e32 v32, v33, v32
	v_div_scale_f32 v33, vcc_lo, 1.0, v24, 1.0
	v_mul_f32_e32 v34, v33, v32
	v_fma_f32 v35, -v31, v34, v33
	v_fmac_f32_e32 v34, v35, v32
	v_fma_f32 v31, -v31, v34, v33
	v_div_fmas_f32 v31, v31, v32, v34
	v_div_fixup_f32 v24, v31, v24, 1.0
	v_mul_f32_e32 v33, v25, v24
	v_lshlrev_b64 v[24:25], 2, v[0:1]
	v_add_nc_u32_e32 v0, s1, v0
	s_mul_i32 s1, s0, 0xffffffbc
	v_add_co_u32 v31, vcc_lo, s10, v24
	v_add_co_ci_u32_e64 v32, null, s11, v25, vcc_lo
	v_add_co_u32 v24, vcc_lo, s12, v24
	v_add_co_ci_u32_e64 v25, null, s13, v25, vcc_lo
	global_load_dword v31, v[31:32], off
	v_min_f32_e32 v32, 0x7cf0bdc2, v33
	s_waitcnt vmcnt(0)
	v_mul_f32_e32 v31, v32, v31
	global_store_dword v[24:25], v31, off
	v_lshlrev_b64 v[24:25], 2, v[0:1]
	v_add_co_u32 v24, vcc_lo, s14, v24
	v_add_co_ci_u32_e64 v25, null, s15, v25, vcc_lo
	global_load_dword v24, v[24:25], off
	s_waitcnt vmcnt(0)
	v_mul_f32_e32 v24, v23, v24
	v_div_scale_f32 v25, null, v24, v24, 1.0
	v_rcp_f32_e32 v31, v25
	v_fma_f32 v32, -v25, v31, 1.0
	v_fmac_f32_e32 v31, v32, v31
	v_div_scale_f32 v32, vcc_lo, 1.0, v24, 1.0
	v_mul_f32_e32 v33, v32, v31
	v_fma_f32 v34, -v25, v33, v32
	v_fmac_f32_e32 v33, v34, v31
	v_fma_f32 v25, -v25, v33, v32
	v_div_fmas_f32 v25, v25, v31, v33
	v_div_fixup_f32 v24, v25, v24, 1.0
	v_mul_f32_e32 v26, v26, v24
	v_mad_u64_u32 v[24:25], null, 0x42, s0, v[0:1]
	v_mov_b32_e32 v25, v1
	v_min_f32_e32 v26, 0x7cf0bdc2, v26
	v_lshlrev_b64 v[31:32], 2, v[24:25]
	v_mad_u64_u32 v[24:25], null, 0xffffffb7, s0, v[24:25]
	v_mov_b32_e32 v25, v1
	v_add_co_u32 v33, vcc_lo, s10, v31
	v_add_co_ci_u32_e64 v34, null, s11, v32, vcc_lo
	v_add_co_u32 v31, vcc_lo, s12, v31
	v_add_co_ci_u32_e64 v32, null, s13, v32, vcc_lo
	global_load_dword v0, v[33:34], off
	s_waitcnt vmcnt(0)
	v_mul_f32_e32 v0, v0, v26
	global_store_dword v[31:32], v0, off
	v_lshlrev_b64 v[31:32], 2, v[24:25]
	v_mad_u64_u32 v[24:25], null, 0x4a, s0, v[24:25]
	v_mov_b32_e32 v25, v1
	v_mul_f32_e32 v0, v22, v27
	v_add_co_u32 v31, vcc_lo, s14, v31
	v_add_co_ci_u32_e64 v32, null, s15, v32, vcc_lo
	global_load_dword v26, v[31:32], off
	s_waitcnt vmcnt(0)
	v_mul_f32_e32 v26, v28, v26
	v_div_scale_f32 v33, null, v26, v26, 1.0
	v_rcp_f32_e32 v34, v33
	v_fma_f32 v35, -v33, v34, 1.0
	v_fmac_f32_e32 v34, v35, v34
	v_div_scale_f32 v35, vcc_lo, 1.0, v26, 1.0
	v_mul_f32_e32 v36, v35, v34
	v_fma_f32 v37, -v33, v36, v35
	v_fmac_f32_e32 v36, v37, v34
	v_fma_f32 v33, -v33, v36, v35
	v_div_fmas_f32 v33, v33, v34, v36
	v_div_fixup_f32 v26, v33, v26, 1.0
	v_lshlrev_b64 v[33:34], 2, v[24:25]
	v_mad_u64_u32 v[24:25], null, 0xffffffc4, s0, v[24:25]
	v_mov_b32_e32 v25, v1
	v_mul_f32_e32 v26, v0, v26
	v_mul_f32_e32 v0, v20, v0
	v_add_co_u32 v35, vcc_lo, s10, v33
	v_add_co_ci_u32_e64 v36, null, s11, v34, vcc_lo
	v_min_f32_e32 v26, 0x7cf0bdc2, v26
	v_add_co_u32 v33, vcc_lo, s12, v33
	global_load_dword v35, v[35:36], off
	v_add_co_ci_u32_e64 v34, null, s13, v34, vcc_lo
	s_waitcnt vmcnt(0)
	v_mul_f32_e32 v26, v35, v26
	global_store_dword v[33:34], v26, off
	v_lshlrev_b64 v[33:34], 2, v[24:25]
	v_mad_u64_u32 v[24:25], null, s0, 61, v[24:25]
	v_mov_b32_e32 v25, v1
	v_add_co_u32 v33, vcc_lo, s14, v33
	v_add_co_ci_u32_e64 v34, null, s15, v34, vcc_lo
	global_load_dword v26, v[33:34], off
	s_waitcnt vmcnt(0)
	v_div_scale_f32 v33, null, v26, v26, 1.0
	v_rcp_f32_e32 v34, v33
	v_fma_f32 v35, -v33, v34, 1.0
	v_fmac_f32_e32 v34, v35, v34
	v_div_scale_f32 v35, vcc_lo, 1.0, v26, 1.0
	v_mul_f32_e32 v36, v35, v34
	v_fma_f32 v37, -v33, v36, v35
	v_fmac_f32_e32 v36, v37, v34
	v_fma_f32 v33, -v33, v36, v35
	v_div_fmas_f32 v33, v33, v34, v36
	v_div_fixup_f32 v26, v33, v26, 1.0
	v_mul_f32_e32 v0, v0, v26
	v_lshlrev_b64 v[25:26], 2, v[24:25]
	v_min_f32_e32 v0, 0x7cf0bdc2, v0
	v_add_co_u32 v33, vcc_lo, s10, v25
	v_add_co_ci_u32_e64 v34, null, s11, v26, vcc_lo
	v_add_co_u32 v25, vcc_lo, s12, v25
	v_add_co_ci_u32_e64 v26, null, s13, v26, vcc_lo
	global_load_dword v33, v[33:34], off
	s_waitcnt vmcnt(0)
	v_mul_f32_e32 v0, v33, v0
	global_store_dword v[25:26], v0, off
	v_mul_f32_e32 v0, v21, v27
	v_mul_f32_e32 v21, v22, v28
	v_div_scale_f32 v22, null, v21, v21, 1.0
	v_rcp_f32_e32 v25, v22
	v_fma_f32 v26, -v22, v25, 1.0
	v_fmac_f32_e32 v25, v26, v25
	v_div_scale_f32 v26, vcc_lo, 1.0, v21, 1.0
	v_mul_f32_e32 v28, v26, v25
	v_fma_f32 v33, -v22, v28, v26
	v_fmac_f32_e32 v28, v33, v25
	v_fma_f32 v22, -v22, v28, v26
	v_div_fmas_f32 v22, v22, v25, v28
	v_div_fixup_f32 v21, v22, v21, 1.0
	v_mul_f32_e32 v26, v0, v21
	v_add_nc_u32_e32 v0, s0, v24
	v_lshlrev_b64 v[21:22], 2, v[0:1]
	v_add_nc_u32_e32 v0, s1, v0
	v_add_co_u32 v24, vcc_lo, s10, v21
	v_add_co_ci_u32_e64 v25, null, s11, v22, vcc_lo
	v_add_co_u32 v21, vcc_lo, s12, v21
	v_add_co_ci_u32_e64 v22, null, s13, v22, vcc_lo
	global_load_dword v24, v[24:25], off
	v_min_f32_e32 v25, 0x7cf0bdc2, v26
	s_waitcnt vmcnt(0)
	v_mul_f32_e32 v24, v25, v24
	global_store_dword v[21:22], v24, off
	v_lshlrev_b64 v[21:22], 2, v[0:1]
	v_mul_f32_e32 v24, v27, v29
	v_add_nc_u32_e32 v0, s4, v0
	v_add_co_u32 v21, vcc_lo, s14, v21
	v_add_co_ci_u32_e64 v22, null, s15, v22, vcc_lo
	global_load_dword v25, v[21:22], off
	s_waitcnt vmcnt(0)
	v_mul_f32_e32 v21, v23, v25
	v_div_scale_f32 v22, null, v21, v21, 1.0
	v_rcp_f32_e32 v23, v22
	v_fma_f32 v26, -v22, v23, 1.0
	v_fmac_f32_e32 v23, v26, v23
	v_div_scale_f32 v26, vcc_lo, 1.0, v21, 1.0
	v_mul_f32_e32 v28, v26, v23
	v_fma_f32 v29, -v22, v28, v26
	v_fmac_f32_e32 v28, v29, v23
	v_fma_f32 v22, -v22, v28, v26
	v_div_fmas_f32 v22, v22, v23, v28
	v_div_fixup_f32 v26, v22, v21, 1.0
	v_lshlrev_b64 v[21:22], 2, v[0:1]
	v_add_nc_u32_e32 v0, s0, v0
	v_mul_f32_e32 v28, v24, v26
	v_add_co_u32 v23, vcc_lo, s10, v21
	v_add_co_ci_u32_e64 v24, null, s11, v22, vcc_lo
	v_add_co_u32 v21, vcc_lo, s12, v21
	v_add_co_ci_u32_e64 v22, null, s13, v22, vcc_lo
	global_load_dword v23, v[23:24], off
	v_min_f32_e32 v24, 0x7cf0bdc2, v28
	s_waitcnt vmcnt(0)
	v_mul_f32_e32 v23, v23, v24
	global_store_dword v[21:22], v23, off
	v_mul_f32_e32 v21, v27, v30
	v_mul_f32_e32 v26, v21, v26
	v_lshlrev_b64 v[21:22], 2, v[0:1]
	v_add_nc_u32_e32 v0, s1, v0
	v_add_co_u32 v23, vcc_lo, s10, v21
	v_add_co_ci_u32_e64 v24, null, s11, v22, vcc_lo
	v_add_co_u32 v21, vcc_lo, s12, v21
	v_add_co_ci_u32_e64 v22, null, s13, v22, vcc_lo
	global_load_dword v23, v[23:24], off
	v_min_f32_e32 v24, 0x7cf0bdc2, v26
	s_waitcnt vmcnt(0)
	v_mul_f32_e32 v23, v23, v24
	global_store_dword v[21:22], v23, off
	v_mul_f32_e32 v22, v20, v17
	v_lshlrev_b64 v[20:21], 2, v[0:1]
	v_add_nc_u32_e32 v0, s4, v0
	v_add_co_u32 v20, vcc_lo, s14, v20
	v_add_co_ci_u32_e64 v21, null, s15, v21, vcc_lo
	global_load_dword v20, v[20:21], off
	s_waitcnt vmcnt(0)
	v_div_scale_f32 v21, null, v20, v20, 1.0
	v_rcp_f32_e32 v23, v21
	v_fma_f32 v24, -v21, v23, 1.0
	v_fmac_f32_e32 v23, v24, v23
	v_div_scale_f32 v24, vcc_lo, 1.0, v20, 1.0
	v_mul_f32_e32 v26, v24, v23
	v_fma_f32 v27, -v21, v26, v24
	v_fmac_f32_e32 v26, v27, v23
	v_fma_f32 v21, -v21, v26, v24
	v_div_fmas_f32 v21, v21, v23, v26
	v_div_fixup_f32 v20, v21, v20, 1.0
	v_mul_f32_e32 v24, v22, v20
	v_lshlrev_b64 v[20:21], 2, v[0:1]
	v_add_co_u32 v22, vcc_lo, s10, v20
	v_add_co_ci_u32_e64 v23, null, s11, v21, vcc_lo
	v_add_co_u32 v20, vcc_lo, s12, v20
	v_add_co_ci_u32_e64 v21, null, s13, v21, vcc_lo
	global_load_dword v22, v[22:23], off
	v_min_f32_e32 v23, 0x7cf0bdc2, v24
	global_load_dword v24, v[14:15], off
	v_mad_u64_u32 v[14:15], null, 0xffffffba, s0, v[0:1]
	v_mov_b32_e32 v15, v1
	s_waitcnt vmcnt(1)
	v_mul_f32_e32 v22, v22, v23
	global_store_dword v[20:21], v22, off
	v_lshlrev_b64 v[20:21], 2, v[14:15]
	v_add_co_u32 v20, vcc_lo, s14, v20
	v_add_co_ci_u32_e64 v21, null, s15, v21, vcc_lo
	global_load_dword v0, v[20:21], off
	s_waitcnt vmcnt(0)
	v_mul_f32_e32 v0, v24, v0
	v_div_scale_f32 v15, null, v0, v0, 1.0
	v_rcp_f32_e32 v20, v15
	v_fma_f32 v21, -v15, v20, 1.0
	v_fmac_f32_e32 v20, v21, v20
	v_div_scale_f32 v21, vcc_lo, 1.0, v0, 1.0
	v_mul_f32_e32 v22, v21, v20
	v_fma_f32 v23, -v15, v22, v21
	v_fmac_f32_e32 v22, v23, v20
	v_fma_f32 v15, -v15, v22, v21
	v_div_fmas_f32 v15, v15, v20, v22
	v_div_fixup_f32 v0, v15, v0, 1.0
	v_mad_u64_u32 v[14:15], null, 0x47, s0, v[14:15]
	v_mov_b32_e32 v15, v1
	v_mul_f32_e32 v0, v17, v0
	v_lshlrev_b64 v[20:21], 2, v[14:15]
	v_min_f32_e32 v0, 0x7cf0bdc2, v0
	v_add_co_u32 v22, vcc_lo, s10, v20
	v_add_co_ci_u32_e64 v23, null, s11, v21, vcc_lo
	v_add_co_u32 v20, vcc_lo, s12, v20
	v_add_co_ci_u32_e64 v21, null, s13, v21, vcc_lo
	global_load_dword v15, v[22:23], off
	s_waitcnt vmcnt(0)
	v_mul_f32_e32 v0, v15, v0
	global_store_dword v[20:21], v0, off
	v_add_nc_u32_e32 v0, s3, v14
	v_lshlrev_b64 v[14:15], 2, v[0:1]
	v_add_nc_u32_e32 v0, s2, v0
	v_add_co_u32 v14, vcc_lo, s14, v14
	v_add_co_ci_u32_e64 v15, null, s15, v15, vcc_lo
	s_clause 0x1
	global_load_dword v14, v[14:15], off
	global_load_dword v15, v[31:32], off
	s_waitcnt vmcnt(1)
	v_mul_f32_e32 v14, v16, v14
	s_waitcnt vmcnt(0)
	v_mul_f32_e32 v15, v15, v25
	v_div_scale_f32 v17, null, v15, v15, 1.0
	v_rcp_f32_e32 v20, v17
	v_fma_f32 v21, -v17, v20, 1.0
	v_fmac_f32_e32 v20, v21, v20
	v_div_scale_f32 v21, vcc_lo, 1.0, v15, 1.0
	v_mul_f32_e32 v22, v21, v20
	v_fma_f32 v23, -v17, v22, v21
	v_fmac_f32_e32 v22, v23, v20
	v_fma_f32 v17, -v17, v22, v21
	v_div_fmas_f32 v17, v17, v20, v22
	v_div_fixup_f32 v15, v17, v15, 1.0
	v_mul_f32_e32 v17, v14, v15
	v_lshlrev_b64 v[14:15], 2, v[0:1]
	v_add_nc_u32_e32 v0, s0, v0
	v_min_f32_e32 v17, 0x7cf0bdc2, v17
	v_add_co_u32 v20, vcc_lo, s10, v14
	v_add_co_ci_u32_e64 v21, null, s11, v15, vcc_lo
	v_add_co_u32 v14, vcc_lo, s12, v14
	v_add_co_ci_u32_e64 v15, null, s13, v15, vcc_lo
	global_load_dword v20, v[20:21], off
	v_add_co_u32 v12, vcc_lo, s14, v12
	v_add_co_ci_u32_e64 v13, null, s15, v13, vcc_lo
	s_waitcnt vmcnt(0)
	v_mul_f32_e32 v17, v20, v17
	global_store_dword v[14:15], v17, off
	s_clause 0x2
	global_load_dword v14, v[18:19], off
	global_load_dword v12, v[12:13], off
	;; [unrolled: 1-line block ×3, first 2 shown]
	s_waitcnt vmcnt(2)
	v_mul_f32_e32 v15, v24, v14
	s_waitcnt vmcnt(0)
	v_mul_f32_e32 v3, v12, v2
	v_div_scale_f32 v12, null, v3, v3, 1.0
	v_rcp_f32_e32 v13, v12
	v_fma_f32 v17, -v12, v13, 1.0
	v_fmac_f32_e32 v13, v17, v13
	v_div_scale_f32 v17, vcc_lo, 1.0, v3, 1.0
	v_mul_f32_e32 v18, v17, v13
	v_fma_f32 v19, -v12, v18, v17
	v_fmac_f32_e32 v18, v19, v13
	v_fma_f32 v12, -v12, v18, v17
	v_div_fmas_f32 v12, v12, v13, v18
	v_div_fixup_f32 v3, v12, v3, 1.0
	v_lshlrev_b64 v[12:13], 2, v[0:1]
	v_add_nc_u32_e32 v0, s0, v0
	v_mul_f32_e32 v3, v15, v3
	v_add_co_u32 v17, vcc_lo, s10, v12
	v_add_co_ci_u32_e64 v18, null, s11, v13, vcc_lo
	v_min_f32_e32 v3, 0x7cf0bdc2, v3
	v_add_co_u32 v12, vcc_lo, s12, v12
	global_load_dword v17, v[17:18], off
	v_add_co_ci_u32_e64 v13, null, s13, v13, vcc_lo
	s_waitcnt vmcnt(0)
	v_mul_f32_e32 v3, v17, v3
	global_store_dword v[12:13], v3, off
	global_load_dword v3, v[10:11], off
	s_waitcnt vmcnt(0)
	v_mul_f32_e32 v10, v3, v16
	v_div_scale_f32 v11, null, v10, v10, 1.0
	v_rcp_f32_e32 v12, v11
	v_fma_f32 v13, -v11, v12, 1.0
	v_fmac_f32_e32 v12, v13, v12
	v_div_scale_f32 v13, vcc_lo, 1.0, v10, 1.0
	v_mul_f32_e32 v16, v13, v12
	v_fma_f32 v17, -v11, v16, v13
	v_fmac_f32_e32 v16, v17, v12
	v_fma_f32 v11, -v11, v16, v13
	v_div_fmas_f32 v11, v11, v12, v16
	v_div_fixup_f32 v10, v11, v10, 1.0
	v_mul_f32_e32 v16, v15, v10
	v_lshlrev_b64 v[10:11], 2, v[0:1]
	v_add_nc_u32_e32 v0, s0, v0
	v_add_co_u32 v12, vcc_lo, s10, v10
	v_add_co_ci_u32_e64 v13, null, s11, v11, vcc_lo
	v_add_co_u32 v10, vcc_lo, s12, v10
	v_add_co_ci_u32_e64 v11, null, s13, v11, vcc_lo
	global_load_dword v12, v[12:13], off
	v_min_f32_e32 v13, 0x7cf0bdc2, v16
	s_waitcnt vmcnt(0)
	v_mul_f32_e32 v12, v12, v13
	global_store_dword v[10:11], v12, off
	s_clause 0x2
	global_load_dword v6, v[6:7], off
	global_load_dword v7, v[8:9], off
	;; [unrolled: 1-line block ×3, first 2 shown]
	v_mul_f32_e32 v5, v3, v2
	v_mul_f32_e32 v3, v3, v14
	s_waitcnt vmcnt(2)
	v_mul_f32_e32 v2, v6, v2
	s_waitcnt vmcnt(1)
	;; [unrolled: 2-line block ×3, first 2 shown]
	v_mul_f32_e32 v4, v4, v14
	v_div_scale_f32 v8, null, v7, v7, 1.0
	v_rcp_f32_e32 v9, v8
	v_fma_f32 v10, -v8, v9, 1.0
	v_fmac_f32_e32 v9, v10, v9
	v_div_scale_f32 v10, vcc_lo, 1.0, v7, 1.0
	v_mul_f32_e32 v11, v10, v9
	v_fma_f32 v12, -v8, v11, v10
	v_fmac_f32_e32 v11, v12, v9
	v_fma_f32 v8, -v8, v11, v10
	v_div_fmas_f32 v8, v8, v9, v11
	v_div_fixup_f32 v7, v8, v7, 1.0
	v_mul_f32_e32 v11, v15, v7
	v_lshlrev_b64 v[7:8], 2, v[0:1]
	v_add_nc_u32_e32 v0, s0, v0
	v_add_co_u32 v9, vcc_lo, s10, v7
	v_add_co_ci_u32_e64 v10, null, s11, v8, vcc_lo
	v_add_co_u32 v7, vcc_lo, s12, v7
	v_add_co_ci_u32_e64 v8, null, s13, v8, vcc_lo
	global_load_dword v9, v[9:10], off
	v_min_f32_e32 v10, 0x7cf0bdc2, v11
	s_waitcnt vmcnt(0)
	v_mul_f32_e32 v9, v9, v10
	global_store_dword v[7:8], v9, off
	v_div_scale_f32 v7, null, v5, v5, 1.0
	v_rcp_f32_e32 v8, v7
	v_fma_f32 v9, -v7, v8, 1.0
	v_fmac_f32_e32 v8, v9, v8
	v_div_scale_f32 v9, vcc_lo, 1.0, v5, 1.0
	v_mul_f32_e32 v10, v9, v8
	v_fma_f32 v11, -v7, v10, v9
	v_fmac_f32_e32 v10, v11, v8
	v_fma_f32 v7, -v7, v10, v9
	v_div_fmas_f32 v7, v7, v8, v10
	v_div_fixup_f32 v5, v7, v5, 1.0
	v_lshlrev_b64 v[7:8], 2, v[0:1]
	v_add_nc_u32_e32 v0, s0, v0
	v_mul_f32_e32 v4, v4, v5
	v_add_co_u32 v9, vcc_lo, s10, v7
	v_add_co_ci_u32_e64 v10, null, s11, v8, vcc_lo
	v_min_f32_e32 v4, 0x7cf0bdc2, v4
	v_lshlrev_b64 v[0:1], 2, v[0:1]
	global_load_dword v5, v[9:10], off
	s_waitcnt vmcnt(0)
	v_mul_f32_e32 v9, v5, v4
	v_add_co_u32 v4, vcc_lo, s12, v7
	v_add_co_ci_u32_e64 v5, null, s13, v8, vcc_lo
	global_store_dword v[4:5], v9, off
	v_div_scale_f32 v4, null, v2, v2, 1.0
	v_rcp_f32_e32 v5, v4
	v_fma_f32 v6, -v4, v5, 1.0
	v_fmac_f32_e32 v5, v6, v5
	v_div_scale_f32 v6, vcc_lo, 1.0, v2, 1.0
	v_mul_f32_e32 v7, v6, v5
	v_fma_f32 v8, -v4, v7, v6
	v_fmac_f32_e32 v7, v8, v5
	v_fma_f32 v4, -v4, v7, v6
	v_div_fmas_f32 v4, v4, v5, v7
	v_div_fixup_f32 v2, v4, v2, 1.0
	v_mul_f32_e32 v4, v3, v2
	v_add_co_u32 v2, vcc_lo, s10, v0
	v_add_co_ci_u32_e64 v3, null, s11, v1, vcc_lo
	v_add_co_u32 v0, vcc_lo, s12, v0
	v_add_co_ci_u32_e64 v1, null, s13, v1, vcc_lo
	global_load_dword v2, v[2:3], off
	v_min_f32_e32 v3, 0x7cf0bdc2, v4
	s_waitcnt vmcnt(0)
	v_mul_f32_e32 v2, v2, v3
	global_store_dword v[0:1], v2, off
	s_endpgm
	.section	.rodata,"a",@progbits
	.p2align	6, 0x0
	.amdhsa_kernel _Z12ratt5_kernelIfEvPKT_S2_PS0_S2_S0_
		.amdhsa_group_segment_fixed_size 0
		.amdhsa_private_segment_fixed_size 0
		.amdhsa_kernarg_size 296
		.amdhsa_user_sgpr_count 6
		.amdhsa_user_sgpr_private_segment_buffer 1
		.amdhsa_user_sgpr_dispatch_ptr 0
		.amdhsa_user_sgpr_queue_ptr 0
		.amdhsa_user_sgpr_kernarg_segment_ptr 1
		.amdhsa_user_sgpr_dispatch_id 0
		.amdhsa_user_sgpr_flat_scratch_init 0
		.amdhsa_user_sgpr_private_segment_size 0
		.amdhsa_wavefront_size32 1
		.amdhsa_uses_dynamic_stack 0
		.amdhsa_system_sgpr_private_segment_wavefront_offset 0
		.amdhsa_system_sgpr_workgroup_id_x 1
		.amdhsa_system_sgpr_workgroup_id_y 0
		.amdhsa_system_sgpr_workgroup_id_z 0
		.amdhsa_system_sgpr_workgroup_info 0
		.amdhsa_system_vgpr_workitem_id 0
		.amdhsa_next_free_vgpr 41
		.amdhsa_next_free_sgpr 16
		.amdhsa_reserve_vcc 1
		.amdhsa_reserve_flat_scratch 0
		.amdhsa_float_round_mode_32 0
		.amdhsa_float_round_mode_16_64 0
		.amdhsa_float_denorm_mode_32 3
		.amdhsa_float_denorm_mode_16_64 3
		.amdhsa_dx10_clamp 1
		.amdhsa_ieee_mode 1
		.amdhsa_fp16_overflow 0
		.amdhsa_workgroup_processor_mode 1
		.amdhsa_memory_ordered 1
		.amdhsa_forward_progress 1
		.amdhsa_shared_vgpr_count 0
		.amdhsa_exception_fp_ieee_invalid_op 0
		.amdhsa_exception_fp_denorm_src 0
		.amdhsa_exception_fp_ieee_div_zero 0
		.amdhsa_exception_fp_ieee_overflow 0
		.amdhsa_exception_fp_ieee_underflow 0
		.amdhsa_exception_fp_ieee_inexact 0
		.amdhsa_exception_int_div_zero 0
	.end_amdhsa_kernel
	.section	.text._Z12ratt5_kernelIfEvPKT_S2_PS0_S2_S0_,"axG",@progbits,_Z12ratt5_kernelIfEvPKT_S2_PS0_S2_S0_,comdat
.Lfunc_end6:
	.size	_Z12ratt5_kernelIfEvPKT_S2_PS0_S2_S0_, .Lfunc_end6-_Z12ratt5_kernelIfEvPKT_S2_PS0_S2_S0_
                                        ; -- End function
	.set _Z12ratt5_kernelIfEvPKT_S2_PS0_S2_S0_.num_vgpr, 41
	.set _Z12ratt5_kernelIfEvPKT_S2_PS0_S2_S0_.num_agpr, 0
	.set _Z12ratt5_kernelIfEvPKT_S2_PS0_S2_S0_.numbered_sgpr, 16
	.set _Z12ratt5_kernelIfEvPKT_S2_PS0_S2_S0_.num_named_barrier, 0
	.set _Z12ratt5_kernelIfEvPKT_S2_PS0_S2_S0_.private_seg_size, 0
	.set _Z12ratt5_kernelIfEvPKT_S2_PS0_S2_S0_.uses_vcc, 1
	.set _Z12ratt5_kernelIfEvPKT_S2_PS0_S2_S0_.uses_flat_scratch, 0
	.set _Z12ratt5_kernelIfEvPKT_S2_PS0_S2_S0_.has_dyn_sized_stack, 0
	.set _Z12ratt5_kernelIfEvPKT_S2_PS0_S2_S0_.has_recursion, 0
	.set _Z12ratt5_kernelIfEvPKT_S2_PS0_S2_S0_.has_indirect_call, 0
	.section	.AMDGPU.csdata,"",@progbits
; Kernel info:
; codeLenInByte = 5404
; TotalNumSgprs: 18
; NumVgprs: 41
; ScratchSize: 0
; MemoryBound: 0
; FloatMode: 240
; IeeeMode: 1
; LDSByteSize: 0 bytes/workgroup (compile time only)
; SGPRBlocks: 0
; VGPRBlocks: 5
; NumSGPRsForWavesPerEU: 18
; NumVGPRsForWavesPerEU: 41
; Occupancy: 16
; WaveLimiterHint : 0
; COMPUTE_PGM_RSRC2:SCRATCH_EN: 0
; COMPUTE_PGM_RSRC2:USER_SGPR: 6
; COMPUTE_PGM_RSRC2:TRAP_HANDLER: 0
; COMPUTE_PGM_RSRC2:TGID_X_EN: 1
; COMPUTE_PGM_RSRC2:TGID_Y_EN: 0
; COMPUTE_PGM_RSRC2:TGID_Z_EN: 0
; COMPUTE_PGM_RSRC2:TIDIG_COMP_CNT: 0
	.section	.text._Z12ratt6_kernelIfEvPKT_S2_PS0_S2_S0_,"axG",@progbits,_Z12ratt6_kernelIfEvPKT_S2_PS0_S2_S0_,comdat
	.protected	_Z12ratt6_kernelIfEvPKT_S2_PS0_S2_S0_ ; -- Begin function _Z12ratt6_kernelIfEvPKT_S2_PS0_S2_S0_
	.globl	_Z12ratt6_kernelIfEvPKT_S2_PS0_S2_S0_
	.p2align	8
	.type	_Z12ratt6_kernelIfEvPKT_S2_PS0_S2_S0_,@function
_Z12ratt6_kernelIfEvPKT_S2_PS0_S2_S0_:  ; @_Z12ratt6_kernelIfEvPKT_S2_PS0_S2_S0_
; %bb.0:
	s_clause 0x3
	s_load_dwordx8 s[8:15], s[4:5], 0x0
	s_load_dword s0, s[4:5], 0x20
	s_load_dword s1, s[4:5], 0x28
	s_load_dword s2, s[4:5], 0x34
	s_waitcnt lgkmcnt(0)
	s_and_b32 s2, s2, 0xffff
	v_mad_u64_u32 v[0:1], null, s6, s2, v[0:1]
	v_mov_b32_e32 v1, 0
	v_lshlrev_b64 v[4:5], 2, v[0:1]
	v_add_co_u32 v2, vcc_lo, s8, v4
	v_add_co_ci_u32_e64 v3, null, s9, v5, vcc_lo
	global_load_dword v2, v[2:3], off
	s_waitcnt vmcnt(0)
	v_mul_f32_e32 v2, s0, v2
	s_mul_i32 s0, s1, s2
	s_mul_i32 s1, s0, -11
	s_mul_i32 s2, s0, 11
	v_mul_f32_e32 v2, 0x4c9e9632, v2
	s_mul_i32 s3, s0, 0x60
	v_div_scale_f32 v3, null, v2, v2, 1.0
	v_rcp_f32_e32 v6, v3
	v_fma_f32 v7, -v3, v6, 1.0
	v_fmac_f32_e32 v6, v7, v6
	v_div_scale_f32 v7, vcc_lo, 1.0, v2, 1.0
	v_mul_f32_e32 v8, v7, v6
	v_fma_f32 v9, -v3, v8, v7
	v_fmac_f32_e32 v8, v9, v6
	v_fma_f32 v3, -v3, v8, v7
	v_div_fmas_f32 v3, v3, v6, v8
	v_mad_u64_u32 v[6:7], null, s0, 3, v[0:1]
	v_mov_b32_e32 v7, v1
	v_div_fixup_f32 v2, v3, v2, 1.0
	v_mul_f32_e32 v14, 0x49776020, v2
	v_lshlrev_b64 v[2:3], 2, v[6:7]
	v_mad_u64_u32 v[6:7], null, s0, 14, v[6:7]
	v_mov_b32_e32 v7, v1
	v_add_co_u32 v2, vcc_lo, s14, v2
	v_add_co_ci_u32_e64 v3, null, s15, v3, vcc_lo
	v_lshlrev_b64 v[7:8], 2, v[6:7]
	v_add_nc_u32_e32 v6, s1, v6
	global_load_dword v16, v[2:3], off
	v_add_co_u32 v7, vcc_lo, s14, v7
	v_add_co_ci_u32_e64 v8, null, s15, v8, vcc_lo
	global_load_dword v7, v[7:8], off
	s_waitcnt vmcnt(0)
	v_mul_f32_e32 v10, v16, v7
	v_mov_b32_e32 v7, v1
	v_lshlrev_b64 v[8:9], 2, v[6:7]
	v_mad_u64_u32 v[6:7], null, s0, 10, v[6:7]
	v_mov_b32_e32 v7, v1
	v_add_co_u32 v8, vcc_lo, s14, v8
	v_add_co_ci_u32_e64 v9, null, s15, v9, vcc_lo
	global_load_dword v9, v[8:9], off
	v_lshlrev_b64 v[7:8], 2, v[6:7]
	v_add_co_u32 v7, vcc_lo, s14, v7
	v_add_co_ci_u32_e64 v8, null, s15, v8, vcc_lo
	global_load_dword v7, v[7:8], off
	s_waitcnt vmcnt(0)
	v_mul_f32_e32 v7, v9, v7
	v_div_scale_f32 v8, null, v7, v7, 1.0
	v_rcp_f32_e32 v9, v8
	v_fma_f32 v11, -v8, v9, 1.0
	v_fmac_f32_e32 v9, v11, v9
	v_div_scale_f32 v11, vcc_lo, 1.0, v7, 1.0
	v_mul_f32_e32 v12, v11, v9
	v_fma_f32 v13, -v8, v12, v11
	v_fmac_f32_e32 v12, v13, v9
	v_fma_f32 v8, -v8, v12, v11
	v_div_fmas_f32 v8, v8, v9, v12
	v_div_fixup_f32 v7, v8, v7, 1.0
	v_mul_f32_e32 v10, v10, v7
	v_mad_u64_u32 v[6:7], null, 0x54, s0, v[6:7]
	v_mov_b32_e32 v7, v1
	v_lshlrev_b64 v[6:7], 2, v[6:7]
	v_add_co_u32 v8, vcc_lo, s10, v6
	v_add_co_ci_u32_e64 v9, null, s11, v7, vcc_lo
	v_add_co_u32 v6, vcc_lo, s12, v6
	v_add_co_ci_u32_e64 v7, null, s13, v7, vcc_lo
	global_load_dword v8, v[8:9], off
	v_min_f32_e32 v9, 0x7cf0bdc2, v10
	s_waitcnt vmcnt(0)
	v_mul_f32_e32 v8, v8, v9
	global_store_dword v[6:7], v8, off
	v_add_nc_u32_e32 v6, s0, v0
	v_mov_b32_e32 v7, v1
	v_add_nc_u32_e32 v0, s2, v0
	v_lshlrev_b64 v[8:9], 2, v[6:7]
	v_add_nc_u32_e32 v6, s2, v6
	s_mul_i32 s2, s0, 0x62
	v_lshlrev_b64 v[6:7], 2, v[6:7]
	v_add_co_u32 v8, vcc_lo, s14, v8
	v_add_co_ci_u32_e64 v9, null, s15, v9, vcc_lo
	v_add_co_u32 v6, vcc_lo, s14, v6
	v_add_co_ci_u32_e64 v7, null, s15, v7, vcc_lo
	;; [unrolled: 2-line block ×3, first 2 shown]
	s_clause 0x2
	global_load_dword v15, v[8:9], off
	global_load_dword v19, v[6:7], off
	global_load_dword v7, v[4:5], off
	v_lshlrev_b64 v[4:5], 2, v[0:1]
	v_add_co_u32 v10, vcc_lo, s14, v4
	v_add_co_ci_u32_e64 v11, null, s15, v5, vcc_lo
	global_load_dword v22, v[10:11], off
	s_waitcnt vmcnt(2)
	v_mul_f32_e32 v6, v15, v19
	s_waitcnt vmcnt(0)
	v_mul_f32_e32 v4, v7, v22
	v_div_scale_f32 v5, null, v4, v4, 1.0
	v_rcp_f32_e32 v7, v5
	v_fma_f32 v12, -v5, v7, 1.0
	v_fmac_f32_e32 v7, v12, v7
	v_div_scale_f32 v12, vcc_lo, 1.0, v4, 1.0
	v_mul_f32_e32 v13, v12, v7
	v_fma_f32 v17, -v5, v13, v12
	v_fmac_f32_e32 v13, v17, v7
	v_fma_f32 v5, -v5, v13, v12
	v_div_fmas_f32 v5, v5, v7, v13
	v_div_fixup_f32 v4, v5, v4, 1.0
	v_mul_f32_e32 v7, v6, v4
	v_mad_u64_u32 v[4:5], null, 0x5a, s0, v[0:1]
	v_mov_b32_e32 v5, v1
	v_min_f32_e32 v7, 0x7cf0bdc2, v7
	v_lshlrev_b64 v[5:6], 2, v[4:5]
	v_add_co_u32 v12, vcc_lo, s10, v5
	v_add_co_ci_u32_e64 v13, null, s11, v6, vcc_lo
	v_add_co_u32 v5, vcc_lo, s12, v5
	v_add_co_ci_u32_e64 v6, null, s13, v6, vcc_lo
	global_load_dword v0, v[12:13], off
	s_waitcnt vmcnt(0)
	v_mul_f32_e32 v0, v0, v7
	global_store_dword v[5:6], v0, off
	v_mad_u64_u32 v[4:5], null, 0xffffff9d, s0, v[4:5]
	v_mov_b32_e32 v5, v1
	v_lshl_add_u32 v0, s0, 1, v4
	v_lshlrev_b64 v[6:7], 2, v[4:5]
	v_lshlrev_b64 v[4:5], 2, v[0:1]
	v_add_nc_u32_e32 v0, s2, v0
	v_add_co_u32 v6, vcc_lo, s14, v6
	v_add_co_ci_u32_e64 v7, null, s15, v7, vcc_lo
	v_add_co_u32 v12, vcc_lo, s14, v4
	v_add_co_ci_u32_e64 v13, null, s15, v5, vcc_lo
	s_clause 0x1
	global_load_dword v17, v[6:7], off
	global_load_dword v18, v[12:13], off
	s_waitcnt vmcnt(1)
	v_mul_f32_e32 v20, v19, v17
	s_waitcnt vmcnt(0)
	v_mul_f32_e32 v4, v22, v18
	v_div_scale_f32 v5, null, v4, v4, 1.0
	v_rcp_f32_e32 v21, v5
	v_fma_f32 v23, -v5, v21, 1.0
	v_fmac_f32_e32 v21, v23, v21
	v_div_scale_f32 v23, vcc_lo, 1.0, v4, 1.0
	v_mul_f32_e32 v24, v23, v21
	v_fma_f32 v25, -v5, v24, v23
	v_fmac_f32_e32 v24, v25, v21
	v_fma_f32 v5, -v5, v24, v23
	v_div_fmas_f32 v5, v5, v21, v24
	v_div_fixup_f32 v4, v5, v4, 1.0
	v_mul_f32_e32 v23, v20, v4
	v_lshlrev_b64 v[4:5], 2, v[0:1]
	v_add_co_u32 v20, vcc_lo, s10, v4
	v_add_co_ci_u32_e64 v21, null, s11, v5, vcc_lo
	v_add_co_u32 v4, vcc_lo, s12, v4
	v_add_co_ci_u32_e64 v5, null, s13, v5, vcc_lo
	global_load_dword v20, v[20:21], off
	v_min_f32_e32 v21, 0x7cf0bdc2, v23
	v_mul_f32_e32 v23, v19, v18
	s_waitcnt vmcnt(0)
	v_mul_f32_e32 v20, v20, v21
	global_store_dword v[4:5], v20, off
	v_mad_u64_u32 v[4:5], null, 0xffffff9f, s0, v[0:1]
	v_mov_b32_e32 v5, v1
	v_lshlrev_b64 v[20:21], 2, v[4:5]
	v_add_co_u32 v20, vcc_lo, s14, v20
	v_add_co_ci_u32_e64 v21, null, s15, v21, vcc_lo
	global_load_dword v0, v[20:21], off
	s_waitcnt vmcnt(0)
	v_mul_f32_e32 v0, v22, v0
	v_mul_f32_e32 v22, v22, v22
	v_div_scale_f32 v5, null, v0, v0, 1.0
	v_rcp_f32_e32 v20, v5
	v_fma_f32 v21, -v5, v20, 1.0
	v_fmac_f32_e32 v20, v21, v20
	v_div_scale_f32 v21, vcc_lo, 1.0, v0, 1.0
	v_mul_f32_e32 v24, v21, v20
	v_fma_f32 v25, -v5, v24, v21
	v_fmac_f32_e32 v24, v25, v20
	v_fma_f32 v5, -v5, v24, v21
	v_div_fmas_f32 v5, v5, v20, v24
	v_div_fixup_f32 v0, v5, v0, 1.0
	v_mul_f32_e32 v23, v23, v0
	v_add_nc_u32_e32 v0, s2, v4
	s_mul_i32 s2, s0, 0xffffffa1
	v_lshlrev_b64 v[4:5], 2, v[0:1]
	v_add_nc_u32_e32 v0, s2, v0
	v_add_co_u32 v20, vcc_lo, s10, v4
	v_add_co_ci_u32_e64 v21, null, s11, v5, vcc_lo
	v_add_co_u32 v4, vcc_lo, s12, v4
	v_add_co_ci_u32_e64 v5, null, s13, v5, vcc_lo
	global_load_dword v20, v[20:21], off
	v_min_f32_e32 v21, 0x7cf0bdc2, v23
	s_waitcnt vmcnt(0)
	v_mul_f32_e32 v20, v20, v21
	global_store_dword v[4:5], v20, off
	v_lshlrev_b64 v[4:5], 2, v[0:1]
	v_add_co_u32 v4, vcc_lo, s14, v4
	v_add_co_ci_u32_e64 v5, null, s15, v5, vcc_lo
	global_load_dword v20, v[4:5], off
	v_mad_u64_u32 v[4:5], null, s0, 13, v[0:1]
	v_mov_b32_e32 v5, v1
	v_lshlrev_b64 v[23:24], 2, v[4:5]
	v_mad_u64_u32 v[4:5], null, 0x53, s0, v[4:5]
	v_mov_b32_e32 v5, v1
	v_add_co_u32 v23, vcc_lo, s14, v23
	v_add_co_ci_u32_e64 v24, null, s15, v24, vcc_lo
	global_load_dword v0, v[23:24], off
	s_waitcnt vmcnt(1)
	v_mul_f32_e32 v21, v19, v20
	s_waitcnt vmcnt(0)
	v_mul_f32_e32 v0, v15, v0
	v_div_scale_f32 v23, null, v0, v0, 1.0
	v_rcp_f32_e32 v24, v23
	v_fma_f32 v25, -v23, v24, 1.0
	v_fmac_f32_e32 v24, v25, v24
	v_div_scale_f32 v25, vcc_lo, 1.0, v0, 1.0
	v_mul_f32_e32 v26, v25, v24
	v_fma_f32 v27, -v23, v26, v25
	v_fmac_f32_e32 v26, v27, v24
	v_fma_f32 v23, -v23, v26, v25
	v_div_fmas_f32 v23, v23, v24, v26
	v_div_fixup_f32 v0, v23, v0, 1.0
	v_lshlrev_b64 v[23:24], 2, v[4:5]
	v_mul_f32_e32 v0, v21, v0
	v_add_co_u32 v25, vcc_lo, s10, v23
	v_add_co_ci_u32_e64 v26, null, s11, v24, vcc_lo
	v_min_f32_e32 v0, 0x7cf0bdc2, v0
	v_add_co_u32 v23, vcc_lo, s12, v23
	global_load_dword v5, v[25:26], off
	v_add_co_ci_u32_e64 v24, null, s13, v24, vcc_lo
	s_waitcnt vmcnt(0)
	v_mul_f32_e32 v0, v5, v0
	global_store_dword v[23:24], v0, off
	v_add_nc_u32_e32 v0, s2, v4
	v_div_scale_f32 v24, null, v22, v22, 1.0
	v_lshlrev_b64 v[4:5], 2, v[0:1]
	v_rcp_f32_e32 v25, v24
	v_add_nc_u32_e32 v0, s3, v0
	v_add_co_u32 v4, vcc_lo, s14, v4
	v_add_co_ci_u32_e64 v5, null, s15, v5, vcc_lo
	v_fma_f32 v26, -v24, v25, 1.0
	global_load_dword v21, v[4:5], off
	v_fmac_f32_e32 v25, v26, v25
	v_div_scale_f32 v26, vcc_lo, 1.0, v22, 1.0
	v_mul_f32_e32 v27, v26, v25
	v_fma_f32 v28, -v24, v27, v26
	v_fmac_f32_e32 v27, v28, v25
	v_fma_f32 v24, -v24, v27, v26
	v_div_fmas_f32 v24, v24, v25, v27
	v_div_fixup_f32 v26, v24, v22, 1.0
	s_waitcnt vmcnt(0)
	v_mul_f32_e32 v23, v19, v21
	v_mul_f32_e32 v27, v26, v23
	v_lshlrev_b64 v[22:23], 2, v[0:1]
	v_add_nc_u32_e32 v0, s2, v0
	s_mul_i32 s2, s0, 0x5c
	v_add_co_u32 v24, vcc_lo, s10, v22
	v_add_co_ci_u32_e64 v25, null, s11, v23, vcc_lo
	v_add_co_u32 v22, vcc_lo, s12, v22
	v_add_co_ci_u32_e64 v23, null, s13, v23, vcc_lo
	global_load_dword v24, v[24:25], off
	v_min_f32_e32 v25, 0x7cf0bdc2, v27
	s_waitcnt vmcnt(0)
	v_mul_f32_e32 v24, v24, v25
	global_store_dword v[22:23], v24, off
	v_lshlrev_b64 v[22:23], 2, v[0:1]
	v_add_nc_u32_e32 v0, s3, v0
	s_mul_i32 s3, s0, 0x5e
	v_add_co_u32 v22, vcc_lo, s14, v22
	v_add_co_ci_u32_e64 v23, null, s15, v23, vcc_lo
	global_load_dword v27, v[22:23], off
	v_lshlrev_b64 v[22:23], 2, v[0:1]
	v_add_co_u32 v24, vcc_lo, s10, v22
	v_add_co_ci_u32_e64 v25, null, s11, v23, vcc_lo
	v_add_co_u32 v22, vcc_lo, s12, v22
	v_add_co_ci_u32_e64 v23, null, s13, v23, vcc_lo
	global_load_dword v24, v[24:25], off
	s_waitcnt vmcnt(1)
	v_mul_f32_e32 v19, v19, v27
	v_mul_f32_e32 v19, v26, v19
	v_min_f32_e32 v19, 0x7cf0bdc2, v19
	s_waitcnt vmcnt(0)
	v_mul_f32_e32 v19, v24, v19
	global_store_dword v[22:23], v19, off
	v_mad_u64_u32 v[22:23], null, 0xffffffae, s0, v[0:1]
	v_mov_b32_e32 v23, v1
	v_lshlrev_b64 v[23:24], 2, v[22:23]
	v_add_nc_u32_e32 v0, s1, v22
	s_mul_i32 s1, s0, 0xffffffa5
	v_add_co_u32 v23, vcc_lo, s14, v23
	v_add_co_ci_u32_e64 v24, null, s15, v24, vcc_lo
	global_load_dword v29, v[23:24], off
	v_lshlrev_b64 v[22:23], 2, v[0:1]
	v_add_nc_u32_e32 v0, s3, v0
	v_add_co_u32 v22, vcc_lo, s14, v22
	v_add_co_ci_u32_e64 v23, null, s15, v23, vcc_lo
	global_load_dword v30, v[22:23], off
	s_waitcnt vmcnt(1)
	v_mul_f32_e32 v31, v15, v29
	v_mul_f32_e32 v16, v16, v29
	;; [unrolled: 1-line block ×4, first 2 shown]
	s_waitcnt vmcnt(0)
	v_mul_f32_e32 v19, v27, v30
	v_mul_f32_e32 v18, v18, v30
	v_div_scale_f32 v24, null, v19, v19, 1.0
	v_mul_f32_e32 v18, v30, v18
	v_rcp_f32_e32 v25, v24
	v_mul_f32_e32 v18, v14, v18
	v_fma_f32 v26, -v24, v25, 1.0
	v_fmac_f32_e32 v25, v26, v25
	v_div_scale_f32 v26, vcc_lo, 1.0, v19, 1.0
	v_mul_f32_e32 v27, v26, v25
	v_fma_f32 v28, -v24, v27, v26
	v_fmac_f32_e32 v27, v28, v25
	v_fma_f32 v24, -v24, v27, v26
	v_div_fmas_f32 v24, v24, v25, v27
	v_div_fixup_f32 v19, v24, v19, 1.0
	v_lshlrev_b64 v[24:25], 2, v[0:1]
	v_add_nc_u32_e32 v0, s0, v0
	v_mul_f32_e32 v19, v31, v19
	v_add_co_u32 v26, vcc_lo, s10, v24
	v_add_co_ci_u32_e64 v27, null, s11, v25, vcc_lo
	v_min_f32_e32 v19, 0x7cf0bdc2, v19
	v_add_co_u32 v24, vcc_lo, s12, v24
	global_load_dword v26, v[26:27], off
	v_add_co_ci_u32_e64 v25, null, s13, v25, vcc_lo
	s_waitcnt vmcnt(0)
	v_mul_f32_e32 v19, v26, v19
	global_store_dword v[24:25], v19, off
	v_mul_f32_e32 v24, v15, v30
	v_mul_f32_e32 v19, v17, v29
	;; [unrolled: 1-line block ×4, first 2 shown]
	v_div_scale_f32 v25, null, v24, v24, 1.0
	v_rcp_f32_e32 v26, v25
	v_fma_f32 v27, -v25, v26, 1.0
	v_fmac_f32_e32 v26, v27, v26
	v_div_scale_f32 v27, vcc_lo, 1.0, v24, 1.0
	v_mul_f32_e32 v28, v27, v26
	v_fma_f32 v32, -v25, v28, v27
	v_fmac_f32_e32 v28, v32, v26
	v_fma_f32 v25, -v25, v28, v27
	v_div_fmas_f32 v25, v25, v26, v28
	v_div_fixup_f32 v24, v25, v24, 1.0
	v_mul_f32_e32 v19, v19, v24
	v_lshlrev_b64 v[24:25], 2, v[0:1]
	v_add_nc_u32_e32 v0, s0, v0
	v_min_f32_e32 v19, 0x7cf0bdc2, v19
	v_add_co_u32 v26, vcc_lo, s10, v24
	v_add_co_ci_u32_e64 v27, null, s11, v25, vcc_lo
	v_add_co_u32 v24, vcc_lo, s12, v24
	v_add_co_ci_u32_e64 v25, null, s13, v25, vcc_lo
	global_load_dword v26, v[26:27], off
	s_waitcnt vmcnt(0)
	v_mul_f32_e32 v19, v26, v19
	global_store_dword v[24:25], v19, off
	v_div_scale_f32 v19, null, v18, v18, 1.0
	v_rcp_f32_e32 v24, v19
	v_fma_f32 v25, -v19, v24, 1.0
	v_fmac_f32_e32 v24, v25, v24
	v_div_scale_f32 v25, vcc_lo, 1.0, v18, 1.0
	v_mul_f32_e32 v26, v25, v24
	v_fma_f32 v27, -v19, v26, v25
	v_fmac_f32_e32 v26, v27, v24
	v_fma_f32 v19, -v19, v26, v25
	v_div_fmas_f32 v19, v19, v24, v26
	v_div_fixup_f32 v18, v19, v18, 1.0
	v_mul_f32_e32 v16, v16, v18
	v_lshlrev_b64 v[18:19], 2, v[0:1]
	v_add_nc_u32_e32 v0, s1, v0
	v_min_f32_e32 v16, 0x7cf0bdc2, v16
	v_add_co_u32 v24, vcc_lo, s10, v18
	v_add_co_ci_u32_e64 v25, null, s11, v19, vcc_lo
	v_add_co_u32 v18, vcc_lo, s12, v18
	v_add_co_ci_u32_e64 v19, null, s13, v19, vcc_lo
	global_load_dword v24, v[24:25], off
	s_waitcnt vmcnt(0)
	v_mul_f32_e32 v16, v24, v16
	global_store_dword v[18:19], v16, off
	v_lshlrev_b64 v[18:19], 2, v[0:1]
	v_add_nc_u32_e32 v0, s2, v0
	v_add_co_u32 v18, vcc_lo, s14, v18
	v_add_co_ci_u32_e64 v19, null, s15, v19, vcc_lo
	global_load_dword v16, v[18:19], off
	s_waitcnt vmcnt(0)
	v_mul_f32_e32 v18, v30, v16
	v_mul_f32_e32 v15, v15, v16
	v_div_scale_f32 v19, null, v18, v18, 1.0
	v_mul_f32_e32 v15, v14, v15
	v_rcp_f32_e32 v24, v19
	v_fma_f32 v25, -v19, v24, 1.0
	v_fmac_f32_e32 v24, v25, v24
	v_div_scale_f32 v25, vcc_lo, 1.0, v18, 1.0
	v_mul_f32_e32 v26, v25, v24
	v_fma_f32 v27, -v19, v26, v25
	v_fmac_f32_e32 v26, v27, v24
	v_fma_f32 v19, -v19, v26, v25
	v_div_fmas_f32 v19, v19, v24, v26
	v_div_fixup_f32 v18, v19, v18, 1.0
	v_mul_f32_e32 v20, v20, v18
	v_lshlrev_b64 v[18:19], 2, v[0:1]
	v_min_f32_e32 v20, 0x7cf0bdc2, v20
	v_add_co_u32 v24, vcc_lo, s10, v18
	v_add_co_ci_u32_e64 v25, null, s11, v19, vcc_lo
	v_add_co_u32 v18, vcc_lo, s12, v18
	v_add_co_ci_u32_e64 v19, null, s13, v19, vcc_lo
	global_load_dword v24, v[24:25], off
	s_waitcnt vmcnt(0)
	v_mul_f32_e32 v20, v24, v20
	global_store_dword v[18:19], v20, off
	v_mad_u64_u32 v[18:19], null, 0xffffffa6, s0, v[0:1]
	v_mov_b32_e32 v19, v1
	v_lshlrev_b64 v[19:20], 2, v[18:19]
	v_add_co_u32 v19, vcc_lo, s14, v19
	v_add_co_ci_u32_e64 v20, null, s15, v20, vcc_lo
	global_load_dword v32, v[19:20], off
	s_waitcnt vmcnt(0)
	v_mul_f32_e32 v0, v30, v32
	v_div_scale_f32 v24, null, v0, v0, 1.0
	v_rcp_f32_e32 v25, v24
	v_fma_f32 v26, -v24, v25, 1.0
	v_fmac_f32_e32 v25, v26, v25
	v_div_scale_f32 v26, vcc_lo, 1.0, v0, 1.0
	v_mul_f32_e32 v27, v26, v25
	v_fma_f32 v28, -v24, v27, v26
	v_fmac_f32_e32 v27, v28, v25
	v_fma_f32 v24, -v24, v27, v26
	v_div_fmas_f32 v24, v24, v25, v27
	v_div_fixup_f32 v0, v24, v0, 1.0
	v_mad_u64_u32 v[24:25], null, 0x5b, s0, v[18:19]
	v_mov_b32_e32 v25, v1
	v_mul_f32_e32 v0, v21, v0
	v_lshlrev_b64 v[25:26], 2, v[24:25]
	v_min_f32_e32 v0, 0x7cf0bdc2, v0
	v_add_co_u32 v27, vcc_lo, s10, v25
	v_add_co_ci_u32_e64 v28, null, s11, v26, vcc_lo
	v_add_co_u32 v25, vcc_lo, s12, v25
	v_add_co_ci_u32_e64 v26, null, s13, v26, vcc_lo
	global_load_dword v18, v[27:28], off
	s_waitcnt vmcnt(0)
	v_mul_f32_e32 v0, v18, v0
	v_mul_f32_e32 v18, v30, v30
	global_store_dword v[25:26], v0, off
	v_mul_f32_e32 v18, v18, v16
	v_mul_f32_e32 v0, v29, v29
	;; [unrolled: 1-line block ×3, first 2 shown]
	v_div_scale_f32 v21, null, v18, v18, 1.0
	v_rcp_f32_e32 v25, v21
	v_fma_f32 v26, -v21, v25, 1.0
	v_fmac_f32_e32 v25, v26, v25
	v_div_scale_f32 v26, vcc_lo, 1.0, v18, 1.0
	v_mul_f32_e32 v27, v26, v25
	v_fma_f32 v28, -v21, v27, v26
	v_fmac_f32_e32 v27, v28, v25
	v_fma_f32 v21, -v21, v27, v26
	v_div_fmas_f32 v21, v21, v25, v27
	v_div_fixup_f32 v18, v21, v18, 1.0
	v_mul_f32_e32 v18, v0, v18
	v_add_nc_u32_e32 v0, s0, v24
	v_min_f32_e32 v18, 0x7cf0bdc2, v18
	v_lshlrev_b64 v[24:25], 2, v[0:1]
	v_add_co_u32 v26, vcc_lo, s10, v24
	v_add_co_ci_u32_e64 v27, null, s11, v25, vcc_lo
	v_add_co_u32 v24, vcc_lo, s12, v24
	v_add_co_ci_u32_e64 v25, null, s13, v25, vcc_lo
	global_load_dword v21, v[26:27], off
	s_waitcnt vmcnt(0)
	v_mul_f32_e32 v18, v18, v21
	global_store_dword v[24:25], v18, off
	v_mad_u64_u32 v[24:25], null, 0xffffffa3, s0, v[0:1]
	v_mov_b32_e32 v25, v1
	v_lshlrev_b64 v[25:26], 2, v[24:25]
	v_add_co_u32 v25, vcc_lo, s14, v25
	v_add_co_ci_u32_e64 v26, null, s15, v26, vcc_lo
	global_load_dword v0, v[25:26], off
	s_waitcnt vmcnt(0)
	v_div_scale_f32 v18, null, v0, v0, 1.0
	v_rcp_f32_e32 v21, v18
	v_fma_f32 v27, -v18, v21, 1.0
	v_fmac_f32_e32 v21, v27, v21
	v_div_scale_f32 v27, vcc_lo, 1.0, v0, 1.0
	v_mul_f32_e32 v28, v27, v21
	v_fma_f32 v29, -v18, v28, v27
	v_fmac_f32_e32 v28, v29, v21
	v_fma_f32 v18, -v18, v28, v27
	v_div_fmas_f32 v18, v18, v21, v28
	v_div_fixup_f32 v0, v18, v0, 1.0
	v_mul_f32_e32 v18, v16, v0
	v_add_nc_u32_e32 v0, s3, v24
	v_min_f32_e32 v18, 0x7cf0bdc2, v18
	v_lshlrev_b64 v[27:28], 2, v[0:1]
	v_add_nc_u32_e32 v0, s0, v0
	v_add_co_u32 v29, vcc_lo, s10, v27
	v_add_co_ci_u32_e64 v30, null, s11, v28, vcc_lo
	v_add_co_u32 v27, vcc_lo, s12, v27
	v_add_co_ci_u32_e64 v28, null, s13, v28, vcc_lo
	global_load_dword v21, v[29:30], off
	s_waitcnt vmcnt(0)
	v_mul_f32_e32 v18, v21, v18
	global_store_dword v[27:28], v18, off
	v_div_scale_f32 v18, null, v15, v15, 1.0
	v_rcp_f32_e32 v21, v18
	v_fma_f32 v24, -v18, v21, 1.0
	v_fmac_f32_e32 v21, v24, v21
	v_div_scale_f32 v24, vcc_lo, 1.0, v15, 1.0
	v_mul_f32_e32 v27, v24, v21
	v_fma_f32 v28, -v18, v27, v24
	v_fmac_f32_e32 v27, v28, v21
	v_fma_f32 v18, -v18, v27, v24
	v_div_fmas_f32 v18, v18, v21, v27
	v_lshlrev_b64 v[27:28], 2, v[0:1]
	v_add_nc_u32_e32 v0, s0, v0
	v_div_fixup_f32 v15, v18, v15, 1.0
	v_add_co_u32 v29, vcc_lo, s10, v27
	v_add_co_ci_u32_e64 v30, null, s11, v28, vcc_lo
	v_mul_f32_e32 v15, v32, v15
	v_add_co_u32 v27, vcc_lo, s12, v27
	global_load_dword v18, v[29:30], off
	v_add_co_ci_u32_e64 v28, null, s13, v28, vcc_lo
	v_min_f32_e32 v15, 0x7cf0bdc2, v15
	s_waitcnt vmcnt(0)
	v_mul_f32_e32 v15, v15, v18
	global_store_dword v[27:28], v15, off
	v_mul_f32_e32 v15, v17, v16
	v_div_scale_f32 v17, null, v31, v31, 1.0
	v_rcp_f32_e32 v18, v17
	v_fma_f32 v21, -v17, v18, 1.0
	v_fmac_f32_e32 v18, v21, v18
	v_div_scale_f32 v21, vcc_lo, 1.0, v31, 1.0
	v_mul_f32_e32 v24, v21, v18
	v_fma_f32 v27, -v17, v24, v21
	v_fmac_f32_e32 v24, v27, v18
	v_fma_f32 v17, -v17, v24, v21
	v_div_fmas_f32 v17, v17, v18, v24
	v_div_fixup_f32 v17, v17, v31, 1.0
	v_mul_f32_e32 v21, v17, v15
	v_lshlrev_b64 v[17:18], 2, v[0:1]
	v_add_nc_u32_e32 v0, s0, v0
	v_min_f32_e32 v21, 0x7cf0bdc2, v21
	v_add_co_u32 v27, vcc_lo, s10, v17
	v_add_co_ci_u32_e64 v28, null, s11, v18, vcc_lo
	v_add_co_u32 v17, vcc_lo, s12, v17
	v_add_co_ci_u32_e64 v18, null, s13, v18, vcc_lo
	global_load_dword v24, v[27:28], off
	s_waitcnt vmcnt(0)
	v_mul_f32_e32 v21, v21, v24
	global_store_dword v[17:18], v21, off
	s_clause 0x3
	global_load_dword v17, v[4:5], off
	global_load_dword v23, v[22:23], off
	;; [unrolled: 1-line block ×4, first 2 shown]
	s_waitcnt vmcnt(2)
	v_mul_f32_e32 v17, v17, v23
	v_div_scale_f32 v18, null, v17, v17, 1.0
	v_rcp_f32_e32 v21, v18
	v_fma_f32 v22, -v18, v21, 1.0
	v_fmac_f32_e32 v21, v22, v21
	v_div_scale_f32 v22, vcc_lo, 1.0, v17, 1.0
	v_mul_f32_e32 v24, v22, v21
	v_fma_f32 v27, -v18, v24, v22
	v_fmac_f32_e32 v24, v27, v21
	v_fma_f32 v18, -v18, v24, v22
	v_div_fmas_f32 v18, v18, v21, v24
	v_div_fixup_f32 v24, v18, v17, 1.0
	v_lshlrev_b64 v[17:18], 2, v[0:1]
	v_add_nc_u32_e32 v0, s1, v0
	v_mul_f32_e32 v15, v15, v24
	v_add_co_u32 v21, vcc_lo, s10, v17
	v_add_co_ci_u32_e64 v22, null, s11, v18, vcc_lo
	v_min_f32_e32 v15, 0x7cf0bdc2, v15
	v_add_co_u32 v17, vcc_lo, s12, v17
	global_load_dword v21, v[21:22], off
	v_add_co_ci_u32_e64 v18, null, s13, v18, vcc_lo
	s_waitcnt vmcnt(0)
	v_mul_f32_e32 v15, v21, v15
	global_store_dword v[17:18], v15, off
	s_clause 0x1
	global_load_dword v15, v[12:13], off
	global_load_dword v12, v[8:9], off
	v_lshlrev_b64 v[8:9], 2, v[0:1]
	v_add_nc_u32_e32 v0, s2, v0
	v_add_co_u32 v8, vcc_lo, s14, v8
	v_add_co_ci_u32_e64 v9, null, s15, v9, vcc_lo
	global_load_dword v8, v[8:9], off
	s_waitcnt vmcnt(2)
	v_mul_f32_e32 v17, v15, v16
	s_waitcnt vmcnt(0)
	v_mul_f32_e32 v8, v12, v8
	v_div_scale_f32 v9, null, v8, v8, 1.0
	v_rcp_f32_e32 v12, v9
	v_fma_f32 v13, -v9, v12, 1.0
	v_fmac_f32_e32 v12, v13, v12
	v_div_scale_f32 v13, vcc_lo, 1.0, v8, 1.0
	v_mul_f32_e32 v18, v13, v12
	v_fma_f32 v21, -v9, v18, v13
	v_fmac_f32_e32 v18, v21, v12
	v_fma_f32 v9, -v9, v18, v13
	v_div_fmas_f32 v9, v9, v12, v18
	v_div_fixup_f32 v18, v9, v8, 1.0
	v_lshlrev_b64 v[8:9], 2, v[0:1]
	v_add_nc_u32_e32 v0, s0, v0
	v_mul_f32_e32 v21, v17, v18
	v_add_co_u32 v12, vcc_lo, s10, v8
	v_add_co_ci_u32_e64 v13, null, s11, v9, vcc_lo
	v_add_co_u32 v8, vcc_lo, s12, v8
	v_add_co_ci_u32_e64 v9, null, s13, v9, vcc_lo
	global_load_dword v12, v[12:13], off
	v_min_f32_e32 v13, 0x7cf0bdc2, v21
	s_waitcnt vmcnt(0)
	v_mul_f32_e32 v12, v12, v13
	global_load_dword v13, v[10:11], off
	global_store_dword v[8:9], v12, off
	s_waitcnt vmcnt(0)
	v_mul_f32_e32 v8, v13, v23
	v_div_scale_f32 v9, null, v8, v8, 1.0
	v_rcp_f32_e32 v10, v9
	v_fma_f32 v11, -v9, v10, 1.0
	v_fmac_f32_e32 v10, v11, v10
	v_div_scale_f32 v11, vcc_lo, 1.0, v8, 1.0
	v_mul_f32_e32 v12, v11, v10
	v_fma_f32 v21, -v9, v12, v11
	v_fmac_f32_e32 v12, v21, v10
	v_fma_f32 v9, -v9, v12, v11
	v_div_fmas_f32 v9, v9, v10, v12
	v_div_fixup_f32 v8, v9, v8, 1.0
	v_mul_f32_e32 v12, v17, v8
	v_lshlrev_b64 v[8:9], 2, v[0:1]
	v_add_co_u32 v10, vcc_lo, s10, v8
	v_add_co_ci_u32_e64 v11, null, s11, v9, vcc_lo
	v_add_co_u32 v8, vcc_lo, s12, v8
	v_add_co_ci_u32_e64 v9, null, s13, v9, vcc_lo
	global_load_dword v10, v[10:11], off
	v_min_f32_e32 v11, 0x7cf0bdc2, v12
	s_waitcnt vmcnt(0)
	v_mul_f32_e32 v10, v10, v11
	global_store_dword v[8:9], v10, off
	v_mad_u64_u32 v[8:9], null, 0xffffff99, s0, v[0:1]
	v_mov_b32_e32 v9, v1
	v_lshlrev_b64 v[10:11], 2, v[8:9]
	v_mad_u64_u32 v[8:9], null, 0x68, s0, v[8:9]
	v_mov_b32_e32 v9, v1
	v_add_co_u32 v10, vcc_lo, s14, v10
	v_add_co_ci_u32_e64 v11, null, s15, v11, vcc_lo
	s_clause 0x1
	global_load_dword v0, v[10:11], off
	global_load_dword v10, v[19:20], off
	s_waitcnt vmcnt(1)
	v_mul_f32_e32 v0, v0, v16
	s_waitcnt vmcnt(0)
	v_mul_f32_e32 v10, v23, v10
	v_div_scale_f32 v11, null, v10, v10, 1.0
	v_rcp_f32_e32 v12, v11
	v_fma_f32 v17, -v11, v12, 1.0
	v_fmac_f32_e32 v12, v17, v12
	v_div_scale_f32 v17, vcc_lo, 1.0, v10, 1.0
	v_mul_f32_e32 v19, v17, v12
	v_fma_f32 v20, -v11, v19, v17
	v_fmac_f32_e32 v19, v20, v12
	v_fma_f32 v11, -v11, v19, v17
	v_div_fmas_f32 v11, v11, v12, v19
	v_div_fixup_f32 v10, v11, v10, 1.0
	v_mul_f32_e32 v0, v0, v10
	v_lshlrev_b64 v[9:10], 2, v[8:9]
	v_min_f32_e32 v0, 0x7cf0bdc2, v0
	v_add_co_u32 v11, vcc_lo, s10, v9
	v_add_co_ci_u32_e64 v12, null, s11, v10, vcc_lo
	v_add_co_u32 v9, vcc_lo, s12, v9
	v_add_co_ci_u32_e64 v10, null, s13, v10, vcc_lo
	global_load_dword v11, v[11:12], off
	s_waitcnt vmcnt(0)
	v_mul_f32_e32 v0, v11, v0
	global_store_dword v[9:10], v0, off
	v_mul_f32_e32 v0, v13, v16
	v_mul_f32_e32 v10, v14, v0
	v_add_nc_u32_e32 v0, s1, v8
	v_lshlrev_b64 v[8:9], 2, v[0:1]
	v_add_nc_u32_e32 v0, s2, v0
	v_add_co_u32 v8, vcc_lo, s14, v8
	v_add_co_ci_u32_e64 v9, null, s15, v9, vcc_lo
	global_load_dword v8, v[8:9], off
	s_waitcnt vmcnt(0)
	v_div_scale_f32 v9, null, v8, v8, 1.0
	v_rcp_f32_e32 v11, v9
	v_fma_f32 v12, -v9, v11, 1.0
	v_fmac_f32_e32 v11, v12, v11
	v_div_scale_f32 v12, vcc_lo, 1.0, v8, 1.0
	v_mul_f32_e32 v13, v12, v11
	v_fma_f32 v14, -v9, v13, v12
	v_fmac_f32_e32 v13, v14, v11
	v_fma_f32 v9, -v9, v13, v12
	v_div_fmas_f32 v9, v9, v11, v13
	v_div_fixup_f32 v8, v9, v8, 1.0
	v_mul_f32_e32 v12, v10, v8
	v_lshlrev_b64 v[8:9], 2, v[0:1]
	v_add_nc_u32_e32 v0, s0, v0
	v_add_co_u32 v10, vcc_lo, s10, v8
	v_add_co_ci_u32_e64 v11, null, s11, v9, vcc_lo
	v_add_co_u32 v8, vcc_lo, s12, v8
	v_add_co_ci_u32_e64 v9, null, s13, v9, vcc_lo
	global_load_dword v10, v[10:11], off
	v_min_f32_e32 v11, 0x7cf0bdc2, v12
	s_waitcnt vmcnt(0)
	v_mul_f32_e32 v10, v10, v11
	global_store_dword v[8:9], v10, off
	global_load_dword v8, v[25:26], off
	s_waitcnt vmcnt(0)
	v_div_scale_f32 v9, null, v8, v8, 1.0
	v_mul_f32_e32 v6, v6, v8
	v_rcp_f32_e32 v10, v9
	v_fma_f32 v11, -v9, v10, 1.0
	v_fmac_f32_e32 v10, v11, v10
	v_div_scale_f32 v11, vcc_lo, 1.0, v8, 1.0
	v_mul_f32_e32 v12, v11, v10
	v_fma_f32 v13, -v9, v12, v11
	v_fmac_f32_e32 v12, v13, v10
	v_fma_f32 v9, -v9, v12, v11
	v_div_fmas_f32 v9, v9, v10, v12
	v_div_fixup_f32 v9, v9, v8, 1.0
	v_mul_f32_e32 v13, v16, v9
	v_lshlrev_b64 v[9:10], 2, v[0:1]
	v_add_nc_u32_e32 v0, s0, v0
	v_add_co_u32 v11, vcc_lo, s10, v9
	v_add_co_ci_u32_e64 v12, null, s11, v10, vcc_lo
	v_add_co_u32 v9, vcc_lo, s12, v9
	v_add_co_ci_u32_e64 v10, null, s13, v10, vcc_lo
	global_load_dword v11, v[11:12], off
	v_min_f32_e32 v12, 0x7cf0bdc2, v13
	s_waitcnt vmcnt(0)
	v_mul_f32_e32 v11, v11, v12
	global_store_dword v[9:10], v11, off
	v_mul_f32_e32 v11, v6, v24
	v_lshlrev_b64 v[6:7], 2, v[0:1]
	v_add_nc_u32_e32 v0, s0, v0
	v_add_co_u32 v9, vcc_lo, s10, v6
	v_add_co_ci_u32_e64 v10, null, s11, v7, vcc_lo
	v_add_co_u32 v6, vcc_lo, s12, v6
	v_add_co_ci_u32_e64 v7, null, s13, v7, vcc_lo
	global_load_dword v9, v[9:10], off
	v_min_f32_e32 v10, 0x7cf0bdc2, v11
	s_waitcnt vmcnt(0)
	v_mul_f32_e32 v9, v9, v10
	global_store_dword v[6:7], v9, off
	v_mul_f32_e32 v6, v15, v8
	v_mul_f32_e32 v11, v6, v18
	v_lshlrev_b64 v[6:7], 2, v[0:1]
	v_add_co_u32 v9, vcc_lo, s10, v6
	v_add_co_ci_u32_e64 v10, null, s11, v7, vcc_lo
	v_add_co_u32 v6, vcc_lo, s12, v6
	v_add_co_ci_u32_e64 v7, null, s13, v7, vcc_lo
	global_load_dword v9, v[9:10], off
	v_min_f32_e32 v10, 0x7cf0bdc2, v11
	s_waitcnt vmcnt(0)
	v_mul_f32_e32 v9, v9, v10
	global_store_dword v[6:7], v9, off
	global_load_dword v6, v[4:5], off
	v_mad_u64_u32 v[3:4], null, 0xffffff93, s0, v[0:1]
	v_mov_b32_e32 v4, v1
	v_mul_f32_e32 v2, v2, v8
	v_lshlrev_b64 v[4:5], 2, v[3:4]
	v_add_co_u32 v4, vcc_lo, s14, v4
	v_add_co_ci_u32_e64 v5, null, s15, v5, vcc_lo
	global_load_dword v0, v[4:5], off
	s_waitcnt vmcnt(0)
	v_mul_f32_e32 v0, v6, v0
	v_div_scale_f32 v4, null, v0, v0, 1.0
	v_rcp_f32_e32 v5, v4
	v_fma_f32 v6, -v4, v5, 1.0
	v_fmac_f32_e32 v5, v6, v5
	v_div_scale_f32 v6, vcc_lo, 1.0, v0, 1.0
	v_mul_f32_e32 v7, v6, v5
	v_fma_f32 v8, -v4, v7, v6
	v_fmac_f32_e32 v7, v8, v5
	v_fma_f32 v4, -v4, v7, v6
	v_div_fmas_f32 v4, v4, v5, v7
	v_div_fixup_f32 v0, v4, v0, 1.0
	v_mul_f32_e32 v4, v2, v0
	v_mad_u64_u32 v[2:3], null, 0x6e, s0, v[3:4]
	v_mov_b32_e32 v3, v1
	v_lshlrev_b64 v[0:1], 2, v[2:3]
	v_add_co_u32 v2, vcc_lo, s10, v0
	v_add_co_ci_u32_e64 v3, null, s11, v1, vcc_lo
	v_add_co_u32 v0, vcc_lo, s12, v0
	v_add_co_ci_u32_e64 v1, null, s13, v1, vcc_lo
	global_load_dword v2, v[2:3], off
	v_min_f32_e32 v3, 0x7cf0bdc2, v4
	s_waitcnt vmcnt(0)
	v_mul_f32_e32 v2, v2, v3
	global_store_dword v[0:1], v2, off
	s_endpgm
	.section	.rodata,"a",@progbits
	.p2align	6, 0x0
	.amdhsa_kernel _Z12ratt6_kernelIfEvPKT_S2_PS0_S2_S0_
		.amdhsa_group_segment_fixed_size 0
		.amdhsa_private_segment_fixed_size 0
		.amdhsa_kernarg_size 296
		.amdhsa_user_sgpr_count 6
		.amdhsa_user_sgpr_private_segment_buffer 1
		.amdhsa_user_sgpr_dispatch_ptr 0
		.amdhsa_user_sgpr_queue_ptr 0
		.amdhsa_user_sgpr_kernarg_segment_ptr 1
		.amdhsa_user_sgpr_dispatch_id 0
		.amdhsa_user_sgpr_flat_scratch_init 0
		.amdhsa_user_sgpr_private_segment_size 0
		.amdhsa_wavefront_size32 1
		.amdhsa_uses_dynamic_stack 0
		.amdhsa_system_sgpr_private_segment_wavefront_offset 0
		.amdhsa_system_sgpr_workgroup_id_x 1
		.amdhsa_system_sgpr_workgroup_id_y 0
		.amdhsa_system_sgpr_workgroup_id_z 0
		.amdhsa_system_sgpr_workgroup_info 0
		.amdhsa_system_vgpr_workitem_id 0
		.amdhsa_next_free_vgpr 33
		.amdhsa_next_free_sgpr 16
		.amdhsa_reserve_vcc 1
		.amdhsa_reserve_flat_scratch 0
		.amdhsa_float_round_mode_32 0
		.amdhsa_float_round_mode_16_64 0
		.amdhsa_float_denorm_mode_32 3
		.amdhsa_float_denorm_mode_16_64 3
		.amdhsa_dx10_clamp 1
		.amdhsa_ieee_mode 1
		.amdhsa_fp16_overflow 0
		.amdhsa_workgroup_processor_mode 1
		.amdhsa_memory_ordered 1
		.amdhsa_forward_progress 1
		.amdhsa_shared_vgpr_count 0
		.amdhsa_exception_fp_ieee_invalid_op 0
		.amdhsa_exception_fp_denorm_src 0
		.amdhsa_exception_fp_ieee_div_zero 0
		.amdhsa_exception_fp_ieee_overflow 0
		.amdhsa_exception_fp_ieee_underflow 0
		.amdhsa_exception_fp_ieee_inexact 0
		.amdhsa_exception_int_div_zero 0
	.end_amdhsa_kernel
	.section	.text._Z12ratt6_kernelIfEvPKT_S2_PS0_S2_S0_,"axG",@progbits,_Z12ratt6_kernelIfEvPKT_S2_PS0_S2_S0_,comdat
.Lfunc_end7:
	.size	_Z12ratt6_kernelIfEvPKT_S2_PS0_S2_S0_, .Lfunc_end7-_Z12ratt6_kernelIfEvPKT_S2_PS0_S2_S0_
                                        ; -- End function
	.set _Z12ratt6_kernelIfEvPKT_S2_PS0_S2_S0_.num_vgpr, 33
	.set _Z12ratt6_kernelIfEvPKT_S2_PS0_S2_S0_.num_agpr, 0
	.set _Z12ratt6_kernelIfEvPKT_S2_PS0_S2_S0_.numbered_sgpr, 16
	.set _Z12ratt6_kernelIfEvPKT_S2_PS0_S2_S0_.num_named_barrier, 0
	.set _Z12ratt6_kernelIfEvPKT_S2_PS0_S2_S0_.private_seg_size, 0
	.set _Z12ratt6_kernelIfEvPKT_S2_PS0_S2_S0_.uses_vcc, 1
	.set _Z12ratt6_kernelIfEvPKT_S2_PS0_S2_S0_.uses_flat_scratch, 0
	.set _Z12ratt6_kernelIfEvPKT_S2_PS0_S2_S0_.has_dyn_sized_stack, 0
	.set _Z12ratt6_kernelIfEvPKT_S2_PS0_S2_S0_.has_recursion, 0
	.set _Z12ratt6_kernelIfEvPKT_S2_PS0_S2_S0_.has_indirect_call, 0
	.section	.AMDGPU.csdata,"",@progbits
; Kernel info:
; codeLenInByte = 5272
; TotalNumSgprs: 18
; NumVgprs: 33
; ScratchSize: 0
; MemoryBound: 0
; FloatMode: 240
; IeeeMode: 1
; LDSByteSize: 0 bytes/workgroup (compile time only)
; SGPRBlocks: 0
; VGPRBlocks: 4
; NumSGPRsForWavesPerEU: 18
; NumVGPRsForWavesPerEU: 33
; Occupancy: 16
; WaveLimiterHint : 0
; COMPUTE_PGM_RSRC2:SCRATCH_EN: 0
; COMPUTE_PGM_RSRC2:USER_SGPR: 6
; COMPUTE_PGM_RSRC2:TRAP_HANDLER: 0
; COMPUTE_PGM_RSRC2:TGID_X_EN: 1
; COMPUTE_PGM_RSRC2:TGID_Y_EN: 0
; COMPUTE_PGM_RSRC2:TGID_Z_EN: 0
; COMPUTE_PGM_RSRC2:TIDIG_COMP_CNT: 0
	.section	.text._Z12ratt7_kernelIfEvPKT_S2_PS0_S2_S0_,"axG",@progbits,_Z12ratt7_kernelIfEvPKT_S2_PS0_S2_S0_,comdat
	.protected	_Z12ratt7_kernelIfEvPKT_S2_PS0_S2_S0_ ; -- Begin function _Z12ratt7_kernelIfEvPKT_S2_PS0_S2_S0_
	.globl	_Z12ratt7_kernelIfEvPKT_S2_PS0_S2_S0_
	.p2align	8
	.type	_Z12ratt7_kernelIfEvPKT_S2_PS0_S2_S0_,@function
_Z12ratt7_kernelIfEvPKT_S2_PS0_S2_S0_:  ; @_Z12ratt7_kernelIfEvPKT_S2_PS0_S2_S0_
; %bb.0:
	s_clause 0x3
	s_load_dwordx8 s[8:15], s[4:5], 0x0
	s_load_dword s0, s[4:5], 0x20
	s_load_dword s1, s[4:5], 0x28
	;; [unrolled: 1-line block ×3, first 2 shown]
	s_waitcnt lgkmcnt(0)
	s_and_b32 s2, s2, 0xffff
	v_mad_u64_u32 v[0:1], null, s6, s2, v[0:1]
	v_mov_b32_e32 v1, 0
	v_lshlrev_b64 v[4:5], 2, v[0:1]
	v_add_co_u32 v2, vcc_lo, s8, v4
	v_add_co_ci_u32_e64 v3, null, s9, v5, vcc_lo
	global_load_dword v2, v[2:3], off
	s_waitcnt vmcnt(0)
	v_mul_f32_e32 v2, s0, v2
	s_mul_i32 s0, s1, s2
	v_add_nc_u32_e32 v0, s0, v0
	s_lshl_b32 s1, s0, 1
	v_mul_f32_e32 v2, 0x4c9e9632, v2
	s_mul_i32 s3, s0, 0x72
	s_mul_i32 s2, s0, 0x73
	;; [unrolled: 1-line block ×3, first 2 shown]
	v_div_scale_f32 v3, null, v2, v2, 1.0
	v_rcp_f32_e32 v6, v3
	v_fma_f32 v7, -v3, v6, 1.0
	v_fmac_f32_e32 v6, v7, v6
	v_div_scale_f32 v7, vcc_lo, 1.0, v2, 1.0
	v_mul_f32_e32 v8, v7, v6
	v_fma_f32 v9, -v3, v8, v7
	v_fmac_f32_e32 v8, v9, v6
	v_fma_f32 v3, -v3, v8, v7
	v_div_fmas_f32 v3, v3, v6, v8
	v_mad_u64_u32 v[6:7], null, s0, 24, v[0:1]
	v_mov_b32_e32 v7, v1
	v_div_fixup_f32 v2, v3, v2, 1.0
	v_mul_f32_e32 v22, 0x49776020, v2
	v_lshlrev_b64 v[2:3], 2, v[0:1]
	v_add_nc_u32_e32 v0, s0, v6
	v_add_co_u32 v10, vcc_lo, s14, v2
	v_add_co_ci_u32_e64 v11, null, s15, v3, vcc_lo
	v_lshlrev_b64 v[2:3], 2, v[6:7]
	v_lshlrev_b64 v[6:7], 2, v[0:1]
	global_load_dword v9, v[10:11], off
	v_add_co_u32 v2, vcc_lo, s14, v2
	v_add_co_ci_u32_e64 v3, null, s15, v3, vcc_lo
	v_add_co_u32 v6, vcc_lo, s14, v6
	v_add_co_ci_u32_e64 v7, null, s15, v7, vcc_lo
	s_clause 0x1
	global_load_dword v16, v[2:3], off
	global_load_dword v23, v[6:7], off
	s_waitcnt vmcnt(1)
	v_mul_f32_e32 v8, v9, v16
	s_waitcnt vmcnt(0)
	v_div_scale_f32 v13, null, v23, v23, 1.0
	v_mul_f32_e32 v12, v8, v22
	v_rcp_f32_e32 v14, v13
	v_fma_f32 v15, -v13, v14, 1.0
	v_fmac_f32_e32 v14, v15, v14
	v_div_scale_f32 v15, vcc_lo, 1.0, v23, 1.0
	v_mul_f32_e32 v17, v15, v14
	v_fma_f32 v18, -v13, v17, v15
	v_fmac_f32_e32 v17, v18, v14
	v_fma_f32 v13, -v13, v17, v15
	v_div_fmas_f32 v13, v13, v14, v17
	v_div_fixup_f32 v13, v13, v23, 1.0
	v_mul_f32_e32 v19, v13, v12
	v_mad_u64_u32 v[12:13], null, 0x63, s0, v[0:1]
	v_mov_b32_e32 v13, v1
	v_lshlrev_b64 v[14:15], 2, v[12:13]
	v_mad_u64_u32 v[12:13], null, 0xffffff9b, s0, v[12:13]
	v_mov_b32_e32 v13, v1
	v_add_co_u32 v17, vcc_lo, s10, v14
	v_add_co_ci_u32_e64 v18, null, s11, v15, vcc_lo
	v_add_co_u32 v14, vcc_lo, s12, v14
	v_add_co_ci_u32_e64 v15, null, s13, v15, vcc_lo
	global_load_dword v0, v[17:18], off
	v_min_f32_e32 v17, 0x7cf0bdc2, v19
	v_add_co_u32 v4, vcc_lo, s14, v4
	v_add_co_ci_u32_e64 v5, null, s15, v5, vcc_lo
	global_load_dword v24, v[4:5], off
	s_waitcnt vmcnt(1)
	v_mul_f32_e32 v0, v0, v17
	global_store_dword v[14:15], v0, off
	v_lshlrev_b64 v[13:14], 2, v[12:13]
	v_add_co_u32 v13, vcc_lo, s14, v13
	v_add_co_ci_u32_e64 v14, null, s15, v14, vcc_lo
	global_load_dword v17, v[13:14], off
	s_waitcnt vmcnt(0)
	v_mul_f32_e32 v0, v24, v17
	v_div_scale_f32 v13, null, v0, v0, 1.0
	v_rcp_f32_e32 v14, v13
	v_fma_f32 v15, -v13, v14, 1.0
	v_fmac_f32_e32 v14, v15, v14
	v_div_scale_f32 v15, vcc_lo, 1.0, v0, 1.0
	v_mul_f32_e32 v18, v15, v14
	v_fma_f32 v19, -v13, v18, v15
	v_fmac_f32_e32 v18, v19, v14
	v_fma_f32 v13, -v13, v18, v15
	v_div_fmas_f32 v13, v13, v14, v18
	v_div_fixup_f32 v0, v13, v0, 1.0
	v_mad_u64_u32 v[12:13], null, 0x66, s0, v[12:13]
	v_mov_b32_e32 v13, v1
	v_mul_f32_e32 v0, v8, v0
	v_lshlrev_b64 v[14:15], 2, v[12:13]
	v_min_f32_e32 v0, 0x7cf0bdc2, v0
	v_add_co_u32 v18, vcc_lo, s10, v14
	v_add_co_ci_u32_e64 v19, null, s11, v15, vcc_lo
	v_add_co_u32 v14, vcc_lo, s12, v14
	v_add_co_ci_u32_e64 v15, null, s13, v15, vcc_lo
	global_load_dword v18, v[18:19], off
	s_waitcnt vmcnt(0)
	v_mul_f32_e32 v0, v18, v0
	global_store_dword v[14:15], v0, off
	v_mad_u64_u32 v[14:15], null, 0xffffff8d, s0, v[12:13]
	v_mov_b32_e32 v15, v1
	v_add_nc_u32_e32 v0, s1, v14
	v_lshlrev_b64 v[12:13], 2, v[14:15]
	v_lshlrev_b64 v[14:15], 2, v[0:1]
	v_add_nc_u32_e32 v0, s3, v0
	v_add_co_u32 v12, vcc_lo, s14, v12
	v_add_co_ci_u32_e64 v13, null, s15, v13, vcc_lo
	v_add_co_u32 v14, vcc_lo, s14, v14
	v_add_co_ci_u32_e64 v15, null, s15, v15, vcc_lo
	s_clause 0x3
	global_load_dword v18, v[12:13], off
	global_load_dword v19, v[14:15], off
	;; [unrolled: 1-line block ×4, first 2 shown]
	s_waitcnt vmcnt(2)
	v_mul_f32_e32 v18, v18, v19
	v_div_scale_f32 v19, null, v18, v18, 1.0
	v_rcp_f32_e32 v20, v19
	v_fma_f32 v21, -v19, v20, 1.0
	v_fmac_f32_e32 v20, v21, v20
	v_div_scale_f32 v21, vcc_lo, 1.0, v18, 1.0
	v_mul_f32_e32 v25, v21, v20
	v_fma_f32 v26, -v19, v25, v21
	v_fmac_f32_e32 v25, v26, v20
	v_fma_f32 v19, -v19, v25, v21
	v_div_fmas_f32 v19, v19, v20, v25
	v_div_fixup_f32 v27, v19, v18, 1.0
	v_lshlrev_b64 v[18:19], 2, v[0:1]
	v_mul_f32_e32 v25, v8, v27
	v_add_co_u32 v20, vcc_lo, s10, v18
	v_add_co_ci_u32_e64 v21, null, s11, v19, vcc_lo
	v_add_co_u32 v18, vcc_lo, s12, v18
	v_add_co_ci_u32_e64 v19, null, s13, v19, vcc_lo
	global_load_dword v20, v[20:21], off
	v_min_f32_e32 v21, 0x7cf0bdc2, v25
	s_waitcnt vmcnt(0)
	v_mul_f32_e32 v20, v20, v21
	global_store_dword v[18:19], v20, off
	v_mad_u64_u32 v[18:19], null, 0xffffff83, s0, v[0:1]
	v_mov_b32_e32 v19, v1
	v_lshlrev_b64 v[19:20], 2, v[18:19]
	v_add_nc_u32_e32 v0, s1, v18
	s_mul_i32 s1, s0, 0xffffff89
	v_add_co_u32 v19, vcc_lo, s14, v19
	v_add_co_ci_u32_e64 v20, null, s15, v20, vcc_lo
	global_load_dword v26, v[19:20], off
	v_lshlrev_b64 v[18:19], 2, v[0:1]
	v_add_co_u32 v18, vcc_lo, s14, v18
	v_add_co_ci_u32_e64 v19, null, s15, v19, vcc_lo
	global_load_dword v25, v[18:19], off
	s_waitcnt vmcnt(1)
	v_mul_f32_e32 v21, v16, v26
	s_waitcnt vmcnt(0)
	v_mul_f32_e32 v18, v17, v25
	v_mul_f32_e32 v16, v16, v25
	v_div_scale_f32 v19, null, v18, v18, 1.0
	v_rcp_f32_e32 v20, v19
	v_fma_f32 v28, -v19, v20, 1.0
	v_fmac_f32_e32 v20, v28, v20
	v_div_scale_f32 v28, vcc_lo, 1.0, v18, 1.0
	v_mul_f32_e32 v29, v28, v20
	v_fma_f32 v30, -v19, v29, v28
	v_fmac_f32_e32 v29, v30, v20
	v_fma_f32 v19, -v19, v29, v28
	v_div_fmas_f32 v19, v19, v20, v29
	v_div_fixup_f32 v18, v19, v18, 1.0
	v_mul_f32_e32 v30, v21, v18
	v_mad_u64_u32 v[18:19], null, 0x7c, s0, v[0:1]
	v_mov_b32_e32 v19, v1
	v_lshlrev_b64 v[19:20], 2, v[18:19]
	v_add_co_u32 v28, vcc_lo, s10, v19
	v_add_co_ci_u32_e64 v29, null, s11, v20, vcc_lo
	v_add_co_u32 v19, vcc_lo, s12, v19
	v_add_co_ci_u32_e64 v20, null, s13, v20, vcc_lo
	global_load_dword v0, v[28:29], off
	v_min_f32_e32 v28, 0x7cf0bdc2, v30
	s_waitcnt vmcnt(0)
	v_mul_f32_e32 v0, v0, v28
	global_store_dword v[19:20], v0, off
	v_add_nc_u32_e32 v0, s1, v18
	v_lshlrev_b64 v[18:19], 2, v[0:1]
	v_add_co_u32 v18, vcc_lo, s14, v18
	v_add_co_ci_u32_e64 v19, null, s15, v19, vcc_lo
	global_load_dword v28, v[18:19], off
	v_mad_u64_u32 v[18:19], null, s0, 5, v[0:1]
	v_mov_b32_e32 v19, v1
	v_lshlrev_b64 v[19:20], 2, v[18:19]
	v_add_co_u32 v19, vcc_lo, s14, v19
	v_add_co_ci_u32_e64 v20, null, s15, v20, vcc_lo
	global_load_dword v0, v[19:20], off
	s_waitcnt vmcnt(0)
	v_mul_f32_e32 v0, v28, v0
	v_div_scale_f32 v19, null, v0, v0, 1.0
	v_rcp_f32_e32 v20, v19
	v_fma_f32 v28, -v19, v20, 1.0
	v_fmac_f32_e32 v20, v28, v20
	v_div_scale_f32 v28, vcc_lo, 1.0, v0, 1.0
	v_mul_f32_e32 v29, v28, v20
	v_fma_f32 v30, -v19, v29, v28
	v_fmac_f32_e32 v29, v30, v20
	v_fma_f32 v19, -v19, v29, v28
	v_div_fmas_f32 v19, v19, v20, v29
	v_div_fixup_f32 v0, v19, v0, 1.0
	v_mul_f32_e32 v28, v21, v0
	v_add_nc_u32_e32 v0, s2, v18
	v_lshlrev_b64 v[18:19], 2, v[0:1]
	v_add_co_u32 v20, vcc_lo, s10, v18
	v_add_co_ci_u32_e64 v21, null, s11, v19, vcc_lo
	v_add_co_u32 v18, vcc_lo, s12, v18
	v_add_co_ci_u32_e64 v19, null, s13, v19, vcc_lo
	global_load_dword v20, v[20:21], off
	v_min_f32_e32 v21, 0x7cf0bdc2, v28
	s_waitcnt vmcnt(0)
	v_mul_f32_e32 v20, v20, v21
	global_store_dword v[18:19], v20, off
	v_mad_u64_u32 v[18:19], null, 0xffffff84, s0, v[0:1]
	v_mov_b32_e32 v19, v1
	v_lshlrev_b64 v[19:20], 2, v[18:19]
	v_add_co_u32 v19, vcc_lo, s14, v19
	v_add_co_ci_u32_e64 v20, null, s15, v20, vcc_lo
	global_load_dword v33, v[19:20], off
	s_waitcnt vmcnt(0)
	v_mul_f32_e32 v0, v17, v33
	v_div_scale_f32 v17, null, v0, v0, 1.0
	v_rcp_f32_e32 v19, v17
	v_fma_f32 v20, -v17, v19, 1.0
	v_fmac_f32_e32 v19, v20, v19
	v_div_scale_f32 v20, vcc_lo, 1.0, v0, 1.0
	v_mul_f32_e32 v21, v20, v19
	v_fma_f32 v28, -v17, v21, v20
	v_fmac_f32_e32 v21, v28, v19
	v_fma_f32 v17, -v17, v21, v20
	v_div_fmas_f32 v17, v17, v19, v21
	v_div_fixup_f32 v0, v17, v0, 1.0
	v_mul_f32_e32 v0, v16, v0
	v_mad_u64_u32 v[16:17], null, 0x7d, s0, v[18:19]
	v_mov_b32_e32 v17, v1
	v_min_f32_e32 v0, 0x7cf0bdc2, v0
	v_lshlrev_b64 v[17:18], 2, v[16:17]
	v_add_co_u32 v19, vcc_lo, s10, v17
	v_add_co_ci_u32_e64 v20, null, s11, v18, vcc_lo
	v_add_co_u32 v17, vcc_lo, s12, v17
	v_add_co_ci_u32_e64 v18, null, s13, v18, vcc_lo
	global_load_dword v19, v[19:20], off
	s_waitcnt vmcnt(0)
	v_mul_f32_e32 v0, v19, v0
	global_store_dword v[17:18], v0, off
	v_mad_u64_u32 v[18:19], null, 0xffffff92, s0, v[16:17]
	v_mov_b32_e32 v19, v1
	v_add_nc_u32_e32 v0, s0, v18
	v_lshlrev_b64 v[16:17], 2, v[18:19]
	v_lshlrev_b64 v[18:19], 2, v[0:1]
	v_add_co_u32 v16, vcc_lo, s14, v16
	v_add_co_ci_u32_e64 v17, null, s15, v17, vcc_lo
	v_add_co_u32 v20, vcc_lo, s14, v18
	v_add_co_ci_u32_e64 v21, null, s15, v19, vcc_lo
	s_clause 0x2
	global_load_dword v28, v[16:17], off
	global_load_dword v18, v[20:21], off
	;; [unrolled: 1-line block ×3, first 2 shown]
	s_waitcnt vmcnt(2)
	v_mul_f32_e32 v9, v9, v28
	s_waitcnt vmcnt(1)
	v_div_scale_f32 v19, null, v18, v18, 1.0
	v_mul_f32_e32 v29, v22, v9
	v_rcp_f32_e32 v30, v19
	v_fma_f32 v31, -v19, v30, 1.0
	v_fmac_f32_e32 v30, v31, v30
	v_div_scale_f32 v31, vcc_lo, 1.0, v18, 1.0
	v_mul_f32_e32 v32, v31, v30
	v_fma_f32 v34, -v19, v32, v31
	v_fmac_f32_e32 v32, v34, v30
	v_fma_f32 v19, -v19, v32, v31
	v_div_fmas_f32 v19, v19, v30, v32
	v_div_fixup_f32 v18, v19, v18, 1.0
	v_mul_f32_e32 v34, v29, v18
	v_mad_u64_u32 v[18:19], null, 0x6e, s0, v[0:1]
	v_mov_b32_e32 v19, v1
	v_lshlrev_b64 v[29:30], 2, v[18:19]
	v_min_f32_e32 v19, 0x7cf0bdc2, v34
	v_add_co_u32 v31, vcc_lo, s10, v29
	v_add_co_ci_u32_e64 v32, null, s11, v30, vcc_lo
	v_add_co_u32 v29, vcc_lo, s12, v29
	v_add_co_ci_u32_e64 v30, null, s13, v30, vcc_lo
	global_load_dword v0, v[31:32], off
	s_waitcnt vmcnt(0)
	v_mul_f32_e32 v0, v0, v19
	global_store_dword v[29:30], v0, off
	v_add_nc_u32_e32 v0, s4, v18
	v_lshlrev_b64 v[18:19], 2, v[0:1]
	v_add_nc_u32_e32 v0, s3, v0
	v_add_co_u32 v18, vcc_lo, s14, v18
	v_add_co_ci_u32_e64 v19, null, s15, v19, vcc_lo
	global_load_dword v34, v[18:19], off
	s_waitcnt vmcnt(0)
	v_mul_f32_e32 v29, v24, v34
	v_div_scale_f32 v30, null, v29, v29, 1.0
	v_rcp_f32_e32 v31, v30
	v_fma_f32 v32, -v30, v31, 1.0
	v_fmac_f32_e32 v31, v32, v31
	v_div_scale_f32 v32, vcc_lo, 1.0, v29, 1.0
	v_mul_f32_e32 v35, v32, v31
	v_fma_f32 v36, -v30, v35, v32
	v_fmac_f32_e32 v35, v36, v31
	v_fma_f32 v30, -v30, v35, v32
	v_div_fmas_f32 v30, v30, v31, v35
	v_div_fixup_f32 v29, v30, v29, 1.0
	v_mul_f32_e32 v35, v9, v29
	v_lshlrev_b64 v[29:30], 2, v[0:1]
	v_add_nc_u32_e32 v0, s4, v0
	s_mul_i32 s4, s0, 0x83
	v_add_co_u32 v31, vcc_lo, s10, v29
	v_add_co_ci_u32_e64 v32, null, s11, v30, vcc_lo
	v_add_co_u32 v29, vcc_lo, s12, v29
	v_add_co_ci_u32_e64 v30, null, s13, v30, vcc_lo
	global_load_dword v31, v[31:32], off
	v_min_f32_e32 v32, 0x7cf0bdc2, v35
	s_waitcnt vmcnt(0)
	v_mul_f32_e32 v31, v31, v32
	global_store_dword v[29:30], v31, off
	v_lshlrev_b64 v[29:30], 2, v[0:1]
	v_add_nc_u32_e32 v0, s3, v0
	s_mul_i32 s3, s0, 0xffffff7b
	v_add_co_u32 v29, vcc_lo, s14, v29
	v_add_co_ci_u32_e64 v30, null, s15, v30, vcc_lo
	global_load_dword v29, v[29:30], off
	s_waitcnt vmcnt(0)
	v_mul_f32_e32 v24, v24, v29
	v_div_scale_f32 v29, null, v24, v24, 1.0
	v_rcp_f32_e32 v30, v29
	v_fma_f32 v31, -v29, v30, 1.0
	v_fmac_f32_e32 v30, v31, v30
	v_div_scale_f32 v31, vcc_lo, 1.0, v24, 1.0
	v_mul_f32_e32 v32, v31, v30
	v_fma_f32 v35, -v29, v32, v31
	v_fmac_f32_e32 v32, v35, v30
	v_fma_f32 v29, -v29, v32, v31
	v_div_fmas_f32 v29, v29, v30, v32
	v_div_fixup_f32 v24, v29, v24, 1.0
	v_lshlrev_b64 v[29:30], 2, v[0:1]
	v_add_nc_u32_e32 v0, s0, v0
	v_mul_f32_e32 v9, v9, v24
	v_add_co_u32 v31, vcc_lo, s10, v29
	v_add_co_ci_u32_e64 v32, null, s11, v30, vcc_lo
	v_min_f32_e32 v9, 0x7cf0bdc2, v9
	v_add_co_u32 v29, vcc_lo, s12, v29
	global_load_dword v24, v[31:32], off
	v_add_co_ci_u32_e64 v30, null, s13, v30, vcc_lo
	s_waitcnt vmcnt(0)
	v_mul_f32_e32 v9, v24, v9
	v_mul_f32_e32 v24, v26, v28
	global_store_dword v[29:30], v9, off
	v_div_scale_f32 v9, null, v8, v8, 1.0
	v_rcp_f32_e32 v29, v9
	v_fma_f32 v30, -v9, v29, 1.0
	v_fmac_f32_e32 v29, v30, v29
	v_div_scale_f32 v30, vcc_lo, 1.0, v8, 1.0
	v_mul_f32_e32 v31, v30, v29
	v_fma_f32 v32, -v9, v31, v30
	v_fmac_f32_e32 v31, v32, v29
	v_fma_f32 v9, -v9, v31, v30
	v_div_fmas_f32 v9, v9, v29, v31
	v_div_fixup_f32 v8, v9, v8, 1.0
	v_mul_f32_e32 v31, v8, v24
	v_lshlrev_b64 v[8:9], 2, v[0:1]
	v_add_nc_u32_e32 v0, s0, v0
	v_mul_f32_e32 v24, v27, v24
	v_add_co_u32 v29, vcc_lo, s10, v8
	v_add_co_ci_u32_e64 v30, null, s11, v9, vcc_lo
	v_add_co_u32 v8, vcc_lo, s12, v8
	v_add_co_ci_u32_e64 v9, null, s13, v9, vcc_lo
	global_load_dword v29, v[29:30], off
	v_min_f32_e32 v30, 0x7cf0bdc2, v31
	v_min_f32_e32 v24, 0x7cf0bdc2, v24
	s_waitcnt vmcnt(0)
	v_mul_f32_e32 v29, v30, v29
	global_store_dword v[8:9], v29, off
	v_lshlrev_b64 v[8:9], 2, v[0:1]
	v_add_nc_u32_e32 v0, s0, v0
	v_add_co_u32 v29, vcc_lo, s10, v8
	v_add_co_ci_u32_e64 v30, null, s11, v9, vcc_lo
	v_add_co_u32 v8, vcc_lo, s12, v8
	v_add_co_ci_u32_e64 v9, null, s13, v9, vcc_lo
	global_load_dword v27, v[29:30], off
	s_waitcnt vmcnt(0)
	v_mul_f32_e32 v24, v24, v27
	global_store_dword v[8:9], v24, off
	v_mul_f32_e32 v9, v33, v34
	v_mul_f32_e32 v8, v25, v28
	v_div_scale_f32 v24, null, v9, v9, 1.0
	v_rcp_f32_e32 v27, v24
	v_fma_f32 v29, -v24, v27, 1.0
	v_fmac_f32_e32 v27, v29, v27
	v_div_scale_f32 v29, vcc_lo, 1.0, v9, 1.0
	v_mul_f32_e32 v30, v29, v27
	v_fma_f32 v31, -v24, v30, v29
	v_fmac_f32_e32 v30, v31, v27
	v_fma_f32 v24, -v24, v30, v29
	v_div_fmas_f32 v24, v24, v27, v30
	v_div_fixup_f32 v9, v24, v9, 1.0
	v_mul_f32_e32 v24, v8, v9
	v_lshlrev_b64 v[8:9], 2, v[0:1]
	v_add_nc_u32_e32 v0, s3, v0
	v_min_f32_e32 v24, 0x7cf0bdc2, v24
	v_add_co_u32 v29, vcc_lo, s10, v8
	v_add_co_ci_u32_e64 v30, null, s11, v9, vcc_lo
	v_add_co_u32 v8, vcc_lo, s12, v8
	v_add_co_ci_u32_e64 v9, null, s13, v9, vcc_lo
	global_load_dword v27, v[29:30], off
	s_waitcnt vmcnt(0)
	v_mul_f32_e32 v24, v24, v27
	global_store_dword v[8:9], v24, off
	v_lshlrev_b64 v[8:9], 2, v[0:1]
	v_add_co_u32 v8, vcc_lo, s14, v8
	v_add_co_ci_u32_e64 v9, null, s15, v9, vcc_lo
	global_load_dword v8, v[8:9], off
	s_waitcnt vmcnt(0)
	v_mul_f32_e32 v24, v28, v8
	v_mad_u64_u32 v[8:9], null, s0, 3, v[0:1]
	v_mov_b32_e32 v9, v1
	v_lshlrev_b64 v[29:30], 2, v[8:9]
	v_add_co_u32 v29, vcc_lo, s14, v29
	v_add_co_ci_u32_e64 v30, null, s15, v30, vcc_lo
	global_load_dword v33, v[29:30], off
	s_waitcnt vmcnt(0)
	v_mul_f32_e32 v0, v34, v33
	v_div_scale_f32 v9, null, v0, v0, 1.0
	v_rcp_f32_e32 v27, v9
	v_fma_f32 v29, -v9, v27, 1.0
	v_fmac_f32_e32 v27, v29, v27
	v_div_scale_f32 v29, vcc_lo, 1.0, v0, 1.0
	v_mul_f32_e32 v30, v29, v27
	v_fma_f32 v31, -v9, v30, v29
	v_fmac_f32_e32 v30, v31, v27
	v_fma_f32 v9, -v9, v30, v29
	v_div_fmas_f32 v9, v9, v27, v30
	v_div_fixup_f32 v0, v9, v0, 1.0
	v_mul_f32_e32 v27, v24, v0
	v_add_nc_u32_e32 v0, s4, v8
	v_min_f32_e32 v27, 0x7cf0bdc2, v27
	v_lshlrev_b64 v[8:9], 2, v[0:1]
	v_add_nc_u32_e32 v0, s0, v0
	v_add_co_u32 v29, vcc_lo, s10, v8
	v_add_co_ci_u32_e64 v30, null, s11, v9, vcc_lo
	v_add_co_u32 v8, vcc_lo, s12, v8
	v_add_co_ci_u32_e64 v9, null, s13, v9, vcc_lo
	global_load_dword v29, v[29:30], off
	s_waitcnt vmcnt(0)
	v_mul_f32_e32 v27, v29, v27
	global_store_dword v[8:9], v27, off
	v_mul_f32_e32 v8, v23, v26
	v_mul_f32_e32 v23, v23, v25
	v_div_scale_f32 v9, null, v8, v8, 1.0
	v_rcp_f32_e32 v26, v9
	v_fma_f32 v27, -v9, v26, 1.0
	v_fmac_f32_e32 v26, v27, v26
	v_div_scale_f32 v27, vcc_lo, 1.0, v8, 1.0
	v_mul_f32_e32 v29, v27, v26
	v_fma_f32 v30, -v9, v29, v27
	v_fmac_f32_e32 v29, v30, v26
	v_fma_f32 v9, -v9, v29, v27
	v_div_fmas_f32 v9, v9, v26, v29
	v_div_fixup_f32 v8, v9, v8, 1.0
	v_mul_f32_e32 v29, v8, v24
	v_lshlrev_b64 v[8:9], 2, v[0:1]
	v_add_co_u32 v26, vcc_lo, s10, v8
	v_add_co_ci_u32_e64 v27, null, s11, v9, vcc_lo
	v_add_co_u32 v8, vcc_lo, s12, v8
	v_add_co_ci_u32_e64 v9, null, s13, v9, vcc_lo
	global_load_dword v26, v[26:27], off
	v_min_f32_e32 v27, 0x7cf0bdc2, v29
	s_waitcnt vmcnt(0)
	v_mul_f32_e32 v26, v27, v26
	global_store_dword v[8:9], v26, off
	v_mad_u64_u32 v[26:27], null, 0xffffff85, s0, v[0:1]
	v_mov_b32_e32 v27, v1
	v_add_nc_u32_e32 v0, s0, v26
	v_lshlrev_b64 v[8:9], 2, v[26:27]
	v_lshlrev_b64 v[26:27], 2, v[0:1]
	v_add_co_u32 v8, vcc_lo, s14, v8
	v_add_co_ci_u32_e64 v9, null, s15, v9, vcc_lo
	v_add_co_u32 v26, vcc_lo, s14, v26
	v_add_co_ci_u32_e64 v27, null, s15, v27, vcc_lo
	s_clause 0x1
	global_load_dword v34, v[8:9], off
	global_load_dword v26, v[26:27], off
	s_waitcnt vmcnt(0)
	v_mul_f32_e32 v26, v34, v26
	v_div_scale_f32 v27, null, v26, v26, 1.0
	v_rcp_f32_e32 v29, v27
	v_fma_f32 v30, -v27, v29, 1.0
	v_fmac_f32_e32 v29, v30, v29
	v_div_scale_f32 v30, vcc_lo, 1.0, v26, 1.0
	v_mul_f32_e32 v31, v30, v29
	v_fma_f32 v32, -v27, v31, v30
	v_fmac_f32_e32 v31, v32, v29
	v_fma_f32 v27, -v27, v31, v30
	v_div_fmas_f32 v27, v27, v29, v31
	v_div_fixup_f32 v26, v27, v26, 1.0
	v_mul_f32_e32 v24, v24, v26
	v_mad_u64_u32 v[26:27], null, 0x7b, s0, v[0:1]
	v_mov_b32_e32 v27, v1
	v_min_f32_e32 v24, 0x7cf0bdc2, v24
	v_lshlrev_b64 v[29:30], 2, v[26:27]
	v_add_co_u32 v31, vcc_lo, s10, v29
	v_add_co_ci_u32_e64 v32, null, s11, v30, vcc_lo
	v_add_co_u32 v29, vcc_lo, s12, v29
	v_add_co_ci_u32_e64 v30, null, s13, v30, vcc_lo
	global_load_dword v0, v[31:32], off
	s_waitcnt vmcnt(0)
	v_mul_f32_e32 v0, v0, v24
	v_div_scale_f32 v24, null, v23, v23, 1.0
	global_store_dword v[29:30], v0, off
	v_rcp_f32_e32 v25, v24
	v_mul_f32_e32 v0, v28, v33
	v_fma_f32 v27, -v24, v25, 1.0
	v_fmac_f32_e32 v25, v27, v25
	v_div_scale_f32 v27, vcc_lo, 1.0, v23, 1.0
	v_mul_f32_e32 v29, v27, v25
	v_fma_f32 v30, -v24, v29, v27
	v_fmac_f32_e32 v29, v30, v25
	v_fma_f32 v24, -v24, v29, v27
	v_div_fmas_f32 v24, v24, v25, v29
	v_div_fixup_f32 v23, v24, v23, 1.0
	v_mul_f32_e32 v27, v23, v0
	v_add_nc_u32_e32 v0, s0, v26
	v_lshlrev_b64 v[23:24], 2, v[0:1]
	v_add_nc_u32_e32 v0, s3, v0
	v_add_co_u32 v25, vcc_lo, s10, v23
	v_add_co_ci_u32_e64 v26, null, s11, v24, vcc_lo
	v_add_co_u32 v23, vcc_lo, s12, v23
	v_add_co_ci_u32_e64 v24, null, s13, v24, vcc_lo
	global_load_dword v25, v[25:26], off
	v_min_f32_e32 v26, 0x7cf0bdc2, v27
	global_load_dword v27, v[20:21], off
	s_waitcnt vmcnt(1)
	v_mul_f32_e32 v25, v26, v25
	s_waitcnt vmcnt(0)
	v_mul_f32_e32 v20, v33, v27
	v_mul_f32_e32 v15, v14, v27
	global_store_dword v[23:24], v25, off
	v_lshlrev_b64 v[23:24], 2, v[0:1]
	v_div_scale_f32 v21, null, v20, v20, 1.0
	v_div_scale_f32 v16, null, v15, v15, 1.0
	v_add_co_u32 v23, vcc_lo, s14, v23
	v_add_co_ci_u32_e64 v24, null, s15, v24, vcc_lo
	global_load_dword v23, v[23:24], off
	v_rcp_f32_e32 v24, v21
	v_fma_f32 v25, -v21, v24, 1.0
	v_fmac_f32_e32 v24, v25, v24
	v_div_scale_f32 v25, vcc_lo, 1.0, v20, 1.0
	v_mul_f32_e32 v26, v25, v24
	s_waitcnt vmcnt(0)
	v_mul_f32_e32 v23, v28, v23
	v_fma_f32 v28, -v21, v26, v25
	v_fmac_f32_e32 v26, v28, v24
	v_fma_f32 v21, -v21, v26, v25
	v_div_fmas_f32 v21, v21, v24, v26
	v_div_fixup_f32 v20, v21, v20, 1.0
	v_mul_f32_e32 v28, v23, v20
	v_mad_u64_u32 v[20:21], null, 0x86, s0, v[0:1]
	v_mov_b32_e32 v21, v1
	v_lshlrev_b64 v[23:24], 2, v[20:21]
	v_min_f32_e32 v21, 0x7cf0bdc2, v28
	v_add_co_u32 v25, vcc_lo, s10, v23
	v_add_co_ci_u32_e64 v26, null, s11, v24, vcc_lo
	v_add_co_u32 v23, vcc_lo, s12, v23
	v_add_co_ci_u32_e64 v24, null, s13, v24, vcc_lo
	global_load_dword v0, v[25:26], off
	s_waitcnt vmcnt(0)
	v_mul_f32_e32 v0, v0, v21
	v_rcp_f32_e32 v21, v16
	global_store_dword v[23:24], v0, off
	v_mul_f32_e32 v0, v34, v17
	v_fma_f32 v23, -v16, v21, 1.0
	v_fmac_f32_e32 v21, v23, v21
	v_div_scale_f32 v23, vcc_lo, 1.0, v15, 1.0
	v_mul_f32_e32 v24, v23, v21
	v_fma_f32 v25, -v16, v24, v23
	v_fmac_f32_e32 v24, v25, v21
	v_fma_f32 v16, -v16, v24, v23
	v_div_fmas_f32 v16, v16, v21, v24
	v_div_fixup_f32 v15, v16, v15, 1.0
	v_mul_f32_e32 v23, v0, v15
	v_add_nc_u32_e32 v0, s0, v20
	v_lshlrev_b64 v[15:16], 2, v[0:1]
	v_add_co_u32 v20, vcc_lo, s10, v15
	v_add_co_ci_u32_e64 v21, null, s11, v16, vcc_lo
	v_add_co_u32 v15, vcc_lo, s12, v15
	v_add_co_ci_u32_e64 v16, null, s13, v16, vcc_lo
	global_load_dword v20, v[20:21], off
	v_min_f32_e32 v21, 0x7cf0bdc2, v23
	s_waitcnt vmcnt(0)
	v_mul_f32_e32 v20, v20, v21
	global_store_dword v[15:16], v20, off
	v_mad_u64_u32 v[15:16], null, 0xffffff7e, s0, v[0:1]
	v_mov_b32_e32 v16, v1
	v_mul_f32_e32 v20, v12, v17
	v_lshlrev_b64 v[16:17], 2, v[15:16]
	v_add_co_u32 v16, vcc_lo, s14, v16
	v_add_co_ci_u32_e64 v17, null, s15, v17, vcc_lo
	s_clause 0x1
	global_load_dword v0, v[16:17], off
	global_load_dword v13, v[18:19], off
	s_waitcnt vmcnt(0)
	v_mul_f32_e32 v0, v0, v13
	v_div_scale_f32 v13, null, v0, v0, 1.0
	v_rcp_f32_e32 v16, v13
	v_fma_f32 v17, -v13, v16, 1.0
	v_fmac_f32_e32 v16, v17, v16
	v_div_scale_f32 v17, vcc_lo, 1.0, v0, 1.0
	v_mul_f32_e32 v18, v17, v16
	v_fma_f32 v19, -v13, v18, v17
	v_fmac_f32_e32 v18, v19, v16
	v_fma_f32 v13, -v13, v18, v17
	v_div_fmas_f32 v13, v13, v16, v18
	v_div_fixup_f32 v0, v13, v0, 1.0
	v_mul_f32_e32 v13, v20, v0
	v_add_nc_u32_e32 v0, s4, v15
	v_min_f32_e32 v13, 0x7cf0bdc2, v13
	v_lshlrev_b64 v[15:16], 2, v[0:1]
	v_add_co_u32 v17, vcc_lo, s10, v15
	v_add_co_ci_u32_e64 v18, null, s11, v16, vcc_lo
	v_add_co_u32 v15, vcc_lo, s12, v15
	v_add_co_ci_u32_e64 v16, null, s13, v16, vcc_lo
	global_load_dword v17, v[17:18], off
	s_waitcnt vmcnt(0)
	v_mul_f32_e32 v13, v17, v13
	global_store_dword v[15:16], v13, off
	v_mad_u64_u32 v[15:16], null, 0xffffff8e, s0, v[0:1]
	v_mov_b32_e32 v16, v1
	v_mul_f32_e32 v13, v22, v20
	v_lshlrev_b64 v[16:17], 2, v[15:16]
	v_add_co_u32 v16, vcc_lo, s14, v16
	v_add_co_ci_u32_e64 v17, null, s15, v17, vcc_lo
	global_load_dword v0, v[16:17], off
	s_waitcnt vmcnt(0)
	v_div_scale_f32 v16, null, v0, v0, 1.0
	v_rcp_f32_e32 v17, v16
	v_fma_f32 v18, -v16, v17, 1.0
	v_fmac_f32_e32 v17, v18, v17
	v_div_scale_f32 v18, vcc_lo, 1.0, v0, 1.0
	v_mul_f32_e32 v19, v18, v17
	v_fma_f32 v21, -v16, v19, v18
	v_fmac_f32_e32 v19, v21, v17
	v_fma_f32 v16, -v16, v19, v18
	v_div_fmas_f32 v16, v16, v17, v19
	v_div_fixup_f32 v0, v16, v0, 1.0
	v_mul_f32_e32 v13, v13, v0
	v_add_nc_u32_e32 v0, s2, v15
	v_min_f32_e32 v13, 0x7cf0bdc2, v13
	v_lshlrev_b64 v[15:16], 2, v[0:1]
	v_add_co_u32 v17, vcc_lo, s10, v15
	v_add_co_ci_u32_e64 v18, null, s11, v16, vcc_lo
	v_add_co_u32 v15, vcc_lo, s12, v15
	v_add_co_ci_u32_e64 v16, null, s13, v16, vcc_lo
	global_load_dword v17, v[17:18], off
	s_waitcnt vmcnt(0)
	v_mul_f32_e32 v13, v17, v13
	global_store_dword v[15:16], v13, off
	global_load_dword v13, v[10:11], off
	v_mad_u64_u32 v[10:11], null, 0xffffff8c, s0, v[0:1]
	v_mov_b32_e32 v11, v1
	v_lshlrev_b64 v[15:16], 2, v[10:11]
	v_mad_u64_u32 v[10:11], null, 0x75, s0, v[10:11]
	v_mov_b32_e32 v11, v1
	v_add_co_u32 v15, vcc_lo, s14, v15
	v_add_co_ci_u32_e64 v16, null, s15, v16, vcc_lo
	global_load_dword v0, v[15:16], off
	s_waitcnt vmcnt(0)
	v_mul_f32_e32 v0, v13, v0
	v_div_scale_f32 v15, null, v0, v0, 1.0
	v_rcp_f32_e32 v16, v15
	v_fma_f32 v17, -v15, v16, 1.0
	v_fmac_f32_e32 v16, v17, v16
	v_div_scale_f32 v17, vcc_lo, 1.0, v0, 1.0
	v_mul_f32_e32 v18, v17, v16
	v_fma_f32 v19, -v15, v18, v17
	v_fmac_f32_e32 v18, v19, v16
	v_fma_f32 v15, -v15, v18, v17
	v_div_fmas_f32 v15, v15, v16, v18
	v_div_fixup_f32 v0, v15, v0, 1.0
	v_lshlrev_b64 v[15:16], 2, v[10:11]
	v_mul_f32_e32 v0, v20, v0
	v_add_co_u32 v17, vcc_lo, s10, v15
	v_add_co_ci_u32_e64 v18, null, s11, v16, vcc_lo
	v_min_f32_e32 v0, 0x7cf0bdc2, v0
	v_add_co_u32 v15, vcc_lo, s12, v15
	global_load_dword v11, v[17:18], off
	v_add_co_ci_u32_e64 v16, null, s13, v16, vcc_lo
	s_waitcnt vmcnt(0)
	v_mul_f32_e32 v0, v11, v0
	global_store_dword v[15:16], v0, off
	global_load_dword v15, v[6:7], off
	v_mul_f32_e32 v0, v12, v14
	v_mul_f32_e32 v0, v22, v0
	v_div_scale_f32 v6, null, v0, v0, 1.0
	v_rcp_f32_e32 v7, v6
	v_fma_f32 v11, -v6, v7, 1.0
	v_fmac_f32_e32 v7, v11, v7
	v_div_scale_f32 v11, vcc_lo, 1.0, v0, 1.0
	v_mul_f32_e32 v14, v11, v7
	v_fma_f32 v16, -v6, v14, v11
	v_fmac_f32_e32 v14, v16, v7
	v_fma_f32 v6, -v6, v14, v11
	v_div_fmas_f32 v6, v6, v7, v14
	v_div_fixup_f32 v0, v6, v0, 1.0
	s_waitcnt vmcnt(0)
	v_mul_f32_e32 v14, v15, v0
	v_add_nc_u32_e32 v0, s0, v10
	v_mul_f32_e32 v15, v13, v15
	v_lshlrev_b64 v[6:7], 2, v[0:1]
	v_add_nc_u32_e32 v0, s1, v0
	v_add_co_u32 v10, vcc_lo, s10, v6
	v_add_co_ci_u32_e64 v11, null, s11, v7, vcc_lo
	v_add_co_u32 v6, vcc_lo, s12, v6
	v_add_co_ci_u32_e64 v7, null, s13, v7, vcc_lo
	global_load_dword v10, v[10:11], off
	v_min_f32_e32 v11, 0x7cf0bdc2, v14
	s_waitcnt vmcnt(0)
	v_mul_f32_e32 v10, v10, v11
	global_store_dword v[6:7], v10, off
	v_lshlrev_b64 v[6:7], 2, v[0:1]
	v_mul_f32_e32 v10, v22, v15
	v_add_co_u32 v6, vcc_lo, s14, v6
	v_add_co_ci_u32_e64 v7, null, s15, v7, vcc_lo
	global_load_dword v6, v[6:7], off
	s_waitcnt vmcnt(0)
	v_div_scale_f32 v7, null, v6, v6, 1.0
	v_rcp_f32_e32 v11, v7
	v_fma_f32 v13, -v7, v11, 1.0
	v_fmac_f32_e32 v11, v13, v11
	v_div_scale_f32 v13, vcc_lo, 1.0, v6, 1.0
	v_mul_f32_e32 v14, v13, v11
	v_fma_f32 v16, -v7, v14, v13
	v_fmac_f32_e32 v14, v16, v11
	v_fma_f32 v7, -v7, v14, v13
	v_div_fmas_f32 v7, v7, v11, v14
	v_div_fixup_f32 v6, v7, v6, 1.0
	v_mul_f32_e32 v16, v10, v6
	v_mad_u64_u32 v[6:7], null, 0x78, s0, v[0:1]
	v_mov_b32_e32 v7, v1
	v_lshlrev_b64 v[10:11], 2, v[6:7]
	v_min_f32_e32 v7, 0x7cf0bdc2, v16
	v_add_co_u32 v13, vcc_lo, s10, v10
	v_add_co_ci_u32_e64 v14, null, s11, v11, vcc_lo
	v_add_co_u32 v10, vcc_lo, s12, v10
	v_add_co_ci_u32_e64 v11, null, s13, v11, vcc_lo
	global_load_dword v0, v[13:14], off
	s_waitcnt vmcnt(0)
	v_mul_f32_e32 v0, v0, v7
	global_store_dword v[10:11], v0, off
	global_load_dword v0, v[8:9], off
	s_waitcnt vmcnt(0)
	v_mul_f32_e32 v0, v12, v0
	v_div_scale_f32 v7, null, v0, v0, 1.0
	v_rcp_f32_e32 v8, v7
	v_fma_f32 v9, -v7, v8, 1.0
	v_fmac_f32_e32 v8, v9, v8
	v_div_scale_f32 v9, vcc_lo, 1.0, v0, 1.0
	v_mul_f32_e32 v10, v9, v8
	v_fma_f32 v11, -v7, v10, v9
	v_fmac_f32_e32 v10, v11, v8
	v_fma_f32 v7, -v7, v10, v9
	v_div_fmas_f32 v7, v7, v8, v10
	v_div_fixup_f32 v0, v7, v0, 1.0
	v_mul_f32_e32 v10, v15, v0
	v_add_nc_u32_e32 v0, s0, v6
	v_lshlrev_b64 v[6:7], 2, v[0:1]
	v_add_nc_u32_e32 v0, s0, v0
	v_add_co_u32 v8, vcc_lo, s10, v6
	v_add_co_ci_u32_e64 v9, null, s11, v7, vcc_lo
	v_add_co_u32 v6, vcc_lo, s12, v6
	v_add_co_ci_u32_e64 v7, null, s13, v7, vcc_lo
	global_load_dword v8, v[8:9], off
	v_min_f32_e32 v9, 0x7cf0bdc2, v10
	v_lshlrev_b64 v[0:1], 2, v[0:1]
	s_waitcnt vmcnt(0)
	v_mul_f32_e32 v8, v8, v9
	global_store_dword v[6:7], v8, off
	s_clause 0x1
	global_load_dword v4, v[4:5], off
	global_load_dword v2, v[2:3], off
	s_waitcnt vmcnt(0)
	v_mul_f32_e32 v2, v4, v2
	v_div_scale_f32 v3, null, v2, v2, 1.0
	v_rcp_f32_e32 v4, v3
	v_fma_f32 v5, -v3, v4, 1.0
	v_fmac_f32_e32 v4, v5, v4
	v_div_scale_f32 v5, vcc_lo, 1.0, v2, 1.0
	v_mul_f32_e32 v6, v5, v4
	v_fma_f32 v7, -v3, v6, v5
	v_fmac_f32_e32 v6, v7, v4
	v_fma_f32 v3, -v3, v6, v5
	v_div_fmas_f32 v3, v3, v4, v6
	v_div_fixup_f32 v2, v3, v2, 1.0
	v_add_co_u32 v3, vcc_lo, s10, v0
	v_add_co_ci_u32_e64 v4, null, s11, v1, vcc_lo
	v_mul_f32_e32 v2, v15, v2
	v_add_co_u32 v0, vcc_lo, s12, v0
	global_load_dword v3, v[3:4], off
	v_add_co_ci_u32_e64 v1, null, s13, v1, vcc_lo
	v_min_f32_e32 v2, 0x7cf0bdc2, v2
	s_waitcnt vmcnt(0)
	v_mul_f32_e32 v2, v3, v2
	global_store_dword v[0:1], v2, off
	s_endpgm
	.section	.rodata,"a",@progbits
	.p2align	6, 0x0
	.amdhsa_kernel _Z12ratt7_kernelIfEvPKT_S2_PS0_S2_S0_
		.amdhsa_group_segment_fixed_size 0
		.amdhsa_private_segment_fixed_size 0
		.amdhsa_kernarg_size 296
		.amdhsa_user_sgpr_count 6
		.amdhsa_user_sgpr_private_segment_buffer 1
		.amdhsa_user_sgpr_dispatch_ptr 0
		.amdhsa_user_sgpr_queue_ptr 0
		.amdhsa_user_sgpr_kernarg_segment_ptr 1
		.amdhsa_user_sgpr_dispatch_id 0
		.amdhsa_user_sgpr_flat_scratch_init 0
		.amdhsa_user_sgpr_private_segment_size 0
		.amdhsa_wavefront_size32 1
		.amdhsa_uses_dynamic_stack 0
		.amdhsa_system_sgpr_private_segment_wavefront_offset 0
		.amdhsa_system_sgpr_workgroup_id_x 1
		.amdhsa_system_sgpr_workgroup_id_y 0
		.amdhsa_system_sgpr_workgroup_id_z 0
		.amdhsa_system_sgpr_workgroup_info 0
		.amdhsa_system_vgpr_workitem_id 0
		.amdhsa_next_free_vgpr 37
		.amdhsa_next_free_sgpr 16
		.amdhsa_reserve_vcc 1
		.amdhsa_reserve_flat_scratch 0
		.amdhsa_float_round_mode_32 0
		.amdhsa_float_round_mode_16_64 0
		.amdhsa_float_denorm_mode_32 3
		.amdhsa_float_denorm_mode_16_64 3
		.amdhsa_dx10_clamp 1
		.amdhsa_ieee_mode 1
		.amdhsa_fp16_overflow 0
		.amdhsa_workgroup_processor_mode 1
		.amdhsa_memory_ordered 1
		.amdhsa_forward_progress 1
		.amdhsa_shared_vgpr_count 0
		.amdhsa_exception_fp_ieee_invalid_op 0
		.amdhsa_exception_fp_denorm_src 0
		.amdhsa_exception_fp_ieee_div_zero 0
		.amdhsa_exception_fp_ieee_overflow 0
		.amdhsa_exception_fp_ieee_underflow 0
		.amdhsa_exception_fp_ieee_inexact 0
		.amdhsa_exception_int_div_zero 0
	.end_amdhsa_kernel
	.section	.text._Z12ratt7_kernelIfEvPKT_S2_PS0_S2_S0_,"axG",@progbits,_Z12ratt7_kernelIfEvPKT_S2_PS0_S2_S0_,comdat
.Lfunc_end8:
	.size	_Z12ratt7_kernelIfEvPKT_S2_PS0_S2_S0_, .Lfunc_end8-_Z12ratt7_kernelIfEvPKT_S2_PS0_S2_S0_
                                        ; -- End function
	.set _Z12ratt7_kernelIfEvPKT_S2_PS0_S2_S0_.num_vgpr, 37
	.set _Z12ratt7_kernelIfEvPKT_S2_PS0_S2_S0_.num_agpr, 0
	.set _Z12ratt7_kernelIfEvPKT_S2_PS0_S2_S0_.numbered_sgpr, 16
	.set _Z12ratt7_kernelIfEvPKT_S2_PS0_S2_S0_.num_named_barrier, 0
	.set _Z12ratt7_kernelIfEvPKT_S2_PS0_S2_S0_.private_seg_size, 0
	.set _Z12ratt7_kernelIfEvPKT_S2_PS0_S2_S0_.uses_vcc, 1
	.set _Z12ratt7_kernelIfEvPKT_S2_PS0_S2_S0_.uses_flat_scratch, 0
	.set _Z12ratt7_kernelIfEvPKT_S2_PS0_S2_S0_.has_dyn_sized_stack, 0
	.set _Z12ratt7_kernelIfEvPKT_S2_PS0_S2_S0_.has_recursion, 0
	.set _Z12ratt7_kernelIfEvPKT_S2_PS0_S2_S0_.has_indirect_call, 0
	.section	.AMDGPU.csdata,"",@progbits
; Kernel info:
; codeLenInByte = 5448
; TotalNumSgprs: 18
; NumVgprs: 37
; ScratchSize: 0
; MemoryBound: 0
; FloatMode: 240
; IeeeMode: 1
; LDSByteSize: 0 bytes/workgroup (compile time only)
; SGPRBlocks: 0
; VGPRBlocks: 4
; NumSGPRsForWavesPerEU: 18
; NumVGPRsForWavesPerEU: 37
; Occupancy: 16
; WaveLimiterHint : 0
; COMPUTE_PGM_RSRC2:SCRATCH_EN: 0
; COMPUTE_PGM_RSRC2:USER_SGPR: 6
; COMPUTE_PGM_RSRC2:TRAP_HANDLER: 0
; COMPUTE_PGM_RSRC2:TGID_X_EN: 1
; COMPUTE_PGM_RSRC2:TGID_Y_EN: 0
; COMPUTE_PGM_RSRC2:TGID_Z_EN: 0
; COMPUTE_PGM_RSRC2:TIDIG_COMP_CNT: 0
	.section	.text._Z12ratt8_kernelIfEvPKT_S2_PS0_S2_S0_,"axG",@progbits,_Z12ratt8_kernelIfEvPKT_S2_PS0_S2_S0_,comdat
	.protected	_Z12ratt8_kernelIfEvPKT_S2_PS0_S2_S0_ ; -- Begin function _Z12ratt8_kernelIfEvPKT_S2_PS0_S2_S0_
	.globl	_Z12ratt8_kernelIfEvPKT_S2_PS0_S2_S0_
	.p2align	8
	.type	_Z12ratt8_kernelIfEvPKT_S2_PS0_S2_S0_,@function
_Z12ratt8_kernelIfEvPKT_S2_PS0_S2_S0_:  ; @_Z12ratt8_kernelIfEvPKT_S2_PS0_S2_S0_
; %bb.0:
	s_clause 0x3
	s_load_dwordx8 s[8:15], s[4:5], 0x0
	s_load_dword s0, s[4:5], 0x20
	s_load_dword s1, s[4:5], 0x28
	;; [unrolled: 1-line block ×3, first 2 shown]
	s_waitcnt lgkmcnt(0)
	s_and_b32 s2, s2, 0xffff
	v_mad_u64_u32 v[0:1], null, s6, s2, v[0:1]
	v_mov_b32_e32 v1, 0
	v_lshlrev_b64 v[10:11], 2, v[0:1]
	v_add_co_u32 v2, vcc_lo, s8, v10
	v_add_co_ci_u32_e64 v3, null, s9, v11, vcc_lo
	global_load_dword v2, v[2:3], off
	s_waitcnt vmcnt(0)
	v_mul_f32_e32 v2, s0, v2
	s_mul_i32 s0, s1, s2
	s_lshl_b32 s1, s0, 1
	s_mul_i32 s5, s0, 21
	v_mul_f32_e32 v2, 0x4c9e9632, v2
	s_mul_i32 s2, s0, 0xffffff6f
	s_mul_i32 s3, s0, 0x92
	;; [unrolled: 1-line block ×4, first 2 shown]
	v_div_scale_f32 v3, null, v2, v2, 1.0
	v_rcp_f32_e32 v4, v3
	v_fma_f32 v5, -v3, v4, 1.0
	v_fmac_f32_e32 v4, v5, v4
	v_div_scale_f32 v5, vcc_lo, 1.0, v2, 1.0
	v_mul_f32_e32 v6, v5, v4
	v_fma_f32 v7, -v3, v6, v5
	v_fmac_f32_e32 v6, v7, v4
	v_fma_f32 v3, -v3, v6, v5
	v_mov_b32_e32 v5, v1
	v_div_fmas_f32 v3, v3, v4, v6
	v_add_nc_u32_e32 v4, s1, v0
	v_add_nc_u32_e32 v0, s0, v0
	v_div_fixup_f32 v2, v3, v2, 1.0
	v_mul_f32_e32 v24, 0x49776020, v2
	v_lshlrev_b64 v[2:3], 2, v[4:5]
	v_mad_u64_u32 v[4:5], null, s0, 24, v[4:5]
	v_mov_b32_e32 v5, v1
	v_add_co_u32 v2, vcc_lo, s14, v2
	v_add_co_ci_u32_e64 v3, null, s15, v3, vcc_lo
	v_lshlrev_b64 v[6:7], 2, v[4:5]
	v_mad_u64_u32 v[4:5], null, 0xffffffea, s0, v[4:5]
	v_mov_b32_e32 v5, v1
	global_load_dword v22, v[2:3], off
	v_add_co_u32 v6, vcc_lo, s14, v6
	v_add_co_ci_u32_e64 v7, null, s15, v7, vcc_lo
	global_load_dword v9, v[6:7], off
	v_lshlrev_b64 v[5:6], 2, v[4:5]
	v_add_nc_u32_e32 v4, s5, v4
	v_add_co_u32 v5, vcc_lo, s14, v5
	v_add_co_ci_u32_e64 v6, null, s15, v6, vcc_lo
	global_load_dword v25, v[5:6], off
	v_mov_b32_e32 v5, v1
	v_lshlrev_b64 v[6:7], 2, v[4:5]
	v_mad_u64_u32 v[4:5], null, 0x7d, s0, v[4:5]
	v_mov_b32_e32 v5, v1
	v_add_co_u32 v6, vcc_lo, s14, v6
	v_add_co_ci_u32_e64 v7, null, s15, v7, vcc_lo
	global_load_dword v12, v[6:7], off
	s_waitcnt vmcnt(2)
	v_mul_f32_e32 v8, v22, v9
	s_waitcnt vmcnt(0)
	v_mul_f32_e32 v6, v25, v12
	v_div_scale_f32 v7, null, v6, v6, 1.0
	v_rcp_f32_e32 v13, v7
	v_fma_f32 v14, -v7, v13, 1.0
	v_fmac_f32_e32 v13, v14, v13
	v_div_scale_f32 v14, vcc_lo, 1.0, v6, 1.0
	v_mul_f32_e32 v15, v14, v13
	v_fma_f32 v16, -v7, v15, v14
	v_fmac_f32_e32 v15, v16, v13
	v_fma_f32 v7, -v7, v15, v14
	v_div_fmas_f32 v7, v7, v13, v15
	v_div_fixup_f32 v6, v7, v6, 1.0
	v_mul_f32_e32 v13, v8, v6
	v_lshlrev_b64 v[5:6], 2, v[4:5]
	v_add_nc_u32_e32 v4, s2, v4
	v_add_co_u32 v7, vcc_lo, s10, v5
	v_add_co_ci_u32_e64 v8, null, s11, v6, vcc_lo
	v_add_co_u32 v5, vcc_lo, s12, v5
	v_add_co_ci_u32_e64 v6, null, s13, v6, vcc_lo
	global_load_dword v7, v[7:8], off
	v_min_f32_e32 v8, 0x7cf0bdc2, v13
	s_waitcnt vmcnt(0)
	v_mul_f32_e32 v7, v7, v8
	global_store_dword v[5:6], v7, off
	v_mov_b32_e32 v5, v1
	v_mul_f32_e32 v7, v9, v25
	v_lshlrev_b64 v[5:6], 2, v[4:5]
	v_add_nc_u32_e32 v4, s3, v4
	v_add_co_u32 v5, vcc_lo, s14, v5
	v_add_co_ci_u32_e64 v6, null, s15, v6, vcc_lo
	global_load_dword v26, v[5:6], off
	s_waitcnt vmcnt(0)
	v_mul_f32_e32 v5, v12, v26
	v_div_scale_f32 v6, null, v5, v5, 1.0
	v_rcp_f32_e32 v8, v6
	v_fma_f32 v13, -v6, v8, 1.0
	v_fmac_f32_e32 v8, v13, v8
	v_div_scale_f32 v13, vcc_lo, 1.0, v5, 1.0
	v_mul_f32_e32 v14, v13, v8
	v_fma_f32 v15, -v6, v14, v13
	v_fmac_f32_e32 v14, v15, v8
	v_fma_f32 v6, -v6, v14, v13
	v_div_fmas_f32 v6, v6, v8, v14
	v_div_fixup_f32 v5, v6, v5, 1.0
	v_mul_f32_e32 v13, v7, v5
	v_mov_b32_e32 v5, v1
	v_lshlrev_b64 v[5:6], 2, v[4:5]
	v_add_co_u32 v7, vcc_lo, s10, v5
	v_add_co_ci_u32_e64 v8, null, s11, v6, vcc_lo
	v_add_co_u32 v5, vcc_lo, s12, v5
	v_add_co_ci_u32_e64 v6, null, s13, v6, vcc_lo
	global_load_dword v7, v[7:8], off
	v_min_f32_e32 v8, 0x7cf0bdc2, v13
	s_waitcnt vmcnt(0)
	v_mul_f32_e32 v7, v7, v8
	global_store_dword v[5:6], v7, off
	v_mad_u64_u32 v[4:5], null, 0xffffff6c, s0, v[4:5]
	v_mov_b32_e32 v5, v1
	v_lshlrev_b64 v[6:7], 2, v[4:5]
	v_add_nc_u32_e32 v8, s4, v4
	v_add_co_u32 v6, vcc_lo, s14, v6
	v_add_co_ci_u32_e64 v7, null, s15, v7, vcc_lo
	global_load_dword v27, v[6:7], off
	s_waitcnt vmcnt(0)
	v_mul_f32_e32 v16, v9, v27
	v_mov_b32_e32 v9, v1
	v_lshlrev_b64 v[4:5], 2, v[8:9]
	v_add_nc_u32_e32 v8, s3, v8
	v_add_co_u32 v4, vcc_lo, s14, v4
	v_add_co_ci_u32_e64 v5, null, s15, v5, vcc_lo
	global_load_dword v28, v[4:5], off
	s_waitcnt vmcnt(0)
	v_mul_f32_e32 v9, v12, v28
	v_div_scale_f32 v12, null, v9, v9, 1.0
	v_rcp_f32_e32 v13, v12
	v_fma_f32 v14, -v12, v13, 1.0
	v_fmac_f32_e32 v13, v14, v13
	v_div_scale_f32 v14, vcc_lo, 1.0, v9, 1.0
	v_mul_f32_e32 v15, v14, v13
	v_fma_f32 v17, -v12, v15, v14
	v_fmac_f32_e32 v15, v17, v13
	v_fma_f32 v12, -v12, v15, v14
	v_div_fmas_f32 v12, v12, v13, v15
	v_div_fixup_f32 v9, v12, v9, 1.0
	v_mul_f32_e32 v17, v16, v9
	v_mov_b32_e32 v9, v1
	v_lshlrev_b64 v[12:13], 2, v[8:9]
	v_add_co_u32 v14, vcc_lo, s10, v12
	v_add_co_ci_u32_e64 v15, null, s11, v13, vcc_lo
	v_add_co_u32 v12, vcc_lo, s12, v12
	v_add_co_ci_u32_e64 v13, null, s13, v13, vcc_lo
	global_load_dword v9, v[14:15], off
	v_min_f32_e32 v14, 0x7cf0bdc2, v17
	s_waitcnt vmcnt(0)
	v_mul_f32_e32 v9, v9, v14
	global_store_dword v[12:13], v9, off
	v_mad_u64_u32 v[8:9], null, 0xffffff75, s0, v[8:9]
	v_mov_b32_e32 v9, v1
	v_lshlrev_b64 v[12:13], 2, v[8:9]
	v_add_co_u32 v12, vcc_lo, s14, v12
	v_add_co_ci_u32_e64 v13, null, s15, v13, vcc_lo
	global_load_dword v31, v[12:13], off
	v_add_nc_u32_e32 v12, s4, v8
	v_mov_b32_e32 v13, v1
	s_mul_i32 s4, s0, 0x87
	v_lshlrev_b64 v[8:9], 2, v[12:13]
	v_mad_u64_u32 v[12:13], null, 0x89, s0, v[12:13]
	v_mov_b32_e32 v13, v1
	v_add_co_u32 v8, vcc_lo, s14, v8
	v_add_co_ci_u32_e64 v9, null, s15, v9, vcc_lo
	global_load_dword v32, v[8:9], off
	s_waitcnt vmcnt(1)
	v_mul_f32_e32 v14, v25, v31
	s_waitcnt vmcnt(0)
	v_mul_f32_e32 v14, v14, v32
	v_mul_f32_e32 v14, v24, v14
	v_div_scale_f32 v15, null, v14, v14, 1.0
	v_rcp_f32_e32 v17, v15
	v_fma_f32 v18, -v15, v17, 1.0
	v_fmac_f32_e32 v17, v18, v17
	v_div_scale_f32 v18, vcc_lo, 1.0, v14, 1.0
	v_mul_f32_e32 v19, v18, v17
	v_fma_f32 v20, -v15, v19, v18
	v_fmac_f32_e32 v19, v20, v17
	v_fma_f32 v15, -v15, v19, v18
	v_div_fmas_f32 v15, v15, v17, v19
	v_div_fixup_f32 v14, v15, v14, 1.0
	v_mul_f32_e32 v17, v16, v14
	v_lshlrev_b64 v[13:14], 2, v[12:13]
	v_add_co_u32 v15, vcc_lo, s10, v13
	v_add_co_ci_u32_e64 v16, null, s11, v14, vcc_lo
	v_add_co_u32 v13, vcc_lo, s12, v13
	v_add_co_ci_u32_e64 v14, null, s13, v14, vcc_lo
	global_load_dword v15, v[15:16], off
	v_min_f32_e32 v16, 0x7cf0bdc2, v17
	s_waitcnt vmcnt(0)
	v_mul_f32_e32 v15, v15, v16
	v_mad_u64_u32 v[16:17], null, 0xffffff7c, s0, v[12:13]
	v_mov_b32_e32 v17, v1
	global_store_dword v[13:14], v15, off
	v_lshlrev_b64 v[12:13], 2, v[16:17]
	v_subrev_nc_u32_e32 v16, s1, v16
	v_lshlrev_b64 v[17:18], 2, v[16:17]
	v_add_co_u32 v14, vcc_lo, s14, v12
	v_add_co_ci_u32_e64 v15, null, s15, v13, vcc_lo
	v_add_co_u32 v12, vcc_lo, s14, v10
	v_add_co_ci_u32_e64 v13, null, s15, v11, vcc_lo
	;; [unrolled: 2-line block ×3, first 2 shown]
	global_load_dword v29, v[14:15], off
	v_add_nc_u32_e32 v16, s4, v16
	s_clause 0x1
	global_load_dword v30, v[17:18], off
	global_load_dword v11, v[12:13], off
	s_waitcnt vmcnt(0)
	v_mul_f32_e32 v10, v11, v30
	v_mul_f32_e32 v10, v24, v10
	v_div_scale_f32 v17, null, v10, v10, 1.0
	v_rcp_f32_e32 v18, v17
	v_fma_f32 v19, -v17, v18, 1.0
	v_fmac_f32_e32 v18, v19, v18
	v_div_scale_f32 v19, vcc_lo, 1.0, v10, 1.0
	v_mul_f32_e32 v20, v19, v18
	v_fma_f32 v21, -v17, v20, v19
	v_fmac_f32_e32 v20, v21, v18
	v_fma_f32 v17, -v17, v20, v19
	v_div_fmas_f32 v17, v17, v18, v20
	v_div_fixup_f32 v10, v17, v10, 1.0
	v_mov_b32_e32 v17, v1
	v_mul_f32_e32 v10, v29, v10
	v_lshlrev_b64 v[16:17], 2, v[16:17]
	v_min_f32_e32 v10, 0x7cf0bdc2, v10
	v_add_co_u32 v18, vcc_lo, s10, v16
	v_add_co_ci_u32_e64 v19, null, s11, v17, vcc_lo
	v_add_co_u32 v16, vcc_lo, s12, v16
	v_add_co_ci_u32_e64 v17, null, s13, v17, vcc_lo
	global_load_dword v18, v[18:19], off
	s_waitcnt vmcnt(0)
	v_mul_f32_e32 v10, v18, v10
	global_store_dword v[16:17], v10, off
	v_lshlrev_b64 v[16:17], 2, v[0:1]
	v_add_nc_u32_e32 v0, s5, v0
	s_mul_i32 s5, s0, 0xffffff79
	v_add_co_u32 v18, vcc_lo, s14, v16
	v_add_co_ci_u32_e64 v19, null, s15, v17, vcc_lo
	v_lshlrev_b64 v[16:17], 2, v[0:1]
	global_load_dword v33, v[18:19], off
	v_add_co_u32 v16, vcc_lo, s14, v16
	v_add_co_ci_u32_e64 v17, null, s15, v17, vcc_lo
	s_clause 0x1
	global_load_dword v34, v[16:17], off
	global_load_dword v19, v[18:19], off
	s_waitcnt vmcnt(2)
	v_mul_f32_e32 v23, v29, v33
	v_mul_f32_e32 v10, v24, v23
	s_waitcnt vmcnt(1)
	v_div_scale_f32 v20, null, v34, v34, 1.0
	v_rcp_f32_e32 v21, v20
	v_fma_f32 v35, -v20, v21, 1.0
	v_fmac_f32_e32 v21, v35, v21
	v_div_scale_f32 v35, vcc_lo, 1.0, v34, 1.0
	v_mul_f32_e32 v36, v35, v21
	v_fma_f32 v37, -v20, v36, v35
	v_fmac_f32_e32 v36, v37, v21
	v_fma_f32 v20, -v20, v36, v35
	v_div_fmas_f32 v20, v20, v21, v36
	v_div_fixup_f32 v20, v20, v34, 1.0
	v_mul_f32_e32 v10, v10, v20
	v_mad_u64_u32 v[20:21], null, 0x85, s0, v[0:1]
	v_mov_b32_e32 v21, v1
	v_min_f32_e32 v10, 0x7cf0bdc2, v10
	v_lshlrev_b64 v[35:36], 2, v[20:21]
	v_add_co_u32 v37, vcc_lo, s10, v35
	v_add_co_ci_u32_e64 v38, null, s11, v36, vcc_lo
	v_add_co_u32 v35, vcc_lo, s12, v35
	v_add_co_ci_u32_e64 v36, null, s13, v36, vcc_lo
	global_load_dword v0, v[37:38], off
	s_waitcnt vmcnt(0)
	v_mul_f32_e32 v0, v0, v10
	global_store_dword v[35:36], v0, off
	v_add_nc_u32_e32 v0, s5, v20
	v_lshlrev_b64 v[20:21], 2, v[0:1]
	v_add_nc_u32_e32 v0, s6, v0
	v_add_co_u32 v20, vcc_lo, s14, v20
	v_add_co_ci_u32_e64 v21, null, s15, v21, vcc_lo
	global_load_dword v10, v[20:21], off
	s_waitcnt vmcnt(0)
	v_mul_f32_e32 v11, v11, v10
	v_div_scale_f32 v35, null, v11, v11, 1.0
	v_rcp_f32_e32 v36, v35
	v_fma_f32 v37, -v35, v36, 1.0
	v_fmac_f32_e32 v36, v37, v36
	v_div_scale_f32 v37, vcc_lo, 1.0, v11, 1.0
	v_mul_f32_e32 v38, v37, v36
	v_fma_f32 v39, -v35, v38, v37
	v_fmac_f32_e32 v38, v39, v36
	v_fma_f32 v35, -v35, v38, v37
	v_div_fmas_f32 v35, v35, v36, v38
	v_div_fixup_f32 v11, v35, v11, 1.0
	v_lshlrev_b64 v[35:36], 2, v[0:1]
	v_add_nc_u32_e32 v0, s0, v0
	v_mul_f32_e32 v11, v23, v11
	v_add_co_u32 v37, vcc_lo, s10, v35
	v_add_co_ci_u32_e64 v38, null, s11, v36, vcc_lo
	v_min_f32_e32 v11, 0x7cf0bdc2, v11
	v_add_co_u32 v35, vcc_lo, s12, v35
	global_load_dword v23, v[37:38], off
	v_add_co_ci_u32_e64 v36, null, s13, v36, vcc_lo
	s_waitcnt vmcnt(0)
	v_mul_f32_e32 v11, v23, v11
	global_store_dword v[35:36], v11, off
	v_mul_f32_e32 v11, v22, v29
	v_mul_f32_e32 v22, v25, v10
	v_div_scale_f32 v23, null, v22, v22, 1.0
	v_rcp_f32_e32 v35, v23
	v_fma_f32 v36, -v23, v35, 1.0
	v_fmac_f32_e32 v35, v36, v35
	v_div_scale_f32 v36, vcc_lo, 1.0, v22, 1.0
	v_mul_f32_e32 v37, v36, v35
	v_fma_f32 v38, -v23, v37, v36
	v_fmac_f32_e32 v37, v38, v35
	v_fma_f32 v23, -v23, v37, v36
	v_div_fmas_f32 v23, v23, v35, v37
	v_div_fixup_f32 v22, v23, v22, 1.0
	v_mul_f32_e32 v37, v11, v22
	v_lshlrev_b64 v[22:23], 2, v[0:1]
	v_add_co_u32 v35, vcc_lo, s10, v22
	v_add_co_ci_u32_e64 v36, null, s11, v23, vcc_lo
	v_add_co_u32 v22, vcc_lo, s12, v22
	v_add_co_ci_u32_e64 v23, null, s13, v23, vcc_lo
	global_load_dword v35, v[35:36], off
	v_min_f32_e32 v36, 0x7cf0bdc2, v37
	s_waitcnt vmcnt(0)
	v_mul_f32_e32 v35, v35, v36
	global_store_dword v[22:23], v35, off
	v_mad_u64_u32 v[35:36], null, 0xffffff6e, s0, v[0:1]
	v_mov_b32_e32 v36, v1
	v_lshl_add_u32 v0, s0, 2, v35
	v_lshlrev_b64 v[22:23], 2, v[35:36]
	v_lshlrev_b64 v[35:36], 2, v[0:1]
	v_add_co_u32 v22, vcc_lo, s14, v22
	v_add_co_ci_u32_e64 v23, null, s15, v23, vcc_lo
	v_add_co_u32 v35, vcc_lo, s14, v35
	v_add_co_ci_u32_e64 v36, null, s15, v36, vcc_lo
	s_clause 0x1
	global_load_dword v37, v[22:23], off
	global_load_dword v40, v[35:36], off
	s_waitcnt vmcnt(0)
	v_mul_f32_e32 v35, v37, v40
	v_div_scale_f32 v36, null, v35, v35, 1.0
	v_rcp_f32_e32 v37, v36
	v_fma_f32 v38, -v36, v37, 1.0
	v_fmac_f32_e32 v37, v38, v37
	v_div_scale_f32 v38, vcc_lo, 1.0, v35, 1.0
	v_mul_f32_e32 v39, v38, v37
	v_fma_f32 v41, -v36, v39, v38
	v_fmac_f32_e32 v39, v41, v37
	v_fma_f32 v36, -v36, v39, v38
	v_div_fmas_f32 v36, v36, v37, v39
	v_div_fixup_f32 v35, v36, v35, 1.0
	v_mul_f32_e32 v41, v11, v35
	v_mad_u64_u32 v[35:36], null, 0x8f, s0, v[0:1]
	v_mov_b32_e32 v36, v1
	v_lshlrev_b64 v[36:37], 2, v[35:36]
	v_add_co_u32 v38, vcc_lo, s10, v36
	v_add_co_ci_u32_e64 v39, null, s11, v37, vcc_lo
	v_add_co_u32 v36, vcc_lo, s12, v36
	v_add_co_ci_u32_e64 v37, null, s13, v37, vcc_lo
	global_load_dword v0, v[38:39], off
	v_min_f32_e32 v38, 0x7cf0bdc2, v41
	s_waitcnt vmcnt(0)
	v_mul_f32_e32 v0, v0, v38
	global_store_dword v[36:37], v0, off
	v_mad_u64_u32 v[35:36], null, 0xffffff6b, s0, v[35:36]
	v_mov_b32_e32 v36, v1
	v_lshlrev_b64 v[36:37], 2, v[35:36]
	v_add_co_u32 v36, vcc_lo, s14, v36
	v_add_co_ci_u32_e64 v37, null, s15, v37, vcc_lo
	global_load_dword v41, v[36:37], off
	s_waitcnt vmcnt(0)
	v_mul_f32_e32 v0, v32, v41
	v_div_scale_f32 v32, null, v0, v0, 1.0
	v_rcp_f32_e32 v36, v32
	v_fma_f32 v37, -v32, v36, 1.0
	v_fmac_f32_e32 v36, v37, v36
	v_div_scale_f32 v37, vcc_lo, 1.0, v0, 1.0
	v_mul_f32_e32 v38, v37, v36
	v_fma_f32 v39, -v32, v38, v37
	v_fmac_f32_e32 v38, v39, v36
	v_fma_f32 v32, -v32, v38, v37
	v_div_fmas_f32 v32, v32, v36, v38
	v_mad_u64_u32 v[35:36], null, 0x96, s0, v[35:36]
	v_mov_b32_e32 v36, v1
	v_div_fixup_f32 v0, v32, v0, 1.0
	v_lshlrev_b64 v[36:37], 2, v[35:36]
	v_mul_f32_e32 v0, v11, v0
	v_add_co_u32 v38, vcc_lo, s10, v36
	v_add_co_ci_u32_e64 v39, null, s11, v37, vcc_lo
	v_min_f32_e32 v0, 0x7cf0bdc2, v0
	v_add_co_u32 v36, vcc_lo, s12, v36
	global_load_dword v11, v[38:39], off
	v_add_co_ci_u32_e64 v37, null, s13, v37, vcc_lo
	s_waitcnt vmcnt(0)
	v_mul_f32_e32 v0, v11, v0
	v_mul_f32_e32 v11, v26, v10
	;; [unrolled: 1-line block ×4, first 2 shown]
	global_store_dword v[36:37], v0, off
	v_div_scale_f32 v26, null, v11, v11, 1.0
	v_mul_f32_e32 v0, v25, v29
	v_rcp_f32_e32 v32, v26
	v_fma_f32 v36, -v26, v32, 1.0
	v_fmac_f32_e32 v32, v36, v32
	v_div_scale_f32 v36, vcc_lo, 1.0, v11, 1.0
	v_mul_f32_e32 v37, v36, v32
	v_fma_f32 v38, -v26, v37, v36
	v_fmac_f32_e32 v37, v38, v32
	v_fma_f32 v26, -v26, v37, v36
	v_div_fmas_f32 v26, v26, v32, v37
	v_div_fixup_f32 v11, v26, v11, 1.0
	v_mul_f32_e32 v11, v0, v11
	v_add_nc_u32_e32 v0, s0, v35
	v_min_f32_e32 v11, 0x7cf0bdc2, v11
	v_lshlrev_b64 v[35:36], 2, v[0:1]
	v_add_nc_u32_e32 v0, s0, v0
	v_add_co_u32 v37, vcc_lo, s10, v35
	v_add_co_ci_u32_e64 v38, null, s11, v36, vcc_lo
	v_add_co_u32 v35, vcc_lo, s12, v35
	v_add_co_ci_u32_e64 v36, null, s13, v36, vcc_lo
	global_load_dword v26, v[37:38], off
	s_waitcnt vmcnt(0)
	v_mul_f32_e32 v11, v11, v26
	v_div_scale_f32 v26, null, v10, v10, 1.0
	global_store_dword v[35:36], v11, off
	v_mul_f32_e32 v11, v27, v29
	v_rcp_f32_e32 v27, v26
	v_fma_f32 v32, -v26, v27, 1.0
	v_fmac_f32_e32 v27, v32, v27
	v_div_scale_f32 v32, vcc_lo, 1.0, v10, 1.0
	v_mul_f32_e32 v35, v32, v27
	v_fma_f32 v36, -v26, v35, v32
	v_fmac_f32_e32 v35, v36, v27
	v_fma_f32 v26, -v26, v35, v32
	v_div_fmas_f32 v26, v26, v27, v35
	v_div_fixup_f32 v10, v26, v10, 1.0
	v_mul_f32_e32 v32, v11, v10
	v_lshlrev_b64 v[10:11], 2, v[0:1]
	v_add_co_u32 v26, vcc_lo, s10, v10
	v_add_co_ci_u32_e64 v27, null, s11, v11, vcc_lo
	v_add_co_u32 v10, vcc_lo, s12, v10
	v_add_co_ci_u32_e64 v11, null, s13, v11, vcc_lo
	global_load_dword v26, v[26:27], off
	v_min_f32_e32 v27, 0x7cf0bdc2, v32
	s_waitcnt vmcnt(0)
	v_mul_f32_e32 v26, v27, v26
	global_store_dword v[10:11], v26, off
	v_mad_u64_u32 v[26:27], null, 0xffffff7a, s0, v[0:1]
	v_mov_b32_e32 v27, v1
	v_lshlrev_b64 v[10:11], 2, v[26:27]
	v_add_co_u32 v10, vcc_lo, s14, v10
	v_add_co_ci_u32_e64 v11, null, s15, v11, vcc_lo
	global_load_dword v0, v[10:11], off
	s_waitcnt vmcnt(0)
	v_mul_f32_e32 v0, v25, v0
	v_div_scale_f32 v25, null, v0, v0, 1.0
	v_rcp_f32_e32 v27, v25
	v_fma_f32 v32, -v25, v27, 1.0
	v_fmac_f32_e32 v27, v32, v27
	v_div_scale_f32 v32, vcc_lo, 1.0, v0, 1.0
	v_mul_f32_e32 v35, v32, v27
	v_fma_f32 v36, -v25, v35, v32
	v_fmac_f32_e32 v35, v36, v27
	v_fma_f32 v25, -v25, v35, v32
	v_div_fmas_f32 v25, v25, v27, v35
	v_div_fixup_f32 v0, v25, v0, 1.0
	v_mul_f32_e32 v32, v28, v0
	v_add_nc_u32_e32 v0, s4, v26
	v_lshlrev_b64 v[25:26], 2, v[0:1]
	v_add_nc_u32_e32 v0, s0, v0
	v_add_co_u32 v27, vcc_lo, s10, v25
	v_add_co_ci_u32_e64 v28, null, s11, v26, vcc_lo
	v_add_co_u32 v25, vcc_lo, s12, v25
	v_add_co_ci_u32_e64 v26, null, s13, v26, vcc_lo
	global_load_dword v27, v[27:28], off
	v_min_f32_e32 v28, 0x7cf0bdc2, v32
	s_waitcnt vmcnt(0)
	v_mul_f32_e32 v27, v27, v28
	global_store_dword v[25:26], v27, off
	v_mul_f32_e32 v26, v31, v34
	v_mul_f32_e32 v25, v29, v40
	v_div_scale_f32 v27, null, v26, v26, 1.0
	v_rcp_f32_e32 v28, v27
	v_fma_f32 v31, -v27, v28, 1.0
	v_fmac_f32_e32 v28, v31, v28
	v_div_scale_f32 v31, vcc_lo, 1.0, v26, 1.0
	v_mul_f32_e32 v32, v31, v28
	v_fma_f32 v34, -v27, v32, v31
	v_fmac_f32_e32 v32, v34, v28
	v_fma_f32 v27, -v27, v32, v31
	v_div_fmas_f32 v27, v27, v28, v32
	v_div_fixup_f32 v26, v27, v26, 1.0
	v_mul_f32_e32 v31, v26, v25
	v_lshlrev_b64 v[25:26], 2, v[0:1]
	v_add_nc_u32_e32 v0, s5, v0
	v_add_co_u32 v27, vcc_lo, s10, v25
	v_add_co_ci_u32_e64 v28, null, s11, v26, vcc_lo
	v_add_co_u32 v25, vcc_lo, s12, v25
	v_add_co_ci_u32_e64 v26, null, s13, v26, vcc_lo
	global_load_dword v27, v[27:28], off
	v_min_f32_e32 v28, 0x7cf0bdc2, v31
	s_waitcnt vmcnt(0)
	v_mul_f32_e32 v27, v28, v27
	global_store_dword v[25:26], v27, off
	v_lshlrev_b64 v[25:26], 2, v[0:1]
	v_mul_f32_e32 v27, v29, v41
	v_add_nc_u32_e32 v0, s6, v0
	v_add_co_u32 v25, vcc_lo, s14, v25
	v_add_co_ci_u32_e64 v26, null, s15, v26, vcc_lo
	global_load_dword v31, v[25:26], off
	s_waitcnt vmcnt(0)
	v_mul_f32_e32 v25, v33, v31
	v_div_scale_f32 v26, null, v25, v25, 1.0
	v_rcp_f32_e32 v28, v26
	v_fma_f32 v32, -v26, v28, 1.0
	v_fmac_f32_e32 v28, v32, v28
	v_div_scale_f32 v32, vcc_lo, 1.0, v25, 1.0
	v_mul_f32_e32 v33, v32, v28
	v_fma_f32 v34, -v26, v33, v32
	v_fmac_f32_e32 v33, v34, v28
	v_fma_f32 v26, -v26, v33, v32
	v_div_fmas_f32 v26, v26, v28, v33
	v_div_fixup_f32 v25, v26, v25, 1.0
	v_mul_f32_e32 v32, v27, v25
	v_lshlrev_b64 v[25:26], 2, v[0:1]
	v_add_co_u32 v27, vcc_lo, s10, v25
	v_add_co_ci_u32_e64 v28, null, s11, v26, vcc_lo
	v_add_co_u32 v25, vcc_lo, s12, v25
	v_add_co_ci_u32_e64 v26, null, s13, v26, vcc_lo
	global_load_dword v27, v[27:28], off
	v_min_f32_e32 v28, 0x7cf0bdc2, v32
	s_waitcnt vmcnt(0)
	v_mul_f32_e32 v27, v27, v28
	global_store_dword v[25:26], v27, off
	v_mad_u64_u32 v[25:26], null, 0xffffff66, s0, v[0:1]
	v_mov_b32_e32 v26, v1
	v_lshlrev_b64 v[26:27], 2, v[25:26]
	v_add_co_u32 v26, vcc_lo, s14, v26
	v_add_co_ci_u32_e64 v27, null, s15, v27, vcc_lo
	global_load_dword v0, v[26:27], off
	s_waitcnt vmcnt(0)
	v_mul_f32_e32 v32, v29, v0
	v_add_nc_u32_e32 v0, s1, v25
	v_lshlrev_b64 v[25:26], 2, v[0:1]
	v_add_co_u32 v25, vcc_lo, s14, v25
	v_add_co_ci_u32_e64 v26, null, s15, v26, vcc_lo
	global_load_dword v33, v[25:26], off
	s_waitcnt vmcnt(0)
	v_mul_f32_e32 v25, v30, v33
	v_div_scale_f32 v26, null, v25, v25, 1.0
	v_rcp_f32_e32 v27, v26
	v_fma_f32 v28, -v26, v27, 1.0
	v_fmac_f32_e32 v27, v28, v27
	v_div_scale_f32 v28, vcc_lo, 1.0, v25, 1.0
	v_mul_f32_e32 v29, v28, v27
	v_fma_f32 v30, -v26, v29, v28
	v_fmac_f32_e32 v29, v30, v27
	v_fma_f32 v26, -v26, v29, v28
	v_div_fmas_f32 v26, v26, v27, v29
	v_div_fixup_f32 v25, v26, v25, 1.0
	v_mul_f32_e32 v30, v32, v25
	v_mad_u64_u32 v[25:26], null, 0x99, s0, v[0:1]
	v_mov_b32_e32 v26, v1
	v_lshlrev_b64 v[26:27], 2, v[25:26]
	v_add_co_u32 v28, vcc_lo, s10, v26
	v_add_co_ci_u32_e64 v29, null, s11, v27, vcc_lo
	v_add_co_u32 v26, vcc_lo, s12, v26
	v_add_co_ci_u32_e64 v27, null, s13, v27, vcc_lo
	global_load_dword v0, v[28:29], off
	v_min_f32_e32 v28, 0x7cf0bdc2, v30
	s_waitcnt vmcnt(0)
	v_mul_f32_e32 v0, v0, v28
	global_store_dword v[26:27], v0, off
	v_mul_f32_e32 v0, v19, v31
	v_div_scale_f32 v18, null, v0, v0, 1.0
	v_rcp_f32_e32 v26, v18
	v_fma_f32 v27, -v18, v26, 1.0
	v_fmac_f32_e32 v26, v27, v26
	v_div_scale_f32 v27, vcc_lo, 1.0, v0, 1.0
	v_mul_f32_e32 v28, v27, v26
	v_fma_f32 v29, -v18, v28, v27
	v_fmac_f32_e32 v28, v29, v26
	v_fma_f32 v18, -v18, v28, v27
	v_div_fmas_f32 v18, v18, v26, v28
	v_div_fixup_f32 v0, v18, v0, 1.0
	v_mul_f32_e32 v18, v32, v0
	v_add_nc_u32_e32 v0, s0, v25
	v_min_f32_e32 v18, 0x7cf0bdc2, v18
	v_lshlrev_b64 v[25:26], 2, v[0:1]
	v_add_nc_u32_e32 v0, s0, v0
	v_add_co_u32 v27, vcc_lo, s10, v25
	v_add_co_ci_u32_e64 v28, null, s11, v26, vcc_lo
	v_add_co_u32 v25, vcc_lo, s12, v25
	v_add_co_ci_u32_e64 v26, null, s13, v26, vcc_lo
	global_load_dword v27, v[27:28], off
	s_waitcnt vmcnt(0)
	v_mul_f32_e32 v18, v27, v18
	global_store_dword v[25:26], v18, off
	s_clause 0x4
	global_load_dword v22, v[22:23], off
	global_load_dword v18, v[14:15], off
	;; [unrolled: 1-line block ×5, first 2 shown]
	s_waitcnt vmcnt(3)
	v_mul_f32_e32 v23, v22, v18
	s_waitcnt vmcnt(2)
	v_mul_f32_e32 v14, v33, v14
	;; [unrolled: 2-line block ×3, first 2 shown]
	v_div_scale_f32 v15, null, v14, v14, 1.0
	v_div_scale_f32 v13, null, v12, v12, 1.0
	v_rcp_f32_e32 v20, v15
	v_fma_f32 v21, -v15, v20, 1.0
	v_fmac_f32_e32 v20, v21, v20
	v_div_scale_f32 v21, vcc_lo, 1.0, v14, 1.0
	v_mul_f32_e32 v25, v21, v20
	v_fma_f32 v26, -v15, v25, v21
	v_fmac_f32_e32 v25, v26, v20
	v_fma_f32 v15, -v15, v25, v21
	v_div_fmas_f32 v15, v15, v20, v25
	v_div_fixup_f32 v14, v15, v14, 1.0
	v_mul_f32_e32 v25, v23, v14
	v_lshlrev_b64 v[14:15], 2, v[0:1]
	v_mul_f32_e32 v23, v24, v23
	v_add_co_u32 v20, vcc_lo, s10, v14
	v_add_co_ci_u32_e64 v21, null, s11, v15, vcc_lo
	v_add_co_u32 v14, vcc_lo, s12, v14
	v_add_co_ci_u32_e64 v15, null, s13, v15, vcc_lo
	global_load_dword v20, v[20:21], off
	v_min_f32_e32 v21, 0x7cf0bdc2, v25
	s_waitcnt vmcnt(0)
	v_mul_f32_e32 v20, v20, v21
	global_store_dword v[14:15], v20, off
	v_mad_u64_u32 v[14:15], null, 0xffffff77, s0, v[0:1]
	v_mov_b32_e32 v15, v1
	v_lshlrev_b64 v[20:21], 2, v[14:15]
	v_add_co_u32 v20, vcc_lo, s14, v20
	v_add_co_ci_u32_e64 v21, null, s15, v21, vcc_lo
	global_load_dword v0, v[20:21], off
	s_waitcnt vmcnt(0)
	v_div_scale_f32 v20, null, v0, v0, 1.0
	v_rcp_f32_e32 v21, v20
	v_fma_f32 v25, -v20, v21, 1.0
	v_fmac_f32_e32 v21, v25, v21
	v_div_scale_f32 v25, vcc_lo, 1.0, v0, 1.0
	v_mul_f32_e32 v26, v25, v21
	v_fma_f32 v27, -v20, v26, v25
	v_fmac_f32_e32 v26, v27, v21
	v_fma_f32 v20, -v20, v26, v25
	v_div_fmas_f32 v20, v20, v21, v26
	v_div_fixup_f32 v0, v20, v0, 1.0
	v_mad_u64_u32 v[20:21], null, 0x8a, s0, v[14:15]
	v_mov_b32_e32 v21, v1
	v_mul_f32_e32 v0, v23, v0
	v_lshlrev_b64 v[14:15], 2, v[20:21]
	v_min_f32_e32 v0, 0x7cf0bdc2, v0
	v_add_co_u32 v25, vcc_lo, s10, v14
	v_add_co_ci_u32_e64 v26, null, s11, v15, vcc_lo
	v_add_co_u32 v14, vcc_lo, s12, v14
	v_add_co_ci_u32_e64 v15, null, s13, v15, vcc_lo
	global_load_dword v21, v[25:26], off
	s_waitcnt vmcnt(0)
	v_mul_f32_e32 v0, v21, v0
	global_store_dword v[14:15], v0, off
	v_add_nc_u32_e32 v0, s2, v20
	global_load_dword v14, v[16:17], off
	v_lshlrev_b64 v[15:16], 2, v[0:1]
	v_add_nc_u32_e32 v0, s3, v0
	v_add_co_u32 v15, vcc_lo, s14, v15
	v_add_co_ci_u32_e64 v16, null, s15, v16, vcc_lo
	global_load_dword v15, v[15:16], off
	s_waitcnt vmcnt(1)
	v_mul_f32_e32 v23, v19, v14
	v_mul_f32_e32 v17, v24, v23
	s_waitcnt vmcnt(0)
	v_div_scale_f32 v16, null, v15, v15, 1.0
	v_rcp_f32_e32 v20, v16
	v_fma_f32 v21, -v16, v20, 1.0
	v_fmac_f32_e32 v20, v21, v20
	v_div_scale_f32 v21, vcc_lo, 1.0, v15, 1.0
	v_mul_f32_e32 v24, v21, v20
	v_fma_f32 v25, -v16, v24, v21
	v_fmac_f32_e32 v24, v25, v20
	v_fma_f32 v16, -v16, v24, v21
	v_div_fmas_f32 v16, v16, v20, v24
	v_div_fixup_f32 v16, v16, v15, 1.0
	v_mul_f32_e32 v24, v17, v16
	v_lshlrev_b64 v[16:17], 2, v[0:1]
	v_add_nc_u32_e32 v0, s0, v0
	v_add_co_u32 v20, vcc_lo, s10, v16
	v_add_co_ci_u32_e64 v21, null, s11, v17, vcc_lo
	v_add_co_u32 v16, vcc_lo, s12, v16
	v_add_co_ci_u32_e64 v17, null, s13, v17, vcc_lo
	global_load_dword v20, v[20:21], off
	v_min_f32_e32 v21, 0x7cf0bdc2, v24
	s_waitcnt vmcnt(0)
	v_mul_f32_e32 v20, v20, v21
	global_store_dword v[16:17], v20, off
	v_rcp_f32_e32 v16, v13
	v_fma_f32 v17, -v13, v16, 1.0
	v_fmac_f32_e32 v16, v17, v16
	v_div_scale_f32 v17, vcc_lo, 1.0, v12, 1.0
	v_mul_f32_e32 v20, v17, v16
	v_fma_f32 v21, -v13, v20, v17
	v_fmac_f32_e32 v20, v21, v16
	v_fma_f32 v13, -v13, v20, v17
	v_div_fmas_f32 v13, v13, v16, v20
	v_div_fixup_f32 v12, v13, v12, 1.0
	v_mul_f32_e32 v20, v23, v12
	v_lshlrev_b64 v[12:13], 2, v[0:1]
	v_add_nc_u32_e32 v0, s0, v0
	v_add_co_u32 v16, vcc_lo, s10, v12
	v_add_co_ci_u32_e64 v17, null, s11, v13, vcc_lo
	v_add_co_u32 v12, vcc_lo, s12, v12
	v_add_co_ci_u32_e64 v13, null, s13, v13, vcc_lo
	global_load_dword v16, v[16:17], off
	v_min_f32_e32 v17, 0x7cf0bdc2, v20
	s_waitcnt vmcnt(0)
	v_mul_f32_e32 v16, v16, v17
	global_store_dword v[12:13], v16, off
	v_mul_f32_e32 v12, v2, v14
	global_load_dword v2, v[8:9], off
	s_waitcnt vmcnt(0)
	v_mul_f32_e32 v2, v22, v2
	v_div_scale_f32 v3, null, v2, v2, 1.0
	v_rcp_f32_e32 v8, v3
	v_fma_f32 v9, -v3, v8, 1.0
	v_fmac_f32_e32 v8, v9, v8
	v_div_scale_f32 v9, vcc_lo, 1.0, v2, 1.0
	v_mul_f32_e32 v13, v9, v8
	v_fma_f32 v16, -v3, v13, v9
	v_fmac_f32_e32 v13, v16, v8
	v_fma_f32 v3, -v3, v13, v9
	v_div_fmas_f32 v3, v3, v8, v13
	v_div_fixup_f32 v2, v3, v2, 1.0
	v_mul_f32_e32 v13, v12, v2
	v_lshlrev_b64 v[2:3], 2, v[0:1]
	v_add_nc_u32_e32 v0, s0, v0
	v_add_co_u32 v8, vcc_lo, s10, v2
	v_add_co_ci_u32_e64 v9, null, s11, v3, vcc_lo
	v_add_co_u32 v2, vcc_lo, s12, v2
	v_add_co_ci_u32_e64 v3, null, s13, v3, vcc_lo
	global_load_dword v8, v[8:9], off
	v_min_f32_e32 v9, 0x7cf0bdc2, v13
	s_waitcnt vmcnt(0)
	v_mul_f32_e32 v8, v8, v9
	global_store_dword v[2:3], v8, off
	global_load_dword v2, v[10:11], off
	s_waitcnt vmcnt(0)
	v_mul_f32_e32 v2, v19, v2
	v_div_scale_f32 v3, null, v2, v2, 1.0
	v_rcp_f32_e32 v8, v3
	v_fma_f32 v9, -v3, v8, 1.0
	v_fmac_f32_e32 v8, v9, v8
	v_div_scale_f32 v9, vcc_lo, 1.0, v2, 1.0
	v_mul_f32_e32 v10, v9, v8
	v_fma_f32 v11, -v3, v10, v9
	v_fmac_f32_e32 v10, v11, v8
	v_fma_f32 v3, -v3, v10, v9
	v_div_fmas_f32 v3, v3, v8, v10
	v_div_fixup_f32 v2, v3, v2, 1.0
	v_mul_f32_e32 v10, v12, v2
	v_lshlrev_b64 v[2:3], 2, v[0:1]
	v_add_nc_u32_e32 v0, s0, v0
	v_add_co_u32 v8, vcc_lo, s10, v2
	v_add_co_ci_u32_e64 v9, null, s11, v3, vcc_lo
	v_add_co_u32 v2, vcc_lo, s12, v2
	v_add_co_ci_u32_e64 v3, null, s13, v3, vcc_lo
	global_load_dword v8, v[8:9], off
	v_min_f32_e32 v9, 0x7cf0bdc2, v10
	s_waitcnt vmcnt(0)
	v_mul_f32_e32 v8, v8, v9
	global_store_dword v[2:3], v8, off
	s_clause 0x1
	global_load_dword v2, v[6:7], off
	global_load_dword v3, v[4:5], off
	s_waitcnt vmcnt(1)
	v_mul_f32_e32 v6, v2, v14
	s_waitcnt vmcnt(0)
	v_mul_f32_e32 v4, v3, v18
	v_mul_f32_e32 v2, v2, v15
	;; [unrolled: 1-line block ×3, first 2 shown]
	v_div_scale_f32 v5, null, v4, v4, 1.0
	v_rcp_f32_e32 v7, v5
	v_fma_f32 v8, -v5, v7, 1.0
	v_fmac_f32_e32 v7, v8, v7
	v_div_scale_f32 v8, vcc_lo, 1.0, v4, 1.0
	v_mul_f32_e32 v9, v8, v7
	v_fma_f32 v10, -v5, v9, v8
	v_fmac_f32_e32 v9, v10, v7
	v_fma_f32 v5, -v5, v9, v8
	v_div_fmas_f32 v5, v5, v7, v9
	v_div_fixup_f32 v4, v5, v4, 1.0
	v_mul_f32_e32 v4, v6, v4
	v_lshlrev_b64 v[5:6], 2, v[0:1]
	v_add_nc_u32_e32 v0, s0, v0
	v_min_f32_e32 v4, 0x7cf0bdc2, v4
	v_add_co_u32 v7, vcc_lo, s10, v5
	v_add_co_ci_u32_e64 v8, null, s11, v6, vcc_lo
	v_lshlrev_b64 v[0:1], 2, v[0:1]
	global_load_dword v7, v[7:8], off
	s_waitcnt vmcnt(0)
	v_mul_f32_e32 v7, v7, v4
	v_add_co_u32 v4, vcc_lo, s12, v5
	v_add_co_ci_u32_e64 v5, null, s13, v6, vcc_lo
	global_store_dword v[4:5], v7, off
	v_div_scale_f32 v4, null, v2, v2, 1.0
	v_rcp_f32_e32 v5, v4
	v_fma_f32 v6, -v4, v5, 1.0
	v_fmac_f32_e32 v5, v6, v5
	v_div_scale_f32 v6, vcc_lo, 1.0, v2, 1.0
	v_mul_f32_e32 v7, v6, v5
	v_fma_f32 v8, -v4, v7, v6
	v_fmac_f32_e32 v7, v8, v5
	v_fma_f32 v4, -v4, v7, v6
	v_div_fmas_f32 v4, v4, v5, v7
	v_div_fixup_f32 v2, v4, v2, 1.0
	v_mul_f32_e32 v4, v3, v2
	v_add_co_u32 v2, vcc_lo, s10, v0
	v_add_co_ci_u32_e64 v3, null, s11, v1, vcc_lo
	v_add_co_u32 v0, vcc_lo, s12, v0
	v_add_co_ci_u32_e64 v1, null, s13, v1, vcc_lo
	global_load_dword v2, v[2:3], off
	v_min_f32_e32 v3, 0x7cf0bdc2, v4
	s_waitcnt vmcnt(0)
	v_mul_f32_e32 v2, v2, v3
	global_store_dword v[0:1], v2, off
	s_endpgm
	.section	.rodata,"a",@progbits
	.p2align	6, 0x0
	.amdhsa_kernel _Z12ratt8_kernelIfEvPKT_S2_PS0_S2_S0_
		.amdhsa_group_segment_fixed_size 0
		.amdhsa_private_segment_fixed_size 0
		.amdhsa_kernarg_size 296
		.amdhsa_user_sgpr_count 6
		.amdhsa_user_sgpr_private_segment_buffer 1
		.amdhsa_user_sgpr_dispatch_ptr 0
		.amdhsa_user_sgpr_queue_ptr 0
		.amdhsa_user_sgpr_kernarg_segment_ptr 1
		.amdhsa_user_sgpr_dispatch_id 0
		.amdhsa_user_sgpr_flat_scratch_init 0
		.amdhsa_user_sgpr_private_segment_size 0
		.amdhsa_wavefront_size32 1
		.amdhsa_uses_dynamic_stack 0
		.amdhsa_system_sgpr_private_segment_wavefront_offset 0
		.amdhsa_system_sgpr_workgroup_id_x 1
		.amdhsa_system_sgpr_workgroup_id_y 0
		.amdhsa_system_sgpr_workgroup_id_z 0
		.amdhsa_system_sgpr_workgroup_info 0
		.amdhsa_system_vgpr_workitem_id 0
		.amdhsa_next_free_vgpr 42
		.amdhsa_next_free_sgpr 16
		.amdhsa_reserve_vcc 1
		.amdhsa_reserve_flat_scratch 0
		.amdhsa_float_round_mode_32 0
		.amdhsa_float_round_mode_16_64 0
		.amdhsa_float_denorm_mode_32 3
		.amdhsa_float_denorm_mode_16_64 3
		.amdhsa_dx10_clamp 1
		.amdhsa_ieee_mode 1
		.amdhsa_fp16_overflow 0
		.amdhsa_workgroup_processor_mode 1
		.amdhsa_memory_ordered 1
		.amdhsa_forward_progress 1
		.amdhsa_shared_vgpr_count 0
		.amdhsa_exception_fp_ieee_invalid_op 0
		.amdhsa_exception_fp_denorm_src 0
		.amdhsa_exception_fp_ieee_div_zero 0
		.amdhsa_exception_fp_ieee_overflow 0
		.amdhsa_exception_fp_ieee_underflow 0
		.amdhsa_exception_fp_ieee_inexact 0
		.amdhsa_exception_int_div_zero 0
	.end_amdhsa_kernel
	.section	.text._Z12ratt8_kernelIfEvPKT_S2_PS0_S2_S0_,"axG",@progbits,_Z12ratt8_kernelIfEvPKT_S2_PS0_S2_S0_,comdat
.Lfunc_end9:
	.size	_Z12ratt8_kernelIfEvPKT_S2_PS0_S2_S0_, .Lfunc_end9-_Z12ratt8_kernelIfEvPKT_S2_PS0_S2_S0_
                                        ; -- End function
	.set _Z12ratt8_kernelIfEvPKT_S2_PS0_S2_S0_.num_vgpr, 42
	.set _Z12ratt8_kernelIfEvPKT_S2_PS0_S2_S0_.num_agpr, 0
	.set _Z12ratt8_kernelIfEvPKT_S2_PS0_S2_S0_.numbered_sgpr, 16
	.set _Z12ratt8_kernelIfEvPKT_S2_PS0_S2_S0_.num_named_barrier, 0
	.set _Z12ratt8_kernelIfEvPKT_S2_PS0_S2_S0_.private_seg_size, 0
	.set _Z12ratt8_kernelIfEvPKT_S2_PS0_S2_S0_.uses_vcc, 1
	.set _Z12ratt8_kernelIfEvPKT_S2_PS0_S2_S0_.uses_flat_scratch, 0
	.set _Z12ratt8_kernelIfEvPKT_S2_PS0_S2_S0_.has_dyn_sized_stack, 0
	.set _Z12ratt8_kernelIfEvPKT_S2_PS0_S2_S0_.has_recursion, 0
	.set _Z12ratt8_kernelIfEvPKT_S2_PS0_S2_S0_.has_indirect_call, 0
	.section	.AMDGPU.csdata,"",@progbits
; Kernel info:
; codeLenInByte = 5528
; TotalNumSgprs: 18
; NumVgprs: 42
; ScratchSize: 0
; MemoryBound: 0
; FloatMode: 240
; IeeeMode: 1
; LDSByteSize: 0 bytes/workgroup (compile time only)
; SGPRBlocks: 0
; VGPRBlocks: 5
; NumSGPRsForWavesPerEU: 18
; NumVGPRsForWavesPerEU: 42
; Occupancy: 16
; WaveLimiterHint : 0
; COMPUTE_PGM_RSRC2:SCRATCH_EN: 0
; COMPUTE_PGM_RSRC2:USER_SGPR: 6
; COMPUTE_PGM_RSRC2:TRAP_HANDLER: 0
; COMPUTE_PGM_RSRC2:TGID_X_EN: 1
; COMPUTE_PGM_RSRC2:TGID_Y_EN: 0
; COMPUTE_PGM_RSRC2:TGID_Z_EN: 0
; COMPUTE_PGM_RSRC2:TIDIG_COMP_CNT: 0
	.section	.text._Z12ratt9_kernelIfEvPKT_S2_PS0_S2_S0_,"axG",@progbits,_Z12ratt9_kernelIfEvPKT_S2_PS0_S2_S0_,comdat
	.protected	_Z12ratt9_kernelIfEvPKT_S2_PS0_S2_S0_ ; -- Begin function _Z12ratt9_kernelIfEvPKT_S2_PS0_S2_S0_
	.globl	_Z12ratt9_kernelIfEvPKT_S2_PS0_S2_S0_
	.p2align	8
	.type	_Z12ratt9_kernelIfEvPKT_S2_PS0_S2_S0_,@function
_Z12ratt9_kernelIfEvPKT_S2_PS0_S2_S0_:  ; @_Z12ratt9_kernelIfEvPKT_S2_PS0_S2_S0_
; %bb.0:
	s_clause 0x3
	s_load_dwordx8 s[8:15], s[4:5], 0x0
	s_load_dword s0, s[4:5], 0x20
	s_load_dword s1, s[4:5], 0x28
	;; [unrolled: 1-line block ×3, first 2 shown]
	s_waitcnt lgkmcnt(0)
	s_and_b32 s2, s2, 0xffff
	v_mad_u64_u32 v[0:1], null, s6, s2, v[0:1]
	v_mov_b32_e32 v1, 0
	v_lshlrev_b64 v[6:7], 2, v[0:1]
	v_add_co_u32 v2, vcc_lo, s8, v6
	v_add_co_ci_u32_e64 v3, null, s9, v7, vcc_lo
	global_load_dword v2, v[2:3], off
	s_waitcnt vmcnt(0)
	v_mul_f32_e32 v2, s0, v2
	s_mul_i32 s0, s1, s2
	s_mul_i32 s2, s0, 0x9a
	;; [unrolled: 1-line block ×3, first 2 shown]
	v_mul_f32_e32 v2, 0x4c9e9632, v2
	v_div_scale_f32 v3, null, v2, v2, 1.0
	v_rcp_f32_e32 v4, v3
	v_fma_f32 v5, -v3, v4, 1.0
	v_fmac_f32_e32 v4, v5, v4
	v_div_scale_f32 v5, vcc_lo, 1.0, v2, 1.0
	v_mul_f32_e32 v8, v5, v4
	v_fma_f32 v9, -v3, v8, v5
	v_fmac_f32_e32 v8, v9, v4
	v_fma_f32 v3, -v3, v8, v5
	v_div_fmas_f32 v3, v3, v4, v8
	v_div_fixup_f32 v2, v3, v2, 1.0
	v_mul_f32_e32 v36, 0x49776020, v2
	v_mad_u64_u32 v[2:3], null, s0, 6, v[0:1]
	v_mov_b32_e32 v3, v1
	v_add_nc_u32_e32 v0, s0, v0
	v_lshlrev_b64 v[3:4], 2, v[2:3]
	v_lshl_add_u32 v2, s0, 4, v2
	v_add_co_u32 v18, vcc_lo, s14, v3
	v_mov_b32_e32 v3, v1
	v_add_co_ci_u32_e64 v19, null, s15, v4, vcc_lo
	v_lshlrev_b64 v[4:5], 2, v[2:3]
	v_mad_u64_u32 v[2:3], null, s0, -15, v[2:3]
	v_mov_b32_e32 v3, v1
	global_load_dword v10, v[18:19], off
	v_add_co_u32 v24, vcc_lo, s14, v4
	v_add_co_ci_u32_e64 v25, null, s15, v5, vcc_lo
	v_lshlrev_b64 v[4:5], 2, v[2:3]
	v_mad_u64_u32 v[2:3], null, s0, 14, v[2:3]
	v_mov_b32_e32 v3, v1
	global_load_dword v16, v[24:25], off
	v_add_co_u32 v8, vcc_lo, s14, v4
	v_add_co_ci_u32_e64 v9, null, s15, v5, vcc_lo
	v_lshlrev_b64 v[3:4], 2, v[2:3]
	v_add_nc_u32_e32 v2, s2, v2
	global_load_dword v15, v[8:9], off
	v_add_co_u32 v3, vcc_lo, s14, v3
	v_add_co_ci_u32_e64 v4, null, s15, v4, vcc_lo
	global_load_dword v37, v[3:4], off
	s_waitcnt vmcnt(2)
	v_mul_f32_e32 v14, v10, v16
	s_waitcnt vmcnt(0)
	v_mul_f32_e32 v3, v15, v37
	v_mul_f32_e32 v15, v16, v15
	v_div_scale_f32 v4, null, v3, v3, 1.0
	v_rcp_f32_e32 v5, v4
	v_fma_f32 v11, -v4, v5, 1.0
	v_fmac_f32_e32 v5, v11, v5
	v_div_scale_f32 v11, vcc_lo, 1.0, v3, 1.0
	v_mul_f32_e32 v12, v11, v5
	v_fma_f32 v13, -v4, v12, v11
	v_fmac_f32_e32 v12, v13, v5
	v_fma_f32 v4, -v4, v12, v11
	v_div_fmas_f32 v4, v4, v5, v12
	v_div_fixup_f32 v3, v4, v3, 1.0
	v_mul_f32_e32 v5, v14, v3
	v_mov_b32_e32 v3, v1
	v_min_f32_e32 v5, 0x7cf0bdc2, v5
	v_lshlrev_b64 v[3:4], 2, v[2:3]
	v_add_nc_u32_e32 v2, s1, v2
	v_add_co_u32 v11, vcc_lo, s10, v3
	v_add_co_ci_u32_e64 v12, null, s11, v4, vcc_lo
	v_add_co_u32 v3, vcc_lo, s12, v3
	v_add_co_ci_u32_e64 v4, null, s13, v4, vcc_lo
	global_load_dword v11, v[11:12], off
	s_waitcnt vmcnt(0)
	v_mul_f32_e32 v5, v11, v5
	global_store_dword v[3:4], v5, off
	v_mov_b32_e32 v3, v1
	v_lshlrev_b64 v[3:4], 2, v[2:3]
	v_add_co_u32 v26, vcc_lo, s14, v3
	v_add_co_ci_u32_e64 v27, null, s15, v4, vcc_lo
	v_mad_u64_u32 v[4:5], null, s0, 7, v[2:3]
	v_mov_b32_e32 v5, v1
	global_load_dword v11, v[26:27], off
	v_mad_u64_u32 v[12:13], null, s0, 5, v[4:5]
	v_lshlrev_b64 v[2:3], 2, v[4:5]
	v_mov_b32_e32 v13, v1
	v_lshlrev_b64 v[4:5], 2, v[12:13]
	v_add_co_u32 v2, vcc_lo, s14, v2
	v_add_co_ci_u32_e64 v3, null, s15, v3, vcc_lo
	v_add_co_u32 v4, vcc_lo, s14, v4
	global_load_dword v38, v[2:3], off
	v_add_co_ci_u32_e64 v5, null, s15, v5, vcc_lo
	global_load_dword v28, v[4:5], off
	s_waitcnt vmcnt(1)
	v_mul_f32_e32 v17, v11, v38
	s_waitcnt vmcnt(0)
	v_mul_f32_e32 v13, v17, v28
	v_mul_f32_e32 v28, v11, v28
	;; [unrolled: 1-line block ×3, first 2 shown]
	v_div_scale_f32 v17, null, v13, v13, 1.0
	v_rcp_f32_e32 v20, v17
	v_fma_f32 v21, -v17, v20, 1.0
	v_fmac_f32_e32 v20, v21, v20
	v_div_scale_f32 v21, vcc_lo, 1.0, v13, 1.0
	v_mul_f32_e32 v22, v21, v20
	v_fma_f32 v23, -v17, v22, v21
	v_fmac_f32_e32 v22, v23, v20
	v_fma_f32 v17, -v17, v22, v21
	v_div_fmas_f32 v17, v17, v20, v22
	v_div_fixup_f32 v13, v17, v13, 1.0
	v_mul_f32_e32 v17, v14, v13
	v_mad_u64_u32 v[12:13], null, 0xa0, s0, v[12:13]
	v_mov_b32_e32 v13, v1
	v_min_f32_e32 v17, 0x7cf0bdc2, v17
	v_lshlrev_b64 v[13:14], 2, v[12:13]
	v_add_co_u32 v20, vcc_lo, s10, v13
	v_add_co_ci_u32_e64 v21, null, s11, v14, vcc_lo
	v_add_co_u32 v13, vcc_lo, s12, v13
	v_add_co_ci_u32_e64 v14, null, s13, v14, vcc_lo
	global_load_dword v20, v[20:21], off
	s_waitcnt vmcnt(0)
	v_mul_f32_e32 v17, v20, v17
	global_store_dword v[13:14], v17, off
	v_mad_u64_u32 v[12:13], null, 0xffffff67, s0, v[12:13]
	v_mov_b32_e32 v13, v1
	v_lshlrev_b64 v[13:14], 2, v[12:13]
	v_add_nc_u32_e32 v12, s2, v12
	s_lshl_b32 s2, s0, 1
	v_add_co_u32 v13, vcc_lo, s14, v13
	v_add_co_ci_u32_e64 v14, null, s15, v14, vcc_lo
	global_load_dword v17, v[13:14], off
	s_waitcnt vmcnt(0)
	v_mul_f32_e32 v13, v10, v17
	v_div_scale_f32 v14, null, v13, v13, 1.0
	v_rcp_f32_e32 v20, v14
	v_fma_f32 v21, -v14, v20, 1.0
	v_fmac_f32_e32 v20, v21, v20
	v_div_scale_f32 v21, vcc_lo, 1.0, v13, 1.0
	v_mul_f32_e32 v22, v21, v20
	v_fma_f32 v23, -v14, v22, v21
	v_fmac_f32_e32 v22, v23, v20
	v_fma_f32 v14, -v14, v22, v21
	v_div_fmas_f32 v14, v14, v20, v22
	v_div_fixup_f32 v13, v14, v13, 1.0
	v_mul_f32_e32 v15, v15, v13
	v_mov_b32_e32 v13, v1
	v_min_f32_e32 v15, 0x7cf0bdc2, v15
	v_lshlrev_b64 v[13:14], 2, v[12:13]
	v_add_co_u32 v20, vcc_lo, s10, v13
	v_add_co_ci_u32_e64 v21, null, s11, v14, vcc_lo
	v_add_co_u32 v13, vcc_lo, s12, v13
	v_add_co_ci_u32_e64 v14, null, s13, v14, vcc_lo
	global_load_dword v20, v[20:21], off
	s_waitcnt vmcnt(0)
	v_mul_f32_e32 v15, v20, v15
	global_store_dword v[13:14], v15, off
	v_mad_u64_u32 v[12:13], null, 0xffffff5e, s0, v[12:13]
	v_mov_b32_e32 v13, v1
	v_lshlrev_b64 v[13:14], 2, v[12:13]
	v_subrev_nc_u32_e32 v12, s2, v12
	s_mul_i32 s2, s0, 0xb2
	v_add_co_u32 v30, vcc_lo, s14, v13
	v_mov_b32_e32 v13, v1
	v_add_co_ci_u32_e64 v31, null, s15, v14, vcc_lo
	v_lshlrev_b64 v[13:14], 2, v[12:13]
	global_load_dword v29, v[30:31], off
	v_add_co_u32 v13, vcc_lo, s14, v13
	v_add_co_ci_u32_e64 v14, null, s15, v14, vcc_lo
	global_load_dword v39, v[13:14], off
	s_waitcnt vmcnt(1)
	v_mul_f32_e32 v15, v16, v29
	s_waitcnt vmcnt(0)
	v_mul_f32_e32 v13, v17, v39
	v_div_scale_f32 v14, null, v13, v13, 1.0
	v_rcp_f32_e32 v20, v14
	v_fma_f32 v21, -v14, v20, 1.0
	v_fmac_f32_e32 v20, v21, v20
	v_div_scale_f32 v21, vcc_lo, 1.0, v13, 1.0
	v_mul_f32_e32 v22, v21, v20
	v_fma_f32 v23, -v14, v22, v21
	v_fmac_f32_e32 v22, v23, v20
	v_fma_f32 v14, -v14, v22, v21
	v_div_fmas_f32 v14, v14, v20, v22
	v_div_fixup_f32 v13, v14, v13, 1.0
	v_mul_f32_e32 v20, v15, v13
	v_mad_u64_u32 v[12:13], null, 0xa5, s0, v[12:13]
	v_mov_b32_e32 v13, v1
	v_lshlrev_b64 v[12:13], 2, v[12:13]
	v_add_co_u32 v14, vcc_lo, s10, v12
	v_add_co_ci_u32_e64 v15, null, s11, v13, vcc_lo
	v_add_co_u32 v12, vcc_lo, s12, v12
	v_add_co_ci_u32_e64 v13, null, s13, v13, vcc_lo
	global_load_dword v14, v[14:15], off
	v_min_f32_e32 v15, 0x7cf0bdc2, v20
	s_waitcnt vmcnt(0)
	v_mul_f32_e32 v14, v14, v15
	global_store_dword v[12:13], v14, off
	v_lshlrev_b64 v[12:13], 2, v[0:1]
	v_add_nc_u32_e32 v0, s2, v0
	v_add_co_u32 v32, vcc_lo, s14, v12
	v_add_co_ci_u32_e64 v33, null, s15, v13, vcc_lo
	v_add_co_u32 v12, vcc_lo, s14, v6
	v_add_co_ci_u32_e64 v13, null, s15, v7, vcc_lo
	s_clause 0x1
	global_load_dword v40, v[32:33], off
	global_load_dword v6, v[12:13], off
	s_waitcnt vmcnt(1)
	v_mul_f32_e32 v14, v17, v40
	s_waitcnt vmcnt(0)
	v_mul_f32_e32 v6, v16, v6
	v_div_scale_f32 v7, null, v6, v6, 1.0
	v_rcp_f32_e32 v15, v7
	v_fma_f32 v20, -v7, v15, 1.0
	v_fmac_f32_e32 v15, v20, v15
	v_div_scale_f32 v20, vcc_lo, 1.0, v6, 1.0
	v_mul_f32_e32 v21, v20, v15
	v_fma_f32 v22, -v7, v21, v20
	v_fmac_f32_e32 v21, v22, v15
	v_fma_f32 v7, -v7, v21, v20
	v_div_fmas_f32 v7, v7, v15, v21
	v_div_fixup_f32 v6, v7, v6, 1.0
	v_mul_f32_e32 v20, v14, v6
	v_lshlrev_b64 v[6:7], 2, v[0:1]
	v_add_co_u32 v14, vcc_lo, s10, v6
	v_add_co_ci_u32_e64 v15, null, s11, v7, vcc_lo
	v_add_co_u32 v6, vcc_lo, s12, v6
	v_add_co_ci_u32_e64 v7, null, s13, v7, vcc_lo
	global_load_dword v14, v[14:15], off
	v_min_f32_e32 v15, 0x7cf0bdc2, v20
	s_waitcnt vmcnt(0)
	v_mul_f32_e32 v14, v14, v15
	global_store_dword v[6:7], v14, off
	v_mad_u64_u32 v[6:7], null, 0xffffff4f, s0, v[0:1]
	v_mov_b32_e32 v7, v1
	v_lshlrev_b64 v[14:15], 2, v[6:7]
	v_mul_f32_e32 v7, v16, v11
	v_add_co_u32 v14, vcc_lo, s14, v14
	v_add_co_ci_u32_e64 v15, null, s15, v15, vcc_lo
	v_div_scale_f32 v20, null, v7, v7, 1.0
	global_load_dword v0, v[14:15], off
	v_rcp_f32_e32 v21, v20
	v_fma_f32 v22, -v20, v21, 1.0
	v_fmac_f32_e32 v21, v22, v21
	v_div_scale_f32 v22, vcc_lo, 1.0, v7, 1.0
	v_mul_f32_e32 v23, v22, v21
	v_fma_f32 v34, -v20, v23, v22
	v_fmac_f32_e32 v23, v34, v21
	v_fma_f32 v20, -v20, v23, v22
	v_div_fmas_f32 v20, v20, v21, v23
	v_div_fixup_f32 v7, v20, v7, 1.0
	s_waitcnt vmcnt(0)
	v_mul_f32_e32 v0, v17, v0
	v_mul_f32_e32 v22, v7, v0
	v_add_nc_u32_e32 v0, s2, v6
	s_mul_i32 s2, s0, 0xa7
	v_lshlrev_b64 v[6:7], 2, v[0:1]
	v_add_co_u32 v20, vcc_lo, s10, v6
	v_add_co_ci_u32_e64 v21, null, s11, v7, vcc_lo
	v_add_co_u32 v6, vcc_lo, s12, v6
	v_add_co_ci_u32_e64 v7, null, s13, v7, vcc_lo
	global_load_dword v20, v[20:21], off
	v_min_f32_e32 v21, 0x7cf0bdc2, v22
	v_mul_f32_e32 v22, v11, v17
	s_waitcnt vmcnt(0)
	v_mul_f32_e32 v20, v20, v21
	global_store_dword v[6:7], v20, off
	v_mad_u64_u32 v[6:7], null, 0xffffff51, s0, v[0:1]
	v_mov_b32_e32 v7, v1
	v_lshlrev_b64 v[20:21], 2, v[6:7]
	v_add_co_u32 v34, vcc_lo, s14, v20
	v_add_co_ci_u32_e64 v35, null, s15, v21, vcc_lo
	global_load_dword v0, v[34:35], off
	s_waitcnt vmcnt(0)
	v_mul_f32_e32 v0, v16, v0
	v_div_scale_f32 v7, null, v0, v0, 1.0
	v_rcp_f32_e32 v20, v7
	v_fma_f32 v21, -v7, v20, 1.0
	v_fmac_f32_e32 v20, v21, v20
	v_div_scale_f32 v21, vcc_lo, 1.0, v0, 1.0
	v_mul_f32_e32 v23, v21, v20
	v_fma_f32 v41, -v7, v23, v21
	v_fmac_f32_e32 v23, v41, v20
	v_fma_f32 v7, -v7, v23, v21
	v_div_fmas_f32 v7, v7, v20, v23
	v_div_fixup_f32 v0, v7, v0, 1.0
	v_mad_u64_u32 v[6:7], null, 0xb0, s0, v[6:7]
	v_mov_b32_e32 v7, v1
	v_mul_f32_e32 v0, v22, v0
	v_lshlrev_b64 v[20:21], 2, v[6:7]
	v_min_f32_e32 v0, 0x7cf0bdc2, v0
	v_add_co_u32 v22, vcc_lo, s10, v20
	v_add_co_ci_u32_e64 v23, null, s11, v21, vcc_lo
	v_add_co_u32 v20, vcc_lo, s12, v20
	v_add_co_ci_u32_e64 v21, null, s13, v21, vcc_lo
	global_load_dword v7, v[22:23], off
	s_waitcnt vmcnt(0)
	v_mul_f32_e32 v0, v7, v0
	global_store_dword v[20:21], v0, off
	v_add_nc_u32_e32 v0, s1, v6
	s_mul_i32 s1, s0, 0xffffff5a
	v_lshlrev_b64 v[6:7], 2, v[0:1]
	v_add_co_u32 v6, vcc_lo, s14, v6
	v_add_co_ci_u32_e64 v7, null, s15, v7, vcc_lo
	global_load_dword v6, v[6:7], off
	v_mul_f32_e32 v7, v16, v38
	v_div_scale_f32 v20, null, v7, v7, 1.0
	v_rcp_f32_e32 v21, v20
	v_fma_f32 v22, -v20, v21, 1.0
	v_fmac_f32_e32 v21, v22, v21
	v_div_scale_f32 v22, vcc_lo, 1.0, v7, 1.0
	v_mul_f32_e32 v23, v22, v21
	v_fma_f32 v41, -v20, v23, v22
	v_fmac_f32_e32 v23, v41, v21
	v_fma_f32 v20, -v20, v23, v22
	v_div_fmas_f32 v20, v20, v21, v23
	v_div_fixup_f32 v7, v20, v7, 1.0
	s_waitcnt vmcnt(0)
	v_mul_f32_e32 v6, v17, v6
	v_mul_f32_e32 v41, v7, v6
	v_mad_u64_u32 v[6:7], null, 0xac, s0, v[0:1]
	v_mov_b32_e32 v7, v1
	v_lshlrev_b64 v[20:21], 2, v[6:7]
	v_min_f32_e32 v7, 0x7cf0bdc2, v41
	v_add_co_u32 v22, vcc_lo, s10, v20
	v_add_co_ci_u32_e64 v23, null, s11, v21, vcc_lo
	v_add_co_u32 v20, vcc_lo, s12, v20
	v_add_co_ci_u32_e64 v21, null, s13, v21, vcc_lo
	global_load_dword v0, v[22:23], off
	s_waitcnt vmcnt(0)
	v_mul_f32_e32 v0, v0, v7
	v_mad_u64_u32 v[6:7], null, 0xffffff56, s0, v[6:7]
	v_mov_b32_e32 v7, v1
	global_store_dword v[20:21], v0, off
	v_mul_f32_e32 v0, v38, v17
	v_lshlrev_b64 v[20:21], 2, v[6:7]
	v_add_co_u32 v22, vcc_lo, s14, v20
	v_add_co_ci_u32_e64 v23, null, s15, v21, vcc_lo
	global_load_dword v45, v[22:23], off
	s_waitcnt vmcnt(0)
	v_mul_f32_e32 v7, v16, v45
	v_div_scale_f32 v16, null, v7, v7, 1.0
	v_rcp_f32_e32 v17, v16
	v_fma_f32 v20, -v16, v17, 1.0
	v_fmac_f32_e32 v17, v20, v17
	v_div_scale_f32 v20, vcc_lo, 1.0, v7, 1.0
	v_mul_f32_e32 v21, v20, v17
	v_fma_f32 v41, -v16, v21, v20
	v_fmac_f32_e32 v21, v41, v17
	v_fma_f32 v16, -v16, v21, v20
	v_div_fmas_f32 v16, v16, v17, v21
	v_div_fixup_f32 v7, v16, v7, 1.0
	v_mul_f32_e32 v0, v0, v7
	v_mad_u64_u32 v[6:7], null, 0xab, s0, v[6:7]
	v_mov_b32_e32 v7, v1
	v_min_f32_e32 v0, 0x7cf0bdc2, v0
	v_lshlrev_b64 v[16:17], 2, v[6:7]
	v_add_co_u32 v20, vcc_lo, s10, v16
	v_add_co_ci_u32_e64 v21, null, s11, v17, vcc_lo
	v_add_co_u32 v16, vcc_lo, s12, v16
	v_add_co_ci_u32_e64 v17, null, s13, v17, vcc_lo
	global_load_dword v20, v[20:21], off
	s_waitcnt vmcnt(0)
	v_mul_f32_e32 v0, v20, v0
	global_store_dword v[16:17], v0, off
	v_mad_u64_u32 v[16:17], null, 0xffffff65, s0, v[6:7]
	v_mov_b32_e32 v17, v1
	v_add_nc_u32_e32 v0, s0, v16
	v_lshlrev_b64 v[6:7], 2, v[16:17]
	v_lshlrev_b64 v[16:17], 2, v[0:1]
	v_add_co_u32 v6, vcc_lo, s14, v6
	v_add_co_ci_u32_e64 v7, null, s15, v7, vcc_lo
	v_add_co_u32 v20, vcc_lo, s14, v16
	v_add_co_ci_u32_e64 v21, null, s15, v17, vcc_lo
	s_clause 0x1
	global_load_dword v46, v[6:7], off
	global_load_dword v48, v[20:21], off
	s_waitcnt vmcnt(1)
	v_mul_f32_e32 v47, v40, v46
	s_waitcnt vmcnt(0)
	v_div_scale_f32 v16, null, v48, v48, 1.0
	v_mul_f32_e32 v41, v36, v47
	v_rcp_f32_e32 v17, v16
	v_fma_f32 v42, -v16, v17, 1.0
	v_fmac_f32_e32 v17, v42, v17
	v_div_scale_f32 v42, vcc_lo, 1.0, v48, 1.0
	v_mul_f32_e32 v43, v42, v17
	v_fma_f32 v44, -v16, v43, v42
	v_fmac_f32_e32 v43, v44, v17
	v_fma_f32 v16, -v16, v43, v42
	v_div_fmas_f32 v16, v16, v17, v43
	v_div_fixup_f32 v16, v16, v48, 1.0
	v_mul_f32_e32 v49, v41, v16
	v_mad_u64_u32 v[16:17], null, 0x9b, s0, v[0:1]
	v_mov_b32_e32 v17, v1
	v_lshlrev_b64 v[41:42], 2, v[16:17]
	v_mad_u64_u32 v[16:17], null, 0xffffff5b, s0, v[16:17]
	v_mov_b32_e32 v17, v1
	v_add_co_u32 v43, vcc_lo, s10, v41
	v_add_co_ci_u32_e64 v44, null, s11, v42, vcc_lo
	v_add_co_u32 v41, vcc_lo, s12, v41
	v_add_co_ci_u32_e64 v42, null, s13, v42, vcc_lo
	global_load_dword v0, v[43:44], off
	v_min_f32_e32 v43, 0x7cf0bdc2, v49
	s_waitcnt vmcnt(0)
	v_mul_f32_e32 v0, v0, v43
	global_store_dword v[41:42], v0, off
	v_lshlrev_b64 v[41:42], 2, v[16:17]
	v_add_co_u32 v41, vcc_lo, s14, v41
	v_add_co_ci_u32_e64 v42, null, s15, v42, vcc_lo
	global_load_dword v0, v[41:42], off
	s_waitcnt vmcnt(0)
	v_mul_f32_e32 v0, v45, v0
	v_div_scale_f32 v17, null, v0, v0, 1.0
	v_rcp_f32_e32 v41, v17
	v_fma_f32 v42, -v17, v41, 1.0
	v_fmac_f32_e32 v41, v42, v41
	v_div_scale_f32 v42, vcc_lo, 1.0, v0, 1.0
	v_mul_f32_e32 v43, v42, v41
	v_fma_f32 v44, -v17, v43, v42
	v_fmac_f32_e32 v43, v44, v41
	v_fma_f32 v17, -v17, v43, v42
	v_div_fmas_f32 v17, v17, v41, v43
	v_div_fixup_f32 v0, v17, v0, 1.0
	v_mad_u64_u32 v[16:17], null, 0xa6, s0, v[16:17]
	v_mov_b32_e32 v17, v1
	v_mul_f32_e32 v0, v47, v0
	v_mul_f32_e32 v47, v10, v46
	v_lshlrev_b64 v[41:42], 2, v[16:17]
	v_min_f32_e32 v0, 0x7cf0bdc2, v0
	v_add_co_u32 v43, vcc_lo, s10, v41
	v_add_co_ci_u32_e64 v44, null, s11, v42, vcc_lo
	v_add_co_u32 v41, vcc_lo, s12, v41
	v_add_co_ci_u32_e64 v42, null, s13, v42, vcc_lo
	global_load_dword v43, v[43:44], off
	s_waitcnt vmcnt(0)
	v_mul_f32_e32 v0, v43, v0
	global_store_dword v[41:42], v0, off
	v_mad_u64_u32 v[41:42], null, 0xffffff4a, s0, v[16:17]
	v_mov_b32_e32 v42, v1
	v_lshlrev_b64 v[16:17], 2, v[41:42]
	v_add_co_u32 v16, vcc_lo, s14, v16
	v_add_co_ci_u32_e64 v17, null, s15, v17, vcc_lo
	global_load_dword v0, v[16:17], off
	s_waitcnt vmcnt(0)
	v_mul_f32_e32 v0, v48, v0
	v_div_scale_f32 v10, null, v0, v0, 1.0
	v_rcp_f32_e32 v42, v10
	v_fma_f32 v43, -v10, v42, 1.0
	v_fmac_f32_e32 v42, v43, v42
	v_div_scale_f32 v43, vcc_lo, 1.0, v0, 1.0
	v_mul_f32_e32 v44, v43, v42
	v_fma_f32 v45, -v10, v44, v43
	v_fmac_f32_e32 v44, v45, v42
	v_fma_f32 v10, -v10, v44, v43
	v_div_fmas_f32 v10, v10, v42, v44
	v_mad_u64_u32 v[41:42], null, 0xb7, s0, v[41:42]
	v_mov_b32_e32 v42, v1
	v_div_fixup_f32 v0, v10, v0, 1.0
	v_lshlrev_b64 v[42:43], 2, v[41:42]
	v_mul_f32_e32 v0, v47, v0
	v_add_co_u32 v44, vcc_lo, s10, v42
	v_add_co_ci_u32_e64 v45, null, s11, v43, vcc_lo
	v_min_f32_e32 v0, 0x7cf0bdc2, v0
	v_add_co_u32 v42, vcc_lo, s12, v42
	global_load_dword v10, v[44:45], off
	v_add_co_ci_u32_e64 v43, null, s13, v43, vcc_lo
	s_waitcnt vmcnt(0)
	v_mul_f32_e32 v0, v10, v0
	global_store_dword v[42:43], v0, off
	v_add_nc_u32_e32 v0, s1, v41
	v_lshlrev_b64 v[10:11], 2, v[0:1]
	v_add_nc_u32_e32 v0, s2, v0
	v_add_co_u32 v10, vcc_lo, s14, v10
	v_add_co_ci_u32_e64 v11, null, s15, v11, vcc_lo
	global_load_dword v41, v[10:11], off
	s_waitcnt vmcnt(0)
	v_mul_f32_e32 v28, v28, v41
	v_mul_f32_e32 v28, v36, v28
	v_div_scale_f32 v41, null, v28, v28, 1.0
	v_rcp_f32_e32 v42, v41
	v_fma_f32 v43, -v41, v42, 1.0
	v_fmac_f32_e32 v42, v43, v42
	v_div_scale_f32 v43, vcc_lo, 1.0, v28, 1.0
	v_mul_f32_e32 v44, v43, v42
	v_fma_f32 v45, -v41, v44, v43
	v_fmac_f32_e32 v44, v45, v42
	v_fma_f32 v41, -v41, v44, v43
	v_div_fmas_f32 v41, v41, v42, v44
	v_div_fixup_f32 v28, v41, v28, 1.0
	v_lshlrev_b64 v[41:42], 2, v[0:1]
	v_add_nc_u32_e32 v0, s0, v0
	v_mul_f32_e32 v28, v47, v28
	v_add_co_u32 v43, vcc_lo, s10, v41
	v_add_co_ci_u32_e64 v44, null, s11, v42, vcc_lo
	v_min_f32_e32 v28, 0x7cf0bdc2, v28
	v_add_co_u32 v41, vcc_lo, s12, v41
	global_load_dword v43, v[43:44], off
	v_add_co_ci_u32_e64 v42, null, s13, v42, vcc_lo
	s_waitcnt vmcnt(0)
	v_mul_f32_e32 v28, v43, v28
	global_store_dword v[41:42], v28, off
	v_mul_f32_e32 v28, v29, v46
	v_mul_f32_e32 v29, v39, v48
	v_div_scale_f32 v39, null, v29, v29, 1.0
	v_rcp_f32_e32 v41, v39
	v_fma_f32 v42, -v39, v41, 1.0
	v_fmac_f32_e32 v41, v42, v41
	v_div_scale_f32 v42, vcc_lo, 1.0, v29, 1.0
	v_mul_f32_e32 v43, v42, v41
	v_fma_f32 v44, -v39, v43, v42
	v_fmac_f32_e32 v43, v44, v41
	v_fma_f32 v39, -v39, v43, v42
	v_div_fmas_f32 v39, v39, v41, v43
	v_div_fixup_f32 v29, v39, v29, 1.0
	v_mul_f32_e32 v39, v28, v29
	v_lshlrev_b64 v[28:29], 2, v[0:1]
	v_min_f32_e32 v39, 0x7cf0bdc2, v39
	v_add_co_u32 v41, vcc_lo, s10, v28
	v_add_co_ci_u32_e64 v42, null, s11, v29, vcc_lo
	v_add_co_u32 v28, vcc_lo, s12, v28
	v_add_co_ci_u32_e64 v29, null, s13, v29, vcc_lo
	global_load_dword v41, v[41:42], off
	s_waitcnt vmcnt(0)
	v_mul_f32_e32 v39, v39, v41
	v_mad_u64_u32 v[41:42], null, 0xffffff62, s0, v[0:1]
	v_mov_b32_e32 v42, v1
	global_store_dword v[28:29], v39, off
	v_mul_f32_e32 v39, v40, v48
	v_lshlrev_b64 v[28:29], 2, v[41:42]
	v_mad_u64_u32 v[41:42], null, 0x9f, s0, v[41:42]
	v_mul_f32_e32 v43, v36, v39
	v_mov_b32_e32 v42, v1
	v_add_co_u32 v28, vcc_lo, s14, v28
	v_add_co_ci_u32_e64 v29, null, s15, v29, vcc_lo
	global_load_dword v0, v[28:29], off
	s_waitcnt vmcnt(0)
	v_div_scale_f32 v44, null, v0, v0, 1.0
	v_rcp_f32_e32 v45, v44
	v_fma_f32 v46, -v44, v45, 1.0
	v_fmac_f32_e32 v45, v46, v45
	v_div_scale_f32 v46, vcc_lo, 1.0, v0, 1.0
	v_mul_f32_e32 v47, v46, v45
	v_fma_f32 v48, -v44, v47, v46
	v_fmac_f32_e32 v47, v48, v45
	v_fma_f32 v44, -v44, v47, v46
	v_div_fmas_f32 v44, v44, v45, v47
	v_div_fixup_f32 v0, v44, v0, 1.0
	v_mul_f32_e32 v0, v43, v0
	v_lshlrev_b64 v[42:43], 2, v[41:42]
	v_min_f32_e32 v0, 0x7cf0bdc2, v0
	v_add_co_u32 v44, vcc_lo, s10, v42
	v_add_co_ci_u32_e64 v45, null, s11, v43, vcc_lo
	v_add_co_u32 v42, vcc_lo, s12, v42
	v_add_co_ci_u32_e64 v43, null, s13, v43, vcc_lo
	global_load_dword v44, v[44:45], off
	s_waitcnt vmcnt(0)
	v_mul_f32_e32 v0, v44, v0
	global_store_dword v[42:43], v0, off
	v_mul_f32_e32 v0, v37, v38
	v_div_scale_f32 v37, null, v0, v0, 1.0
	v_rcp_f32_e32 v38, v37
	v_fma_f32 v42, -v37, v38, 1.0
	v_fmac_f32_e32 v38, v42, v38
	v_div_scale_f32 v42, vcc_lo, 1.0, v0, 1.0
	v_mul_f32_e32 v43, v42, v38
	v_fma_f32 v44, -v37, v43, v42
	v_fmac_f32_e32 v43, v44, v38
	v_fma_f32 v37, -v37, v43, v42
	v_div_fmas_f32 v37, v37, v38, v43
	v_div_fixup_f32 v0, v37, v0, 1.0
	v_mul_f32_e32 v39, v0, v39
	v_add_nc_u32_e32 v0, s0, v41
	v_min_f32_e32 v39, 0x7cf0bdc2, v39
	v_lshlrev_b64 v[37:38], 2, v[0:1]
	v_add_nc_u32_e32 v0, s0, v0
	v_add_co_u32 v41, vcc_lo, s10, v37
	v_add_co_ci_u32_e64 v42, null, s11, v38, vcc_lo
	v_add_co_u32 v37, vcc_lo, s12, v37
	v_add_co_ci_u32_e64 v38, null, s13, v38, vcc_lo
	global_load_dword v41, v[41:42], off
	s_waitcnt vmcnt(0)
	v_mul_f32_e32 v39, v39, v41
	global_store_dword v[37:38], v39, off
	global_load_dword v37, v[20:21], off
	s_waitcnt vmcnt(0)
	v_mul_f32_e32 v39, v40, v37
	s_clause 0x1
	global_load_dword v40, v[12:13], off
	global_load_dword v38, v[6:7], off
	s_waitcnt vmcnt(0)
	v_mul_f32_e32 v40, v40, v38
	v_div_scale_f32 v41, null, v40, v40, 1.0
	v_rcp_f32_e32 v42, v41
	v_fma_f32 v43, -v41, v42, 1.0
	v_fmac_f32_e32 v42, v43, v42
	v_div_scale_f32 v43, vcc_lo, 1.0, v40, 1.0
	v_mul_f32_e32 v44, v43, v42
	v_fma_f32 v45, -v41, v44, v43
	v_fmac_f32_e32 v44, v45, v42
	v_fma_f32 v41, -v41, v44, v43
	v_div_fmas_f32 v41, v41, v42, v44
	v_div_fixup_f32 v40, v41, v40, 1.0
	v_mul_f32_e32 v43, v39, v40
	v_lshlrev_b64 v[39:40], 2, v[0:1]
	v_add_nc_u32_e32 v0, s1, v0
	v_add_co_u32 v41, vcc_lo, s10, v39
	v_add_co_ci_u32_e64 v42, null, s11, v40, vcc_lo
	v_add_co_u32 v39, vcc_lo, s12, v39
	v_add_co_ci_u32_e64 v40, null, s13, v40, vcc_lo
	global_load_dword v41, v[41:42], off
	v_min_f32_e32 v42, 0x7cf0bdc2, v43
	s_waitcnt vmcnt(0)
	v_mul_f32_e32 v41, v41, v42
	global_store_dword v[39:40], v41, off
	s_clause 0x2
	global_load_dword v39, v[14:15], off
	global_load_dword v32, v[32:33], off
	;; [unrolled: 1-line block ×3, first 2 shown]
	s_waitcnt vmcnt(2)
	v_mul_f32_e32 v43, v39, v37
	v_lshlrev_b64 v[39:40], 2, v[0:1]
	s_waitcnt vmcnt(0)
	v_mul_f32_e32 v41, v32, v33
	v_add_nc_u32_e32 v0, s2, v0
	v_add_co_u32 v39, vcc_lo, s14, v39
	v_add_co_ci_u32_e64 v40, null, s15, v40, vcc_lo
	global_load_dword v39, v[39:40], off
	s_waitcnt vmcnt(0)
	v_mul_f32_e32 v39, v41, v39
	v_mul_f32_e32 v39, v36, v39
	v_div_scale_f32 v40, null, v39, v39, 1.0
	v_rcp_f32_e32 v41, v40
	v_fma_f32 v42, -v40, v41, 1.0
	v_fmac_f32_e32 v41, v42, v41
	v_div_scale_f32 v42, vcc_lo, 1.0, v39, 1.0
	v_mul_f32_e32 v44, v42, v41
	v_fma_f32 v45, -v40, v44, v42
	v_fmac_f32_e32 v44, v45, v41
	v_fma_f32 v40, -v40, v44, v42
	v_div_fmas_f32 v40, v40, v41, v44
	v_div_fixup_f32 v39, v40, v39, 1.0
	v_mul_f32_e32 v44, v43, v39
	v_lshlrev_b64 v[39:40], 2, v[0:1]
	v_add_nc_u32_e32 v0, s0, v0
	v_add_co_u32 v41, vcc_lo, s10, v39
	v_add_co_ci_u32_e64 v42, null, s11, v40, vcc_lo
	v_add_co_u32 v39, vcc_lo, s12, v39
	v_add_co_ci_u32_e64 v40, null, s13, v40, vcc_lo
	global_load_dword v41, v[41:42], off
	v_min_f32_e32 v42, 0x7cf0bdc2, v44
	s_waitcnt vmcnt(0)
	v_mul_f32_e32 v41, v41, v42
	global_store_dword v[39:40], v41, off
	s_clause 0x3
	global_load_dword v30, v[30:31], off
	global_load_dword v24, v[24:25], off
	;; [unrolled: 1-line block ×4, first 2 shown]
	s_waitcnt vmcnt(2)
	v_mul_f32_e32 v25, v30, v24
	s_waitcnt vmcnt(1)
	v_mul_f32_e32 v19, v18, v37
	;; [unrolled: 2-line block ×3, first 2 shown]
	v_div_scale_f32 v30, null, v25, v25, 1.0
	v_div_scale_f32 v9, null, v8, v8, 1.0
	v_rcp_f32_e32 v31, v30
	v_fma_f32 v39, -v30, v31, 1.0
	v_fmac_f32_e32 v31, v39, v31
	v_div_scale_f32 v39, vcc_lo, 1.0, v25, 1.0
	v_mul_f32_e32 v40, v39, v31
	v_fma_f32 v41, -v30, v40, v39
	v_fmac_f32_e32 v40, v41, v31
	v_fma_f32 v30, -v30, v40, v39
	v_div_fmas_f32 v30, v30, v31, v40
	v_div_fixup_f32 v25, v30, v25, 1.0
	v_lshlrev_b64 v[30:31], 2, v[0:1]
	v_add_nc_u32_e32 v0, s0, v0
	v_mul_f32_e32 v25, v43, v25
	v_add_co_u32 v39, vcc_lo, s10, v30
	v_add_co_ci_u32_e64 v40, null, s11, v31, vcc_lo
	v_min_f32_e32 v25, 0x7cf0bdc2, v25
	v_add_co_u32 v30, vcc_lo, s12, v30
	global_load_dword v39, v[39:40], off
	v_add_co_ci_u32_e64 v31, null, s13, v31, vcc_lo
	s_waitcnt vmcnt(0)
	v_mul_f32_e32 v25, v39, v25
	global_store_dword v[30:31], v25, off
	global_load_dword v25, v[26:27], off
	s_waitcnt vmcnt(0)
	v_mul_f32_e32 v26, v25, v38
	v_div_scale_f32 v27, null, v26, v26, 1.0
	v_rcp_f32_e32 v30, v27
	v_fma_f32 v31, -v27, v30, 1.0
	v_fmac_f32_e32 v30, v31, v30
	v_div_scale_f32 v31, vcc_lo, 1.0, v26, 1.0
	v_mul_f32_e32 v39, v31, v30
	v_fma_f32 v40, -v27, v39, v31
	v_fmac_f32_e32 v39, v40, v30
	v_fma_f32 v27, -v27, v39, v31
	v_div_fmas_f32 v27, v27, v30, v39
	v_div_fixup_f32 v26, v27, v26, 1.0
	v_mul_f32_e32 v39, v43, v26
	v_lshlrev_b64 v[26:27], 2, v[0:1]
	v_add_nc_u32_e32 v0, s0, v0
	v_add_co_u32 v30, vcc_lo, s10, v26
	v_add_co_ci_u32_e64 v31, null, s11, v27, vcc_lo
	v_add_co_u32 v26, vcc_lo, s12, v26
	v_add_co_ci_u32_e64 v27, null, s13, v27, vcc_lo
	global_load_dword v30, v[30:31], off
	v_min_f32_e32 v31, 0x7cf0bdc2, v39
	s_waitcnt vmcnt(0)
	v_mul_f32_e32 v30, v30, v31
	global_store_dword v[26:27], v30, off
	global_load_dword v26, v[34:35], off
	v_mul_f32_e32 v27, v25, v37
	s_waitcnt vmcnt(0)
	v_mul_f32_e32 v30, v26, v38
	v_div_scale_f32 v31, null, v30, v30, 1.0
	v_rcp_f32_e32 v34, v31
	v_fma_f32 v35, -v31, v34, 1.0
	v_fmac_f32_e32 v34, v35, v34
	v_div_scale_f32 v35, vcc_lo, 1.0, v30, 1.0
	v_mul_f32_e32 v39, v35, v34
	v_fma_f32 v40, -v31, v39, v35
	v_fmac_f32_e32 v39, v40, v34
	v_fma_f32 v31, -v31, v39, v35
	v_div_fmas_f32 v31, v31, v34, v39
	v_div_fixup_f32 v30, v31, v30, 1.0
	v_mul_f32_e32 v27, v27, v30
	v_lshlrev_b64 v[30:31], 2, v[0:1]
	v_add_nc_u32_e32 v0, s0, v0
	v_min_f32_e32 v27, 0x7cf0bdc2, v27
	v_add_co_u32 v34, vcc_lo, s10, v30
	v_add_co_ci_u32_e64 v35, null, s11, v31, vcc_lo
	v_add_co_u32 v30, vcc_lo, s12, v30
	v_add_co_ci_u32_e64 v31, null, s13, v31, vcc_lo
	global_load_dword v34, v[34:35], off
	s_waitcnt vmcnt(0)
	v_mul_f32_e32 v27, v34, v27
	global_store_dword v[30:31], v27, off
	v_rcp_f32_e32 v27, v9
	v_fma_f32 v30, -v9, v27, 1.0
	v_fmac_f32_e32 v27, v30, v27
	v_div_scale_f32 v30, vcc_lo, 1.0, v8, 1.0
	v_mul_f32_e32 v31, v30, v27
	v_fma_f32 v34, -v9, v31, v30
	v_fmac_f32_e32 v31, v34, v27
	v_fma_f32 v9, -v9, v31, v30
	v_div_fmas_f32 v9, v9, v27, v31
	v_div_fixup_f32 v8, v9, v8, 1.0
	v_mul_f32_e32 v19, v19, v8
	v_lshlrev_b64 v[8:9], 2, v[0:1]
	v_add_nc_u32_e32 v0, s0, v0
	v_min_f32_e32 v19, 0x7cf0bdc2, v19
	v_add_co_u32 v30, vcc_lo, s10, v8
	v_add_co_ci_u32_e64 v31, null, s11, v9, vcc_lo
	v_add_co_u32 v8, vcc_lo, s12, v8
	v_add_co_ci_u32_e64 v9, null, s13, v9, vcc_lo
	global_load_dword v27, v[30:31], off
	s_waitcnt vmcnt(0)
	v_mul_f32_e32 v19, v27, v19
	global_store_dword v[8:9], v19, off
	global_load_dword v8, v[22:23], off
	v_mul_f32_e32 v9, v33, v37
	s_waitcnt vmcnt(0)
	v_mul_f32_e32 v19, v8, v38
	v_div_scale_f32 v22, null, v19, v19, 1.0
	v_rcp_f32_e32 v23, v22
	v_fma_f32 v27, -v22, v23, 1.0
	v_fmac_f32_e32 v23, v27, v23
	v_div_scale_f32 v27, vcc_lo, 1.0, v19, 1.0
	v_mul_f32_e32 v30, v27, v23
	v_fma_f32 v31, -v22, v30, v27
	v_fmac_f32_e32 v30, v31, v23
	v_fma_f32 v22, -v22, v30, v27
	v_div_fmas_f32 v22, v22, v23, v30
	v_div_fixup_f32 v19, v22, v19, 1.0
	v_lshlrev_b64 v[22:23], 2, v[0:1]
	v_add_nc_u32_e32 v0, s0, v0
	v_mul_f32_e32 v9, v9, v19
	v_add_co_u32 v30, vcc_lo, s10, v22
	v_add_co_ci_u32_e64 v31, null, s11, v23, vcc_lo
	v_min_f32_e32 v9, 0x7cf0bdc2, v9
	v_add_co_u32 v22, vcc_lo, s12, v22
	global_load_dword v19, v[30:31], off
	v_add_co_ci_u32_e64 v23, null, s13, v23, vcc_lo
	s_waitcnt vmcnt(0)
	v_mul_f32_e32 v9, v19, v9
	global_store_dword v[22:23], v9, off
	global_load_dword v9, v[28:29], off
	v_mul_f32_e32 v22, v33, v24
	v_div_scale_f32 v23, null, v22, v22, 1.0
	v_rcp_f32_e32 v27, v23
	v_fma_f32 v28, -v23, v27, 1.0
	v_fmac_f32_e32 v27, v28, v27
	v_div_scale_f32 v28, vcc_lo, 1.0, v22, 1.0
	v_mul_f32_e32 v29, v28, v27
	v_fma_f32 v30, -v23, v29, v28
	v_fmac_f32_e32 v29, v30, v27
	v_fma_f32 v23, -v23, v29, v28
	v_div_fmas_f32 v23, v23, v27, v29
	v_div_fixup_f32 v22, v23, v22, 1.0
	s_waitcnt vmcnt(0)
	v_mul_f32_e32 v19, v32, v9
	v_mul_f32_e32 v29, v19, v22
	v_lshlrev_b64 v[22:23], 2, v[0:1]
	v_add_nc_u32_e32 v0, s0, v0
	v_add_co_u32 v27, vcc_lo, s10, v22
	v_add_co_ci_u32_e64 v28, null, s11, v23, vcc_lo
	v_add_co_u32 v22, vcc_lo, s12, v22
	v_add_co_ci_u32_e64 v23, null, s13, v23, vcc_lo
	global_load_dword v27, v[27:28], off
	v_min_f32_e32 v28, 0x7cf0bdc2, v29
	s_waitcnt vmcnt(0)
	v_mul_f32_e32 v27, v27, v28
	global_store_dword v[22:23], v27, off
	s_clause 0x2
	global_load_dword v13, v[12:13], off
	global_load_dword v12, v[20:21], off
	;; [unrolled: 1-line block ×3, first 2 shown]
	s_waitcnt vmcnt(1)
	v_mul_f32_e32 v13, v13, v12
	s_waitcnt vmcnt(0)
	v_mul_f32_e32 v3, v2, v9
	v_div_scale_f32 v20, null, v13, v13, 1.0
	v_rcp_f32_e32 v21, v20
	v_fma_f32 v22, -v20, v21, 1.0
	v_fmac_f32_e32 v21, v22, v21
	v_div_scale_f32 v22, vcc_lo, 1.0, v13, 1.0
	v_mul_f32_e32 v23, v22, v21
	v_fma_f32 v27, -v20, v23, v22
	v_fmac_f32_e32 v23, v27, v21
	v_fma_f32 v20, -v20, v23, v22
	v_div_fmas_f32 v20, v20, v21, v23
	v_div_fixup_f32 v13, v20, v13, 1.0
	v_mul_f32_e32 v13, v19, v13
	v_lshlrev_b64 v[19:20], 2, v[0:1]
	v_add_nc_u32_e32 v0, s0, v0
	v_min_f32_e32 v13, 0x7cf0bdc2, v13
	v_add_co_u32 v21, vcc_lo, s10, v19
	v_add_co_ci_u32_e64 v22, null, s11, v20, vcc_lo
	v_add_co_u32 v19, vcc_lo, s12, v19
	v_add_co_ci_u32_e64 v20, null, s13, v20, vcc_lo
	global_load_dword v21, v[21:22], off
	s_waitcnt vmcnt(0)
	v_mul_f32_e32 v13, v21, v13
	global_store_dword v[19:20], v13, off
	s_clause 0x1
	global_load_dword v13, v[14:15], off
	global_load_dword v15, v[4:5], off
	s_waitcnt vmcnt(1)
	v_mul_f32_e32 v13, v13, v9
	s_waitcnt vmcnt(0)
	v_mul_f32_e32 v4, v15, v24
	v_div_scale_f32 v5, null, v4, v4, 1.0
	v_rcp_f32_e32 v14, v5
	v_fma_f32 v19, -v5, v14, 1.0
	v_fmac_f32_e32 v14, v19, v14
	v_div_scale_f32 v19, vcc_lo, 1.0, v4, 1.0
	v_mul_f32_e32 v20, v19, v14
	v_fma_f32 v21, -v5, v20, v19
	v_fmac_f32_e32 v20, v21, v14
	v_fma_f32 v5, -v5, v20, v19
	v_div_fmas_f32 v5, v5, v14, v20
	v_div_fixup_f32 v4, v5, v4, 1.0
	v_mul_f32_e32 v19, v13, v4
	v_lshlrev_b64 v[4:5], 2, v[0:1]
	v_add_nc_u32_e32 v0, s0, v0
	v_add_co_u32 v13, vcc_lo, s10, v4
	v_add_co_ci_u32_e64 v14, null, s11, v5, vcc_lo
	v_add_co_u32 v4, vcc_lo, s12, v4
	v_add_co_ci_u32_e64 v5, null, s13, v5, vcc_lo
	global_load_dword v13, v[13:14], off
	v_min_f32_e32 v14, 0x7cf0bdc2, v19
	s_waitcnt vmcnt(0)
	v_mul_f32_e32 v13, v13, v14
	global_store_dword v[4:5], v13, off
	v_mul_f32_e32 v5, v26, v12
	v_mul_f32_e32 v4, v25, v9
	v_div_scale_f32 v13, null, v5, v5, 1.0
	v_rcp_f32_e32 v14, v13
	v_fma_f32 v19, -v13, v14, 1.0
	v_fmac_f32_e32 v14, v19, v14
	v_div_scale_f32 v19, vcc_lo, 1.0, v5, 1.0
	v_mul_f32_e32 v20, v19, v14
	v_fma_f32 v21, -v13, v20, v19
	v_fmac_f32_e32 v20, v21, v14
	v_fma_f32 v13, -v13, v20, v19
	v_div_fmas_f32 v13, v13, v14, v20
	v_div_fixup_f32 v5, v13, v5, 1.0
	v_mul_f32_e32 v19, v4, v5
	v_lshlrev_b64 v[4:5], 2, v[0:1]
	v_add_nc_u32_e32 v0, s0, v0
	v_add_co_u32 v13, vcc_lo, s10, v4
	v_add_co_ci_u32_e64 v14, null, s11, v5, vcc_lo
	v_add_co_u32 v4, vcc_lo, s12, v4
	v_add_co_ci_u32_e64 v5, null, s13, v5, vcc_lo
	global_load_dword v13, v[13:14], off
	v_min_f32_e32 v14, 0x7cf0bdc2, v19
	s_waitcnt vmcnt(0)
	v_mul_f32_e32 v13, v13, v14
	global_store_dword v[4:5], v13, off
	global_load_dword v4, v[16:17], off
	v_mul_f32_e32 v5, v18, v12
	v_div_scale_f32 v13, null, v5, v5, 1.0
	v_rcp_f32_e32 v14, v13
	v_fma_f32 v16, -v13, v14, 1.0
	v_fmac_f32_e32 v14, v16, v14
	v_div_scale_f32 v16, vcc_lo, 1.0, v5, 1.0
	v_mul_f32_e32 v17, v16, v14
	v_fma_f32 v19, -v13, v17, v16
	v_fmac_f32_e32 v17, v19, v14
	v_fma_f32 v13, -v13, v17, v16
	v_div_fmas_f32 v13, v13, v14, v17
	v_div_fixup_f32 v5, v13, v5, 1.0
	s_waitcnt vmcnt(0)
	v_mul_f32_e32 v4, v4, v9
	v_mul_f32_e32 v16, v4, v5
	v_lshlrev_b64 v[4:5], 2, v[0:1]
	v_add_nc_u32_e32 v0, s0, v0
	v_add_co_u32 v13, vcc_lo, s10, v4
	v_add_co_ci_u32_e64 v14, null, s11, v5, vcc_lo
	v_add_co_u32 v4, vcc_lo, s12, v4
	v_add_co_ci_u32_e64 v5, null, s13, v5, vcc_lo
	global_load_dword v13, v[13:14], off
	v_min_f32_e32 v14, 0x7cf0bdc2, v16
	s_waitcnt vmcnt(0)
	v_mul_f32_e32 v13, v13, v14
	global_store_dword v[4:5], v13, off
	v_mul_f32_e32 v5, v25, v15
	v_mul_f32_e32 v4, v18, v9
	;; [unrolled: 1-line block ×4, first 2 shown]
	v_div_scale_f32 v13, null, v5, v5, 1.0
	v_rcp_f32_e32 v14, v13
	v_fma_f32 v15, -v13, v14, 1.0
	v_fmac_f32_e32 v14, v15, v14
	v_div_scale_f32 v15, vcc_lo, 1.0, v5, 1.0
	v_mul_f32_e32 v16, v15, v14
	v_fma_f32 v17, -v13, v16, v15
	v_fmac_f32_e32 v16, v17, v14
	v_fma_f32 v13, -v13, v16, v15
	v_div_fmas_f32 v13, v13, v14, v16
	v_div_fixup_f32 v5, v13, v5, 1.0
	v_mul_f32_e32 v15, v4, v5
	v_lshlrev_b64 v[4:5], 2, v[0:1]
	v_add_nc_u32_e32 v0, s0, v0
	v_add_co_u32 v13, vcc_lo, s10, v4
	v_add_co_ci_u32_e64 v14, null, s11, v5, vcc_lo
	v_add_co_u32 v4, vcc_lo, s12, v4
	v_add_co_ci_u32_e64 v5, null, s13, v5, vcc_lo
	global_load_dword v13, v[13:14], off
	v_min_f32_e32 v14, 0x7cf0bdc2, v15
	s_waitcnt vmcnt(0)
	v_mul_f32_e32 v13, v13, v14
	global_store_dword v[4:5], v13, off
	v_mul_f32_e32 v4, v8, v12
	v_div_scale_f32 v5, null, v4, v4, 1.0
	v_rcp_f32_e32 v8, v5
	v_fma_f32 v9, -v5, v8, 1.0
	v_fmac_f32_e32 v8, v9, v8
	v_div_scale_f32 v9, vcc_lo, 1.0, v4, 1.0
	v_mul_f32_e32 v12, v9, v8
	v_fma_f32 v13, -v5, v12, v9
	v_fmac_f32_e32 v12, v13, v8
	v_fma_f32 v5, -v5, v12, v9
	v_div_fmas_f32 v5, v5, v8, v12
	v_div_fixup_f32 v4, v5, v4, 1.0
	v_mul_f32_e32 v5, v3, v4
	v_lshlrev_b64 v[3:4], 2, v[0:1]
	v_add_nc_u32_e32 v0, s0, v0
	v_min_f32_e32 v5, 0x7cf0bdc2, v5
	v_add_co_u32 v8, vcc_lo, s10, v3
	v_add_co_ci_u32_e64 v9, null, s11, v4, vcc_lo
	v_add_co_u32 v3, vcc_lo, s12, v3
	v_add_co_ci_u32_e64 v4, null, s13, v4, vcc_lo
	global_load_dword v8, v[8:9], off
	v_lshlrev_b64 v[0:1], 2, v[0:1]
	s_waitcnt vmcnt(0)
	v_mul_f32_e32 v5, v8, v5
	global_store_dword v[3:4], v5, off
	s_clause 0x1
	global_load_dword v3, v[10:11], off
	global_load_dword v4, v[6:7], off
	s_waitcnt vmcnt(1)
	v_mul_f32_e32 v3, v3, v24
	s_waitcnt vmcnt(0)
	v_mul_f32_e32 v2, v2, v4
	v_div_scale_f32 v4, null, v2, v2, 1.0
	v_rcp_f32_e32 v5, v4
	v_fma_f32 v6, -v4, v5, 1.0
	v_fmac_f32_e32 v5, v6, v5
	v_div_scale_f32 v6, vcc_lo, 1.0, v2, 1.0
	v_mul_f32_e32 v7, v6, v5
	v_fma_f32 v8, -v4, v7, v6
	v_fmac_f32_e32 v7, v8, v5
	v_fma_f32 v4, -v4, v7, v6
	v_div_fmas_f32 v4, v4, v5, v7
	v_div_fixup_f32 v2, v4, v2, 1.0
	v_mul_f32_e32 v2, v3, v2
	v_add_co_u32 v3, vcc_lo, s10, v0
	v_add_co_ci_u32_e64 v4, null, s11, v1, vcc_lo
	v_min_f32_e32 v2, 0x7cf0bdc2, v2
	v_add_co_u32 v0, vcc_lo, s12, v0
	global_load_dword v3, v[3:4], off
	v_add_co_ci_u32_e64 v1, null, s13, v1, vcc_lo
	s_waitcnt vmcnt(0)
	v_mul_f32_e32 v2, v3, v2
	global_store_dword v[0:1], v2, off
	s_endpgm
	.section	.rodata,"a",@progbits
	.p2align	6, 0x0
	.amdhsa_kernel _Z12ratt9_kernelIfEvPKT_S2_PS0_S2_S0_
		.amdhsa_group_segment_fixed_size 0
		.amdhsa_private_segment_fixed_size 0
		.amdhsa_kernarg_size 296
		.amdhsa_user_sgpr_count 6
		.amdhsa_user_sgpr_private_segment_buffer 1
		.amdhsa_user_sgpr_dispatch_ptr 0
		.amdhsa_user_sgpr_queue_ptr 0
		.amdhsa_user_sgpr_kernarg_segment_ptr 1
		.amdhsa_user_sgpr_dispatch_id 0
		.amdhsa_user_sgpr_flat_scratch_init 0
		.amdhsa_user_sgpr_private_segment_size 0
		.amdhsa_wavefront_size32 1
		.amdhsa_uses_dynamic_stack 0
		.amdhsa_system_sgpr_private_segment_wavefront_offset 0
		.amdhsa_system_sgpr_workgroup_id_x 1
		.amdhsa_system_sgpr_workgroup_id_y 0
		.amdhsa_system_sgpr_workgroup_id_z 0
		.amdhsa_system_sgpr_workgroup_info 0
		.amdhsa_system_vgpr_workitem_id 0
		.amdhsa_next_free_vgpr 50
		.amdhsa_next_free_sgpr 16
		.amdhsa_reserve_vcc 1
		.amdhsa_reserve_flat_scratch 0
		.amdhsa_float_round_mode_32 0
		.amdhsa_float_round_mode_16_64 0
		.amdhsa_float_denorm_mode_32 3
		.amdhsa_float_denorm_mode_16_64 3
		.amdhsa_dx10_clamp 1
		.amdhsa_ieee_mode 1
		.amdhsa_fp16_overflow 0
		.amdhsa_workgroup_processor_mode 1
		.amdhsa_memory_ordered 1
		.amdhsa_forward_progress 1
		.amdhsa_shared_vgpr_count 0
		.amdhsa_exception_fp_ieee_invalid_op 0
		.amdhsa_exception_fp_denorm_src 0
		.amdhsa_exception_fp_ieee_div_zero 0
		.amdhsa_exception_fp_ieee_overflow 0
		.amdhsa_exception_fp_ieee_underflow 0
		.amdhsa_exception_fp_ieee_inexact 0
		.amdhsa_exception_int_div_zero 0
	.end_amdhsa_kernel
	.section	.text._Z12ratt9_kernelIfEvPKT_S2_PS0_S2_S0_,"axG",@progbits,_Z12ratt9_kernelIfEvPKT_S2_PS0_S2_S0_,comdat
.Lfunc_end10:
	.size	_Z12ratt9_kernelIfEvPKT_S2_PS0_S2_S0_, .Lfunc_end10-_Z12ratt9_kernelIfEvPKT_S2_PS0_S2_S0_
                                        ; -- End function
	.set _Z12ratt9_kernelIfEvPKT_S2_PS0_S2_S0_.num_vgpr, 50
	.set _Z12ratt9_kernelIfEvPKT_S2_PS0_S2_S0_.num_agpr, 0
	.set _Z12ratt9_kernelIfEvPKT_S2_PS0_S2_S0_.numbered_sgpr, 16
	.set _Z12ratt9_kernelIfEvPKT_S2_PS0_S2_S0_.num_named_barrier, 0
	.set _Z12ratt9_kernelIfEvPKT_S2_PS0_S2_S0_.private_seg_size, 0
	.set _Z12ratt9_kernelIfEvPKT_S2_PS0_S2_S0_.uses_vcc, 1
	.set _Z12ratt9_kernelIfEvPKT_S2_PS0_S2_S0_.uses_flat_scratch, 0
	.set _Z12ratt9_kernelIfEvPKT_S2_PS0_S2_S0_.has_dyn_sized_stack, 0
	.set _Z12ratt9_kernelIfEvPKT_S2_PS0_S2_S0_.has_recursion, 0
	.set _Z12ratt9_kernelIfEvPKT_S2_PS0_S2_S0_.has_indirect_call, 0
	.section	.AMDGPU.csdata,"",@progbits
; Kernel info:
; codeLenInByte = 6660
; TotalNumSgprs: 18
; NumVgprs: 50
; ScratchSize: 0
; MemoryBound: 0
; FloatMode: 240
; IeeeMode: 1
; LDSByteSize: 0 bytes/workgroup (compile time only)
; SGPRBlocks: 0
; VGPRBlocks: 6
; NumSGPRsForWavesPerEU: 18
; NumVGPRsForWavesPerEU: 50
; Occupancy: 16
; WaveLimiterHint : 0
; COMPUTE_PGM_RSRC2:SCRATCH_EN: 0
; COMPUTE_PGM_RSRC2:USER_SGPR: 6
; COMPUTE_PGM_RSRC2:TRAP_HANDLER: 0
; COMPUTE_PGM_RSRC2:TGID_X_EN: 1
; COMPUTE_PGM_RSRC2:TGID_Y_EN: 0
; COMPUTE_PGM_RSRC2:TGID_Z_EN: 0
; COMPUTE_PGM_RSRC2:TIDIG_COMP_CNT: 0
	.section	.text._Z13ratt10_kernelIfEvPKT_PS0_S0_,"axG",@progbits,_Z13ratt10_kernelIfEvPKT_PS0_S0_,comdat
	.protected	_Z13ratt10_kernelIfEvPKT_PS0_S0_ ; -- Begin function _Z13ratt10_kernelIfEvPKT_PS0_S0_
	.globl	_Z13ratt10_kernelIfEvPKT_PS0_S0_
	.p2align	8
	.type	_Z13ratt10_kernelIfEvPKT_PS0_S0_,@function
_Z13ratt10_kernelIfEvPKT_PS0_S0_:       ; @_Z13ratt10_kernelIfEvPKT_PS0_S0_
; %bb.0:
	s_clause 0x3
	s_load_dwordx4 s[0:3], s[4:5], 0x0
	s_load_dword s7, s[4:5], 0x10
	s_load_dword s8, s[4:5], 0x18
	;; [unrolled: 1-line block ×3, first 2 shown]
	s_waitcnt lgkmcnt(0)
	s_and_b32 s4, s4, 0xffff
	v_mad_u64_u32 v[0:1], null, s6, s4, v[0:1]
	v_mov_b32_e32 v1, 0
	v_lshlrev_b64 v[4:5], 2, v[0:1]
	v_add_co_u32 v2, vcc_lo, s0, v4
	v_add_co_ci_u32_e64 v3, null, s1, v5, vcc_lo
	s_mov_b32 s1, 0xc06f5c29
	global_load_dword v2, v[2:3], off
	s_waitcnt vmcnt(0)
	v_mul_f32_e32 v3, s7, v2
	v_cmp_gt_f32_e32 vcc_lo, 0x800000, v3
	v_div_scale_f32 v7, null, v3, v3, 1.0
	v_cndmask_b32_e64 v2, 0, 32, vcc_lo
	v_rcp_f32_e32 v8, v7
	v_ldexp_f32 v2, v3, v2
	v_log_f32_e32 v2, v2
	v_fma_f32 v9, -v7, v8, 1.0
	v_fmac_f32_e32 v8, v9, v8
	v_mul_f32_e32 v6, 0x3f317217, v2
	v_cmp_gt_f32_e64 s0, 0x7f800000, |v2|
	v_fma_f32 v6, 0x3f317217, v2, -v6
	v_fmamk_f32 v6, v2, 0x3377d1cf, v6
	v_fmac_f32_e32 v6, 0x3f317217, v2
	v_cndmask_b32_e64 v2, v2, v6, s0
	v_cndmask_b32_e64 v6, 0, 0x41b17218, vcc_lo
	v_div_scale_f32 v9, vcc_lo, 1.0, v3, 1.0
	s_mov_b32 s0, 0xbf666666
	v_sub_f32_e32 v2, v2, v6
	v_mul_f32_e32 v10, v9, v8
	v_fmaak_f32 v6, s0, v2, 0x42291e26
	v_fma_f32 v11, -v7, v10, v9
	s_mov_b32 s0, 0xc05ae148
	v_fmac_f32_e32 v10, v11, v8
	v_fma_f32 v7, -v7, v10, v9
	v_div_fmas_f32 v7, v7, v8, v10
	v_div_fixup_f32 v3, v7, v3, 1.0
	v_fmamk_f32 v6, v3, 0x4455ddf9, v6
	v_mul_f32_e32 v7, 0x3fb8aa3b, v6
	v_cmp_ngt_f32_e32 vcc_lo, 0xc2ce8ed0, v6
	v_fma_f32 v8, 0x3fb8aa3b, v6, -v7
	v_rndne_f32_e32 v9, v7
	v_fmac_f32_e32 v8, 0x32a5705f, v6
	v_sub_f32_e32 v7, v7, v9
	v_add_f32_e32 v7, v7, v8
	v_cvt_i32_f32_e32 v8, v9
	v_exp_f32_e32 v7, v7
	v_ldexp_f32 v7, v7, v8
	v_cndmask_b32_e32 v7, 0, v7, vcc_lo
	v_cmp_nlt_f32_e32 vcc_lo, 0x42b17218, v6
	v_cndmask_b32_e32 v6, 0x7f800000, v7, vcc_lo
	v_add_co_u32 v4, vcc_lo, s2, v4
	v_add_co_ci_u32_e64 v5, null, s3, v5, vcc_lo
	global_store_dword v[4:5], v6, off
	v_fmaak_f32 v4, s0, v2, 0x427f2c2c
	s_mul_i32 s0, s8, s4
	v_add_nc_u32_e32 v0, s0, v0
	v_fmamk_f32 v4, v3, 0xc725ce53, v4
	v_mul_f32_e32 v5, 0x3fb8aa3b, v4
	v_cmp_ngt_f32_e32 vcc_lo, 0xc2ce8ed0, v4
	v_fma_f32 v6, 0x3fb8aa3b, v4, -v5
	v_rndne_f32_e32 v7, v5
	v_fmac_f32_e32 v6, 0x32a5705f, v4
	v_sub_f32_e32 v5, v5, v7
	v_add_f32_e32 v5, v5, v6
	v_cvt_i32_f32_e32 v6, v7
	v_exp_f32_e32 v5, v5
	v_ldexp_f32 v5, v5, v6
	v_cndmask_b32_e32 v5, 0, v5, vcc_lo
	v_cmp_nlt_f32_e32 vcc_lo, 0x42b17218, v4
	v_cndmask_b32_e32 v6, 0x7f800000, v5, vcc_lo
	v_lshlrev_b64 v[4:5], 2, v[0:1]
	v_add_nc_u32_e32 v0, s0, v0
	v_add_co_u32 v4, vcc_lo, s2, v4
	v_add_co_ci_u32_e64 v5, null, s3, v5, vcc_lo
	global_store_dword v[4:5], v6, off
	v_fmaak_f32 v4, s1, v2, 0x4282ec81
	s_mov_b32 s1, 0xc0247ae1
	v_fmamk_f32 v4, v3, 0xc4738e8f, v4
	v_mul_f32_e32 v5, 0x3fb8aa3b, v4
	v_cmp_ngt_f32_e32 vcc_lo, 0xc2ce8ed0, v4
	v_fma_f32 v6, 0x3fb8aa3b, v4, -v5
	v_rndne_f32_e32 v7, v5
	v_fmac_f32_e32 v6, 0x32a5705f, v4
	v_sub_f32_e32 v5, v5, v7
	v_add_f32_e32 v5, v5, v6
	v_cvt_i32_f32_e32 v6, v7
	v_exp_f32_e32 v5, v5
	v_ldexp_f32 v5, v5, v6
	v_cndmask_b32_e32 v5, 0, v5, vcc_lo
	v_cmp_nlt_f32_e32 vcc_lo, 0x42b17218, v4
	v_cndmask_b32_e32 v6, 0x7f800000, v5, vcc_lo
	v_lshlrev_b64 v[4:5], 2, v[0:1]
	v_add_nc_u32_e32 v0, s0, v0
	v_add_co_u32 v4, vcc_lo, s2, v4
	v_add_co_ci_u32_e64 v5, null, s3, v5, vcc_lo
	global_store_dword v[4:5], v6, off
	v_fmaak_f32 v4, s1, v2, 0x425e3fa3
	s_mov_b32 s1, 0xc048f5c3
	v_fmamk_f32 v4, v3, 0xc433455c, v4
	v_mul_f32_e32 v5, 0x3fb8aa3b, v4
	v_cmp_ngt_f32_e32 vcc_lo, 0xc2ce8ed0, v4
	v_fma_f32 v6, 0x3fb8aa3b, v4, -v5
	v_rndne_f32_e32 v7, v5
	v_fmac_f32_e32 v6, 0x32a5705f, v4
	v_sub_f32_e32 v5, v5, v7
	v_add_f32_e32 v5, v5, v6
	v_cvt_i32_f32_e32 v6, v7
	v_exp_f32_e32 v5, v5
	v_ldexp_f32 v5, v5, v6
	v_cndmask_b32_e32 v5, 0, v5, vcc_lo
	v_cmp_nlt_f32_e32 vcc_lo, 0x42b17218, v4
	v_cndmask_b32_e32 v6, 0x7f800000, v5, vcc_lo
	v_lshlrev_b64 v[4:5], 2, v[0:1]
	v_add_nc_u32_e32 v0, s0, v0
	v_add_co_u32 v4, vcc_lo, s2, v4
	v_add_co_ci_u32_e64 v5, null, s3, v5, vcc_lo
	global_store_dword v[4:5], v6, off
	v_fmaak_f32 v4, s1, v2, 0x427d54f0
	s_mov_b32 s1, 0xc0a3851f
	v_fmamk_f32 v4, v3, 0xc41abd37, v4
	v_mul_f32_e32 v5, 0x3fb8aa3b, v4
	v_cmp_ngt_f32_e32 vcc_lo, 0xc2ce8ed0, v4
	v_fma_f32 v6, 0x3fb8aa3b, v4, -v5
	v_rndne_f32_e32 v7, v5
	v_fmac_f32_e32 v6, 0x32a5705f, v4
	v_sub_f32_e32 v5, v5, v7
	v_add_f32_e32 v5, v5, v6
	v_cvt_i32_f32_e32 v6, v7
	v_exp_f32_e32 v5, v5
	v_ldexp_f32 v5, v5, v6
	v_cndmask_b32_e32 v5, 0, v5, vcc_lo
	v_cmp_nlt_f32_e32 vcc_lo, 0x42b17218, v4
	v_cndmask_b32_e32 v6, 0x7f800000, v5, vcc_lo
	v_lshlrev_b64 v[4:5], 2, v[0:1]
	v_add_nc_u32_e32 v0, s0, v0
	v_add_co_u32 v4, vcc_lo, s2, v4
	v_add_co_ci_u32_e64 v5, null, s3, v5, vcc_lo
	global_store_dword v[4:5], v6, off
	v_fmaak_f32 v4, s1, v2, 0x4299f31f
	s_mov_b32 s1, 0xc099999a
	v_fmamk_f32 v4, v3, 0xc55f2528, v4
	v_mul_f32_e32 v5, 0x3fb8aa3b, v4
	v_cmp_ngt_f32_e32 vcc_lo, 0xc2ce8ed0, v4
	v_fma_f32 v6, 0x3fb8aa3b, v4, -v5
	v_rndne_f32_e32 v7, v5
	v_fmac_f32_e32 v6, 0x32a5705f, v4
	v_sub_f32_e32 v5, v5, v7
	v_add_f32_e32 v5, v5, v6
	v_cvt_i32_f32_e32 v6, v7
	v_exp_f32_e32 v5, v5
	v_ldexp_f32 v5, v5, v6
	v_cndmask_b32_e32 v5, 0, v5, vcc_lo
	v_cmp_nlt_f32_e32 vcc_lo, 0x42b17218, v4
	v_cndmask_b32_e32 v6, 0x7f800000, v5, vcc_lo
	v_lshlrev_b64 v[4:5], 2, v[0:1]
	v_add_nc_u32_e32 v0, s0, v0
	v_add_co_u32 v4, vcc_lo, s2, v4
	v_add_co_ci_u32_e64 v5, null, s3, v5, vcc_lo
	global_store_dword v[4:5], v6, off
	v_fmaak_f32 v4, s1, v2, 0x428bbb66
	s_mov_b32 s1, 0xc09851ec
	v_fmamk_f32 v4, v3, 0xc52ede28, v4
	v_mul_f32_e32 v5, 0x3fb8aa3b, v4
	v_cmp_ngt_f32_e32 vcc_lo, 0xc2ce8ed0, v4
	v_fma_f32 v6, 0x3fb8aa3b, v4, -v5
	v_rndne_f32_e32 v7, v5
	v_fmac_f32_e32 v6, 0x32a5705f, v4
	v_sub_f32_e32 v5, v5, v7
	v_add_f32_e32 v5, v5, v6
	v_cvt_i32_f32_e32 v6, v7
	v_exp_f32_e32 v5, v5
	v_ldexp_f32 v5, v5, v6
	v_cndmask_b32_e32 v5, 0, v5, vcc_lo
	v_cmp_nlt_f32_e32 vcc_lo, 0x42b17218, v4
	v_cndmask_b32_e32 v6, 0x7f800000, v5, vcc_lo
	v_lshlrev_b64 v[4:5], 2, v[0:1]
	v_add_nc_u32_e32 v0, s0, v0
	v_add_co_u32 v4, vcc_lo, s2, v4
	v_add_co_ci_u32_e64 v5, null, s3, v5, vcc_lo
	global_store_dword v[4:5], v6, off
	v_fmaak_f32 v4, s1, v2, 0x4299c8e3
	s_mov_b32 s1, 0xc1196873
	v_fmamk_f32 v4, v3, 0xc4997b28, v4
	v_mul_f32_e32 v5, 0x3fb8aa3b, v4
	v_cmp_ngt_f32_e32 vcc_lo, 0xc2ce8ed0, v4
	v_fma_f32 v6, 0x3fb8aa3b, v4, -v5
	v_rndne_f32_e32 v7, v5
	v_fmac_f32_e32 v6, 0x32a5705f, v4
	v_sub_f32_e32 v5, v5, v7
	v_add_f32_e32 v5, v5, v6
	v_cvt_i32_f32_e32 v6, v7
	v_exp_f32_e32 v5, v5
	v_ldexp_f32 v5, v5, v6
	v_cndmask_b32_e32 v5, 0, v5, vcc_lo
	v_cmp_nlt_f32_e32 vcc_lo, 0x42b17218, v4
	v_cndmask_b32_e32 v6, 0x7f800000, v5, vcc_lo
	v_lshlrev_b64 v[4:5], 2, v[0:1]
	v_add_nc_u32_e32 v0, s0, v0
	v_add_co_u32 v4, vcc_lo, s2, v4
	v_add_co_ci_u32_e64 v5, null, s3, v5, vcc_lo
	global_store_dword v[4:5], v6, off
	v_fmaak_f32 v4, s1, v2, 0x42dea006
	s_mov_b32 s1, 0xc11ab852
	v_fmamk_f32 v4, v3, 0xc520667b, v4
	v_mul_f32_e32 v5, 0x3fb8aa3b, v4
	v_cmp_ngt_f32_e32 vcc_lo, 0xc2ce8ed0, v4
	v_fma_f32 v6, 0x3fb8aa3b, v4, -v5
	v_rndne_f32_e32 v7, v5
	v_fmac_f32_e32 v6, 0x32a5705f, v4
	v_sub_f32_e32 v5, v5, v7
	v_add_f32_e32 v5, v5, v6
	v_cvt_i32_f32_e32 v6, v7
	v_exp_f32_e32 v5, v5
	v_ldexp_f32 v5, v5, v6
	v_cndmask_b32_e32 v5, 0, v5, vcc_lo
	v_cmp_nlt_f32_e32 vcc_lo, 0x42b17218, v4
	v_cndmask_b32_e32 v6, 0x7f800000, v5, vcc_lo
	v_lshlrev_b64 v[4:5], 2, v[0:1]
	v_add_nc_u32_e32 v0, s0, v0
	v_add_co_u32 v4, vcc_lo, s2, v4
	v_add_co_ci_u32_e64 v5, null, s3, v5, vcc_lo
	global_store_dword v[4:5], v6, off
	v_fmaak_f32 v4, s1, v2, 0x42e76685
	s_mov_b32 s1, 0xbf23d70a
	v_fmamk_f32 v4, v3, 0xc543a01f, v4
	v_mul_f32_e32 v5, 0x3fb8aa3b, v4
	v_cmp_ngt_f32_e32 vcc_lo, 0xc2ce8ed0, v4
	v_fma_f32 v6, 0x3fb8aa3b, v4, -v5
	v_rndne_f32_e32 v7, v5
	v_fmac_f32_e32 v6, 0x32a5705f, v4
	v_sub_f32_e32 v5, v5, v7
	v_add_f32_e32 v5, v5, v6
	v_cvt_i32_f32_e32 v6, v7
	v_exp_f32_e32 v5, v5
	v_ldexp_f32 v5, v5, v6
	v_cndmask_b32_e32 v5, 0, v5, vcc_lo
	v_cmp_nlt_f32_e32 vcc_lo, 0x42b17218, v4
	v_cndmask_b32_e32 v6, 0x7f800000, v5, vcc_lo
	v_lshlrev_b64 v[4:5], 2, v[0:1]
	v_add_nc_u32_e32 v0, s0, v0
	v_add_co_u32 v4, vcc_lo, s2, v4
	v_add_co_ci_u32_e64 v5, null, s3, v5, vcc_lo
	global_store_dword v[4:5], v6, off
	v_fmaak_f32 v4, s1, v2, 0x420dbd4d
	s_mov_b32 s1, 0xc059999a
	v_fmamk_f32 v4, v3, 0xc6c363bd, v4
	v_mul_f32_e32 v5, 0x3fb8aa3b, v4
	v_cmp_ngt_f32_e32 vcc_lo, 0xc2ce8ed0, v4
	v_fma_f32 v6, 0x3fb8aa3b, v4, -v5
	v_rndne_f32_e32 v7, v5
	v_fmac_f32_e32 v6, 0x32a5705f, v4
	v_sub_f32_e32 v5, v5, v7
	v_add_f32_e32 v5, v5, v6
	v_cvt_i32_f32_e32 v6, v7
	v_exp_f32_e32 v5, v5
	v_ldexp_f32 v5, v5, v6
	v_cndmask_b32_e32 v5, 0, v5, vcc_lo
	v_cmp_nlt_f32_e32 vcc_lo, 0x42b17218, v4
	v_cndmask_b32_e32 v6, 0x7f800000, v5, vcc_lo
	v_lshlrev_b64 v[4:5], 2, v[0:1]
	v_add_nc_u32_e32 v0, s0, v0
	v_add_co_u32 v4, vcc_lo, s2, v4
	v_add_co_ci_u32_e64 v5, null, s3, v5, vcc_lo
	global_store_dword v[4:5], v6, off
	v_fmaak_f32 v4, s1, v2, 0x427c7270
	s_mov_b32 s1, 0xc0f47ae1
	v_fmamk_f32 v4, v3, 0xc68cbd06, v4
	v_mul_f32_e32 v5, 0x3fb8aa3b, v4
	v_cmp_ngt_f32_e32 vcc_lo, 0xc2ce8ed0, v4
	v_fma_f32 v6, 0x3fb8aa3b, v4, -v5
	v_rndne_f32_e32 v7, v5
	v_fmac_f32_e32 v6, 0x32a5705f, v4
	v_sub_f32_e32 v5, v5, v7
	v_add_f32_e32 v5, v5, v6
	v_cvt_i32_f32_e32 v6, v7
	v_exp_f32_e32 v5, v5
	v_ldexp_f32 v5, v5, v6
	v_cndmask_b32_e32 v5, 0, v5, vcc_lo
	v_cmp_nlt_f32_e32 vcc_lo, 0x42b17218, v4
	v_cndmask_b32_e32 v6, 0x7f800000, v5, vcc_lo
	v_lshlrev_b64 v[4:5], 2, v[0:1]
	v_add_nc_u32_e32 v0, s0, v0
	v_add_co_u32 v4, vcc_lo, s2, v4
	v_add_co_ci_u32_e64 v5, null, s3, v5, vcc_lo
	global_store_dword v[4:5], v6, off
	v_fmaak_f32 v4, s1, v2, 0x42bf7b63
	s_mov_b32 s1, 0xc0770a3d
	v_fmamk_f32 v4, v3, 0xc5bb223a, v4
	v_mul_f32_e32 v5, 0x3fb8aa3b, v4
	v_cmp_ngt_f32_e32 vcc_lo, 0xc2ce8ed0, v4
	v_fma_f32 v6, 0x3fb8aa3b, v4, -v5
	v_rndne_f32_e32 v7, v5
	v_fmac_f32_e32 v6, 0x32a5705f, v4
	v_sub_f32_e32 v5, v5, v7
	v_add_f32_e32 v5, v5, v6
	v_cvt_i32_f32_e32 v6, v7
	v_exp_f32_e32 v5, v5
	v_ldexp_f32 v5, v5, v6
	v_cndmask_b32_e32 v5, 0, v5, vcc_lo
	v_cmp_nlt_f32_e32 vcc_lo, 0x42b17218, v4
	v_cndmask_b32_e32 v6, 0x7f800000, v5, vcc_lo
	v_lshlrev_b64 v[4:5], 2, v[0:1]
	v_add_nc_u32_e32 v0, s0, v0
	v_add_co_u32 v4, vcc_lo, s2, v4
	v_add_co_ci_u32_e64 v5, null, s3, v5, vcc_lo
	global_store_dword v[4:5], v6, off
	v_fmaak_f32 v4, s1, v2, 0x428ad3fb
	s_mov_b32 s1, 0xc13f0a3d
	v_fmamk_f32 v4, v3, 0xc4d0d5bd, v4
	v_mul_f32_e32 v5, 0x3fb8aa3b, v4
	v_cmp_ngt_f32_e32 vcc_lo, 0xc2ce8ed0, v4
	v_fma_f32 v6, 0x3fb8aa3b, v4, -v5
	v_rndne_f32_e32 v7, v5
	v_fmac_f32_e32 v6, 0x32a5705f, v4
	v_sub_f32_e32 v5, v5, v7
	v_add_f32_e32 v5, v5, v6
	v_cvt_i32_f32_e32 v6, v7
	v_exp_f32_e32 v5, v5
	v_ldexp_f32 v5, v5, v6
	v_cndmask_b32_e32 v5, 0, v5, vcc_lo
	v_cmp_nlt_f32_e32 vcc_lo, 0x42b17218, v4
	v_cndmask_b32_e32 v6, 0x7f800000, v5, vcc_lo
	v_lshlrev_b64 v[4:5], 2, v[0:1]
	v_add_nc_u32_e32 v0, s0, v0
	v_add_co_u32 v4, vcc_lo, s2, v4
	v_add_co_ci_u32_e64 v5, null, s3, v5, vcc_lo
	global_store_dword v[4:5], v6, off
	v_fmaak_f32 v4, s1, v2, 0x43070066
	s_mov_b32 s1, 0xc0e98106
	v_fmamk_f32 v4, v3, 0xc599a29c, v4
	v_mul_f32_e32 v5, 0x3fb8aa3b, v4
	v_cmp_ngt_f32_e32 vcc_lo, 0xc2ce8ed0, v4
	v_fma_f32 v6, 0x3fb8aa3b, v4, -v5
	v_rndne_f32_e32 v7, v5
	v_fmac_f32_e32 v6, 0x32a5705f, v4
	v_sub_f32_e32 v5, v5, v7
	v_add_f32_e32 v5, v5, v6
	v_cvt_i32_f32_e32 v6, v7
	v_exp_f32_e32 v5, v5
	v_ldexp_f32 v5, v5, v6
	v_cndmask_b32_e32 v5, 0, v5, vcc_lo
	v_cmp_nlt_f32_e32 vcc_lo, 0x42b17218, v4
	v_cndmask_b32_e32 v6, 0x7f800000, v5, vcc_lo
	v_lshlrev_b64 v[4:5], 2, v[0:1]
	v_add_nc_u32_e32 v0, s0, v0
	v_add_co_u32 v4, vcc_lo, s2, v4
	v_add_co_ci_u32_e64 v5, null, s3, v5, vcc_lo
	global_store_dword v[4:5], v6, off
	v_fmaak_f32 v4, s1, v2, 0x42b6e622
	s_mov_b32 s1, 0xc114f5c3
	v_fmamk_f32 v4, v3, 0xc513d1e5, v4
	v_mul_f32_e32 v5, 0x3fb8aa3b, v4
	v_cmp_ngt_f32_e32 vcc_lo, 0xc2ce8ed0, v4
	v_fma_f32 v6, 0x3fb8aa3b, v4, -v5
	v_rndne_f32_e32 v7, v5
	v_fmac_f32_e32 v6, 0x32a5705f, v4
	v_sub_f32_e32 v5, v5, v7
	v_add_f32_e32 v5, v5, v6
	v_cvt_i32_f32_e32 v6, v7
	v_exp_f32_e32 v5, v5
	v_ldexp_f32 v5, v5, v6
	v_cndmask_b32_e32 v5, 0, v5, vcc_lo
	v_cmp_nlt_f32_e32 vcc_lo, 0x42b17218, v4
	v_cndmask_b32_e32 v6, 0x7f800000, v5, vcc_lo
	v_lshlrev_b64 v[4:5], 2, v[0:1]
	v_add_nc_u32_e32 v0, s0, v0
	v_add_co_u32 v4, vcc_lo, s2, v4
	v_add_co_ci_u32_e64 v5, null, s3, v5, vcc_lo
	global_store_dword v[4:5], v6, off
	v_fmaak_f32 v4, s1, v2, 0x42ea267c
	s_mov_b32 s1, 0xc0f3d70a
	v_fmamk_f32 v4, v3, 0xc7444b37, v4
	v_mul_f32_e32 v5, 0x3fb8aa3b, v4
	v_cmp_ngt_f32_e32 vcc_lo, 0xc2ce8ed0, v4
	v_fma_f32 v6, 0x3fb8aa3b, v4, -v5
	v_rndne_f32_e32 v7, v5
	v_fmac_f32_e32 v6, 0x32a5705f, v4
	v_sub_f32_e32 v5, v5, v7
	v_add_f32_e32 v5, v5, v6
	v_cvt_i32_f32_e32 v6, v7
	v_exp_f32_e32 v5, v5
	v_ldexp_f32 v5, v5, v6
	v_cndmask_b32_e32 v5, 0, v5, vcc_lo
	v_cmp_nlt_f32_e32 vcc_lo, 0x42b17218, v4
	v_cndmask_b32_e32 v6, 0x7f800000, v5, vcc_lo
	v_lshlrev_b64 v[4:5], 2, v[0:1]
	v_add_nc_u32_e32 v0, s0, v0
	v_add_co_u32 v4, vcc_lo, s2, v4
	v_add_co_ci_u32_e64 v5, null, s3, v5, vcc_lo
	global_store_dword v[4:5], v6, off
	v_fmaak_f32 v4, s1, v2, 0x42c1c823
	s_mov_b32 s1, 0xc0e28f5c
	v_fmamk_f32 v4, v3, 0xc55b36b9, v4
	v_mul_f32_e32 v5, 0x3fb8aa3b, v4
	v_cmp_ngt_f32_e32 vcc_lo, 0xc2ce8ed0, v4
	v_fma_f32 v6, 0x3fb8aa3b, v4, -v5
	v_rndne_f32_e32 v7, v5
	v_fmac_f32_e32 v6, 0x32a5705f, v4
	v_sub_f32_e32 v5, v5, v7
	v_add_f32_e32 v5, v5, v6
	v_cvt_i32_f32_e32 v6, v7
	v_exp_f32_e32 v5, v5
	v_ldexp_f32 v5, v5, v6
	v_cndmask_b32_e32 v5, 0, v5, vcc_lo
	v_cmp_nlt_f32_e32 vcc_lo, 0x42b17218, v4
	v_cndmask_b32_e32 v6, 0x7f800000, v5, vcc_lo
	v_lshlrev_b64 v[4:5], 2, v[0:1]
	v_add_nc_u32_e32 v0, s0, v0
	v_add_co_u32 v4, vcc_lo, s2, v4
	v_add_co_ci_u32_e64 v5, null, s3, v5, vcc_lo
	global_store_dword v[4:5], v6, off
	v_fmaak_f32 v4, s1, v2, 0x42be3031
	s_mov_b32 s1, 0xc1400000
	v_fmamk_f32 v4, v3, 0xc552400e, v4
	v_mul_f32_e32 v5, 0x3fb8aa3b, v4
	v_cmp_ngt_f32_e32 vcc_lo, 0xc2ce8ed0, v4
	v_fma_f32 v6, 0x3fb8aa3b, v4, -v5
	v_rndne_f32_e32 v7, v5
	v_fmac_f32_e32 v6, 0x32a5705f, v4
	v_sub_f32_e32 v5, v5, v7
	v_add_f32_e32 v5, v5, v6
	v_cvt_i32_f32_e32 v6, v7
	v_exp_f32_e32 v5, v5
	v_ldexp_f32 v5, v5, v6
	v_cndmask_b32_e32 v5, 0, v5, vcc_lo
	v_cmp_nlt_f32_e32 vcc_lo, 0x42b17218, v4
	v_cndmask_b32_e32 v6, 0x7f800000, v5, vcc_lo
	v_lshlrev_b64 v[4:5], 2, v[0:1]
	v_add_nc_u32_e32 v0, s0, v0
	v_add_co_u32 v4, vcc_lo, s2, v4
	v_add_co_ci_u32_e64 v5, null, s3, v5, vcc_lo
	global_store_dword v[4:5], v6, off
	v_fmaak_f32 v4, s1, v2, 0x430a70b7
	s_mov_b32 s1, 0xc0d51eb8
	v_fmaak_f32 v2, s1, v2, 0x42b2aa32
	v_fmamk_f32 v4, v3, 0xc53bb18b, v4
	v_fmamk_f32 v2, v3, 0xc55c2844, v2
	v_mul_f32_e32 v5, 0x3fb8aa3b, v4
	v_cmp_ngt_f32_e32 vcc_lo, 0xc2ce8ed0, v4
	v_mul_f32_e32 v3, 0x3fb8aa3b, v2
	v_fma_f32 v6, 0x3fb8aa3b, v4, -v5
	v_rndne_f32_e32 v7, v5
	v_fmac_f32_e32 v6, 0x32a5705f, v4
	v_sub_f32_e32 v5, v5, v7
	v_add_f32_e32 v5, v5, v6
	v_cvt_i32_f32_e32 v6, v7
	v_exp_f32_e32 v5, v5
	v_ldexp_f32 v5, v5, v6
	v_cndmask_b32_e32 v5, 0, v5, vcc_lo
	v_cmp_nlt_f32_e32 vcc_lo, 0x42b17218, v4
	v_cndmask_b32_e32 v6, 0x7f800000, v5, vcc_lo
	v_lshlrev_b64 v[4:5], 2, v[0:1]
	v_add_nc_u32_e32 v0, s0, v0
	v_add_co_u32 v4, vcc_lo, s2, v4
	v_add_co_ci_u32_e64 v5, null, s3, v5, vcc_lo
	v_cmp_ngt_f32_e32 vcc_lo, 0xc2ce8ed0, v2
	v_lshlrev_b64 v[0:1], 2, v[0:1]
	global_store_dword v[4:5], v6, off
	v_fma_f32 v4, 0x3fb8aa3b, v2, -v3
	v_rndne_f32_e32 v5, v3
	v_fmac_f32_e32 v4, 0x32a5705f, v2
	v_sub_f32_e32 v3, v3, v5
	v_add_f32_e32 v3, v3, v4
	v_cvt_i32_f32_e32 v4, v5
	v_exp_f32_e32 v3, v3
	v_ldexp_f32 v3, v3, v4
	v_cndmask_b32_e32 v3, 0, v3, vcc_lo
	v_cmp_nlt_f32_e32 vcc_lo, 0x42b17218, v2
	v_cndmask_b32_e32 v2, 0x7f800000, v3, vcc_lo
	v_add_co_u32 v0, vcc_lo, s2, v0
	v_add_co_ci_u32_e64 v1, null, s3, v1, vcc_lo
	global_store_dword v[0:1], v2, off
	s_endpgm
	.section	.rodata,"a",@progbits
	.p2align	6, 0x0
	.amdhsa_kernel _Z13ratt10_kernelIfEvPKT_PS0_S0_
		.amdhsa_group_segment_fixed_size 0
		.amdhsa_private_segment_fixed_size 0
		.amdhsa_kernarg_size 280
		.amdhsa_user_sgpr_count 6
		.amdhsa_user_sgpr_private_segment_buffer 1
		.amdhsa_user_sgpr_dispatch_ptr 0
		.amdhsa_user_sgpr_queue_ptr 0
		.amdhsa_user_sgpr_kernarg_segment_ptr 1
		.amdhsa_user_sgpr_dispatch_id 0
		.amdhsa_user_sgpr_flat_scratch_init 0
		.amdhsa_user_sgpr_private_segment_size 0
		.amdhsa_wavefront_size32 1
		.amdhsa_uses_dynamic_stack 0
		.amdhsa_system_sgpr_private_segment_wavefront_offset 0
		.amdhsa_system_sgpr_workgroup_id_x 1
		.amdhsa_system_sgpr_workgroup_id_y 0
		.amdhsa_system_sgpr_workgroup_id_z 0
		.amdhsa_system_sgpr_workgroup_info 0
		.amdhsa_system_vgpr_workitem_id 0
		.amdhsa_next_free_vgpr 12
		.amdhsa_next_free_sgpr 9
		.amdhsa_reserve_vcc 1
		.amdhsa_reserve_flat_scratch 0
		.amdhsa_float_round_mode_32 0
		.amdhsa_float_round_mode_16_64 0
		.amdhsa_float_denorm_mode_32 3
		.amdhsa_float_denorm_mode_16_64 3
		.amdhsa_dx10_clamp 1
		.amdhsa_ieee_mode 1
		.amdhsa_fp16_overflow 0
		.amdhsa_workgroup_processor_mode 1
		.amdhsa_memory_ordered 1
		.amdhsa_forward_progress 1
		.amdhsa_shared_vgpr_count 0
		.amdhsa_exception_fp_ieee_invalid_op 0
		.amdhsa_exception_fp_denorm_src 0
		.amdhsa_exception_fp_ieee_div_zero 0
		.amdhsa_exception_fp_ieee_overflow 0
		.amdhsa_exception_fp_ieee_underflow 0
		.amdhsa_exception_fp_ieee_inexact 0
		.amdhsa_exception_int_div_zero 0
	.end_amdhsa_kernel
	.section	.text._Z13ratt10_kernelIfEvPKT_PS0_S0_,"axG",@progbits,_Z13ratt10_kernelIfEvPKT_PS0_S0_,comdat
.Lfunc_end11:
	.size	_Z13ratt10_kernelIfEvPKT_PS0_S0_, .Lfunc_end11-_Z13ratt10_kernelIfEvPKT_PS0_S0_
                                        ; -- End function
	.set _Z13ratt10_kernelIfEvPKT_PS0_S0_.num_vgpr, 12
	.set _Z13ratt10_kernelIfEvPKT_PS0_S0_.num_agpr, 0
	.set _Z13ratt10_kernelIfEvPKT_PS0_S0_.numbered_sgpr, 9
	.set _Z13ratt10_kernelIfEvPKT_PS0_S0_.num_named_barrier, 0
	.set _Z13ratt10_kernelIfEvPKT_PS0_S0_.private_seg_size, 0
	.set _Z13ratt10_kernelIfEvPKT_PS0_S0_.uses_vcc, 1
	.set _Z13ratt10_kernelIfEvPKT_PS0_S0_.uses_flat_scratch, 0
	.set _Z13ratt10_kernelIfEvPKT_PS0_S0_.has_dyn_sized_stack, 0
	.set _Z13ratt10_kernelIfEvPKT_PS0_S0_.has_recursion, 0
	.set _Z13ratt10_kernelIfEvPKT_PS0_S0_.has_indirect_call, 0
	.section	.AMDGPU.csdata,"",@progbits
; Kernel info:
; codeLenInByte = 3292
; TotalNumSgprs: 11
; NumVgprs: 12
; ScratchSize: 0
; MemoryBound: 0
; FloatMode: 240
; IeeeMode: 1
; LDSByteSize: 0 bytes/workgroup (compile time only)
; SGPRBlocks: 0
; VGPRBlocks: 1
; NumSGPRsForWavesPerEU: 11
; NumVGPRsForWavesPerEU: 12
; Occupancy: 16
; WaveLimiterHint : 0
; COMPUTE_PGM_RSRC2:SCRATCH_EN: 0
; COMPUTE_PGM_RSRC2:USER_SGPR: 6
; COMPUTE_PGM_RSRC2:TRAP_HANDLER: 0
; COMPUTE_PGM_RSRC2:TGID_X_EN: 1
; COMPUTE_PGM_RSRC2:TGID_Y_EN: 0
; COMPUTE_PGM_RSRC2:TGID_Z_EN: 0
; COMPUTE_PGM_RSRC2:TIDIG_COMP_CNT: 0
	.section	.text._Z11ratx_kernelIfEvPKT_S2_PS0_S3_S2_S0_,"axG",@progbits,_Z11ratx_kernelIfEvPKT_S2_PS0_S3_S2_S0_,comdat
	.protected	_Z11ratx_kernelIfEvPKT_S2_PS0_S3_S2_S0_ ; -- Begin function _Z11ratx_kernelIfEvPKT_S2_PS0_S3_S2_S0_
	.globl	_Z11ratx_kernelIfEvPKT_S2_PS0_S3_S2_S0_
	.p2align	8
	.type	_Z11ratx_kernelIfEvPKT_S2_PS0_S3_S2_S0_,@function
_Z11ratx_kernelIfEvPKT_S2_PS0_S3_S2_S0_: ; @_Z11ratx_kernelIfEvPKT_S2_PS0_S3_S2_S0_
; %bb.0:
	s_clause 0x2
	s_load_dword s0, s[4:5], 0x3c
	s_load_dword s1, s[4:5], 0x30
	s_load_dwordx8 s[8:15], s[4:5], 0x0
	s_waitcnt lgkmcnt(0)
	s_and_b32 s0, s0, 0xffff
	v_mad_u64_u32 v[0:1], null, s6, s0, v[0:1]
	v_mov_b32_e32 v1, 0
	s_mul_i32 s6, s1, s0
	v_lshlrev_b64 v[16:17], 2, v[0:1]
	v_add_nc_u32_e32 v0, s6, v0
	v_lshlrev_b64 v[18:19], 2, v[0:1]
	v_add_nc_u32_e32 v0, s6, v0
	v_add_co_u32 v2, vcc_lo, s10, v16
	v_add_co_ci_u32_e64 v3, null, s11, v17, vcc_lo
	v_lshlrev_b64 v[4:5], 2, v[0:1]
	v_add_nc_u32_e32 v0, s6, v0
	v_add_co_u32 v14, vcc_lo, s10, v18
	v_add_co_ci_u32_e64 v15, null, s11, v19, vcc_lo
	;; [unrolled: 4-line block ×6, first 2 shown]
	v_lshlrev_b64 v[8:9], 2, v[0:1]
	v_add_co_u32 v28, vcc_lo, s10, v10
	v_add_co_ci_u32_e64 v29, null, s11, v11, vcc_lo
	v_add_nc_u32_e32 v0, s6, v0
	v_add_co_u32 v32, vcc_lo, s10, v8
	v_add_co_ci_u32_e64 v33, null, s11, v9, vcc_lo
	s_clause 0x7
	global_load_dword v36, v[2:3], off
	global_load_dword v37, v[14:15], off
	;; [unrolled: 1-line block ×8, first 2 shown]
	v_lshlrev_b64 v[30:31], 2, v[0:1]
	v_add_nc_u32_e32 v0, s6, v0
	v_lshlrev_b64 v[6:7], 2, v[0:1]
	v_add_nc_u32_e32 v0, s6, v0
	v_add_co_u32 v14, vcc_lo, s10, v30
	v_add_co_ci_u32_e64 v15, null, s11, v31, vcc_lo
	v_lshlrev_b64 v[4:5], 2, v[0:1]
	v_add_nc_u32_e32 v0, s6, v0
	v_add_co_u32 v22, vcc_lo, s10, v6
	v_add_co_ci_u32_e64 v23, null, s11, v7, vcc_lo
	;; [unrolled: 4-line block ×4, first 2 shown]
	v_lshlrev_b64 v[30:31], 2, v[0:1]
	v_add_co_u32 v26, vcc_lo, s10, v26
	v_add_co_ci_u32_e64 v27, null, s11, v27, vcc_lo
	v_add_nc_u32_e32 v0, s6, v0
	v_add_co_u32 v30, vcc_lo, s10, v30
	v_add_co_ci_u32_e64 v31, null, s11, v31, vcc_lo
	s_clause 0x5
	global_load_dword v44, v[14:15], off
	global_load_dword v45, v[22:23], off
	;; [unrolled: 1-line block ×6, first 2 shown]
	v_lshlrev_b64 v[32:33], 2, v[0:1]
	v_add_nc_u32_e32 v0, s6, v0
	v_lshlrev_b64 v[14:15], 2, v[0:1]
	v_add_nc_u32_e32 v0, s6, v0
	v_add_co_u32 v22, vcc_lo, s10, v32
	v_add_co_ci_u32_e64 v23, null, s11, v33, vcc_lo
	v_lshlrev_b64 v[24:25], 2, v[0:1]
	v_add_nc_u32_e32 v0, s6, v0
	v_add_co_u32 v26, vcc_lo, s10, v14
	v_add_co_ci_u32_e64 v27, null, s11, v15, vcc_lo
	v_lshlrev_b64 v[28:29], 2, v[0:1]
	v_add_co_u32 v24, vcc_lo, s10, v24
	v_add_nc_u32_e32 v0, s6, v0
	v_add_co_ci_u32_e64 v25, null, s11, v25, vcc_lo
	v_add_co_u32 v28, vcc_lo, s10, v28
	v_add_co_ci_u32_e64 v29, null, s11, v29, vcc_lo
	v_lshlrev_b64 v[34:35], 2, v[0:1]
	v_add_nc_u32_e32 v0, s6, v0
	s_clause 0x3
	global_load_dword v33, v[22:23], off
	global_load_dword v30, v[26:27], off
	;; [unrolled: 1-line block ×4, first 2 shown]
	v_lshlrev_b64 v[22:23], 2, v[0:1]
	v_add_nc_u32_e32 v0, s6, v0
	v_add_co_u32 v24, vcc_lo, s10, v34
	v_add_co_ci_u32_e64 v25, null, s11, v35, vcc_lo
	v_add_co_u32 v26, vcc_lo, s10, v22
	v_lshlrev_b64 v[28:29], 2, v[0:1]
	v_add_nc_u32_e32 v0, s6, v0
	v_add_co_ci_u32_e64 v27, null, s11, v23, vcc_lo
	v_add_co_u32 v22, vcc_lo, s12, v14
	s_clause 0x1
	global_load_dword v34, v[24:25], off
	global_load_dword v35, v[26:27], off
	v_lshlrev_b64 v[25:26], 2, v[0:1]
	v_add_co_ci_u32_e64 v23, null, s13, v15, vcc_lo
	v_add_co_u32 v27, vcc_lo, s10, v28
	v_add_co_ci_u32_e64 v28, null, s11, v29, vcc_lo
	global_load_dword v24, v[22:23], off
	v_add_co_u32 v25, vcc_lo, s10, v25
	v_add_co_ci_u32_e64 v26, null, s11, v26, vcc_lo
	s_clause 0x1
	global_load_dword v27, v[27:28], off
	global_load_dword v28, v[25:26], off
	s_clause 0x1
	s_load_dwordx2 s[2:3], s[4:5], 0x20
	s_load_dword s0, s[4:5], 0x28
	s_mov_b32 s4, 0x3f2b851f
	s_mov_b32 s5, 0xbfa28f5c
	s_waitcnt lgkmcnt(0)
	v_add_co_u32 v25, vcc_lo, s2, v16
	v_add_co_ci_u32_e64 v26, null, s3, v17, vcc_lo
	v_add_co_u32 v16, vcc_lo, s8, v16
	v_add_co_ci_u32_e64 v17, null, s9, v17, vcc_lo
	global_load_dword v25, v[25:26], off
	global_load_dword v16, v[16:17], off
	s_waitcnt vmcnt(24)
	v_add_f32_e32 v17, 0, v36
	s_waitcnt vmcnt(23)
	v_add_f32_e32 v17, v17, v37
	;; [unrolled: 2-line block ×20, first 2 shown]
	s_waitcnt vmcnt(4)
	v_div_scale_f32 v26, null, v24, v24, 1.0
	v_rcp_f32_e32 v29, v26
	s_waitcnt vmcnt(3)
	v_add_f32_e32 v17, v17, v27
	s_waitcnt vmcnt(2)
	v_add_f32_e32 v17, v17, v28
	v_div_scale_f32 v28, vcc_lo, 1.0, v24, 1.0
	v_fma_f32 v27, -v26, v29, 1.0
	v_add_f32_e32 v17, v17, v36
	v_fmac_f32_e32 v29, v27, v29
	v_fmamk_f32 v17, v41, 0x40a00000, v17
	v_mul_f32_e32 v27, v28, v29
	v_add_f32_e32 v17, v45, v17
	v_fma_f32 v32, -v26, v27, v28
	v_fmac_f32_e32 v17, 0.5, v46
	v_fmac_f32_e32 v27, v32, v29
	v_add_f32_e32 v35, v47, v17
	s_waitcnt vmcnt(0)
	v_mul_f32_e32 v34, s0, v16
	v_fma_f32 v17, -v26, v27, v28
	v_fmac_f32_e32 v35, 2.0, v30
	v_div_fmas_f32 v17, v17, v29, v27
	v_fma_f32 v30, 2.0, v31, v35
	v_div_scale_f32 v27, null, v34, v34, 1.0
	v_fmac_f32_e32 v35, 0x3fc00000, v31
	v_div_fixup_f32 v17, v17, v24, 1.0
	v_fmac_f32_e32 v30, 2.0, v33
	v_rcp_f32_e32 v29, v27
	v_fmac_f32_e32 v35, 0x3fc00000, v33
	v_mul_f32_e32 v17, v30, v17
	v_fma_f32 v26, v25, v17, 1.0
	v_fma_f32 v36, -v27, v29, 1.0
	v_mul_f32_e32 v17, v25, v17
	v_div_scale_f32 v16, null, v26, v26, 1.0
	v_div_scale_f32 v37, vcc_lo, 1.0, v26, 1.0
	v_fmac_f32_e32 v29, v36, v29
	v_rcp_f32_e32 v28, v16
	v_fma_f32 v32, -v16, v28, 1.0
	v_fmac_f32_e32 v28, v32, v28
	v_div_scale_f32 v32, s0, 1.0, v34, 1.0
	v_mul_f32_e32 v36, v37, v28
	v_mul_f32_e32 v38, v32, v29
	v_fma_f32 v39, -v16, v36, v37
	v_fma_f32 v40, -v27, v38, v32
	v_fmac_f32_e32 v36, v39, v28
	v_fmac_f32_e32 v38, v40, v29
	v_fma_f32 v16, -v16, v36, v37
	v_mul_f32_e32 v37, 0xba1548e5, v34
	v_fma_f32 v27, -v27, v38, v32
	v_div_fmas_f32 v16, v16, v28, v36
	s_mov_b32 vcc_lo, s0
	v_mul_f32_e32 v28, 0xbc2e4c41, v34
	v_div_fmas_f32 v27, v27, v29, v38
	v_mul_f32_e32 v29, 0x3fb8aa3b, v37
	v_cmp_ngt_f32_e32 vcc_lo, 0xc2ce8ed0, v37
	v_div_fixup_f32 v16, v16, v26, 1.0
	v_div_fixup_f32 v32, v27, v34, 1.0
	v_mul_f32_e32 v27, 0x3fb8aa3b, v28
	v_fma_f32 v36, 0x3fb8aa3b, v37, -v29
	v_rndne_f32_e32 v38, v29
	v_mul_f32_e32 v39, 0xc5a1f000, v32
	v_fma_f32 v40, 0x3fb8aa3b, v28, -v27
	v_rndne_f32_e32 v41, v27
	v_fmac_f32_e32 v36, 0x32a5705f, v37
	v_sub_f32_e32 v29, v29, v38
	v_mul_f32_e32 v42, 0x3fb8aa3b, v39
	v_fmac_f32_e32 v40, 0x32a5705f, v28
	v_sub_f32_e32 v27, v27, v41
	v_cvt_i32_f32_e32 v38, v38
	v_add_f32_e32 v29, v29, v36
	v_fma_f32 v36, 0x3fb8aa3b, v39, -v42
	v_rndne_f32_e32 v43, v42
	v_add_f32_e32 v27, v27, v40
	v_exp_f32_e32 v29, v29
	v_fmac_f32_e32 v36, 0x32a5705f, v39
	v_sub_f32_e32 v40, v42, v43
	v_exp_f32_e32 v27, v27
	v_add_f32_e32 v36, v40, v36
	v_cvt_i32_f32_e32 v40, v41
	v_ldexp_f32 v29, v29, v38
	v_cvt_i32_f32_e32 v38, v43
	v_exp_f32_e32 v36, v36
	v_ldexp_f32 v27, v27, v40
	v_cndmask_b32_e32 v29, 0, v29, vcc_lo
	v_cmp_ngt_f32_e32 vcc_lo, 0xc2ce8ed0, v28
	v_cndmask_b32_e32 v27, 0, v27, vcc_lo
	v_cmp_nlt_f32_e32 vcc_lo, 0x42b17218, v37
	v_ldexp_f32 v37, v36, v38
	v_cndmask_b32_e32 v29, 0x7f800000, v29, vcc_lo
	v_cmp_nlt_f32_e32 vcc_lo, 0x42b17218, v28
	v_cndmask_b32_e32 v36, 0x7f800000, v27, vcc_lo
	v_cmp_ngt_f32_e32 vcc_lo, 0xc2ce8ed0, v39
	v_mul_f32_e32 v27, 0x3f3c0ebf, v29
	v_cndmask_b32_e32 v28, 0, v37, vcc_lo
	v_cmp_nlt_f32_e32 vcc_lo, 0x42b17218, v39
	v_fmamk_f32 v27, v36, 0x3e87e282, v27
	v_cndmask_b32_e32 v28, 0x7f800000, v28, vcc_lo
	v_add_f32_e32 v27, v28, v27
	v_max_f32_e32 v25, 0x800000, v27
	v_max_f32_e32 v27, 0x800000, v17
	v_cmp_gt_f32_e32 vcc_lo, 0x800000, v25
	v_cmp_gt_f32_e64 s0, 0x800000, v27
	v_cndmask_b32_e64 v28, 0, 32, vcc_lo
	v_cndmask_b32_e64 v29, 0, 32, s0
	v_cndmask_b32_e64 v37, 0, 0x411a209b, vcc_lo
	v_ldexp_f32 v25, v25, v28
	v_ldexp_f32 v27, v27, v29
	v_log_f32_e32 v25, v25
	v_log_f32_e32 v27, v27
	v_mul_f32_e32 v28, 0x3e9a209a, v25
	v_mul_f32_e32 v29, 0x3e9a209a, v27
	v_cmp_gt_f32_e64 vcc_lo, 0x7f800000, |v25|
	v_fma_f32 v28, 0x3e9a209a, v25, -v28
	v_fma_f32 v29, 0x3e9a209a, v27, -v29
	v_fmac_f32_e32 v28, 0x3284fbcf, v25
	v_fmac_f32_e32 v29, 0x3284fbcf, v27
	;; [unrolled: 1-line block ×4, first 2 shown]
	v_cndmask_b32_e32 v25, v25, v28, vcc_lo
	v_cmp_gt_f32_e64 vcc_lo, 0x7f800000, |v27|
	v_cndmask_b32_e64 v28, 0, 0x411a209b, s0
	v_sub_f32_e32 v25, v25, v37
	v_cndmask_b32_e32 v27, v27, v29, vcc_lo
	v_fmaak_f32 v29, s5, v25, 0x3f400000
	v_sub_f32_e32 v27, v27, v28
	v_fmaak_f32 v28, s4, v25, 0x3ecccccd
	v_sub_f32_e32 v27, v27, v28
	v_fmac_f32_e32 v29, 0xbe0f5c29, v27
	v_div_scale_f32 v28, null, v29, v29, 1.0
	v_div_scale_f32 v39, vcc_lo, 1.0, v29, 1.0
	v_rcp_f32_e32 v37, v28
	v_fma_f32 v38, -v28, v37, 1.0
	v_fmac_f32_e32 v37, v38, v37
	v_mul_f32_e32 v38, v39, v37
	v_fma_f32 v40, -v28, v38, v39
	v_fmac_f32_e32 v38, v40, v37
	v_mul_f32_e32 v40, 0xc620f000, v32
	v_fma_f32 v28, -v28, v38, v39
	v_mul_f32_e32 v41, 0x3fb8aa3b, v40
	v_div_fmas_f32 v28, v28, v37, v38
	v_fma_f32 v42, 0x3fb8aa3b, v40, -v41
	v_rndne_f32_e32 v43, v41
	v_div_fixup_f32 v28, v28, v29, 1.0
	v_fmac_f32_e32 v42, 0x32a5705f, v40
	v_sub_f32_e32 v41, v41, v43
	v_mul_f32_e32 v27, v27, v28
	v_fma_f32 v27, v27, v27, 1.0
	v_div_scale_f32 v28, null, v27, v27, 1.0
	v_div_scale_f32 v38, vcc_lo, 1.0, v27, 1.0
	v_rcp_f32_e32 v29, v28
	v_fma_f32 v37, -v28, v29, 1.0
	v_fmac_f32_e32 v29, v37, v29
	v_mul_f32_e32 v37, v38, v29
	v_fma_f32 v39, -v28, v37, v38
	v_fmac_f32_e32 v37, v39, v29
	v_fma_f32 v28, -v28, v37, v38
	v_div_fmas_f32 v28, v28, v29, v37
	v_div_fixup_f32 v27, v28, v27, 1.0
	v_mul_f32_e32 v25, v25, v27
	v_mul_f32_e32 v27, 0x40549a78, v25
	v_cmp_ngt_f32_e32 vcc_lo, 0xc23369f4, v25
	v_fma_f32 v28, 0x40549a78, v25, -v27
	v_rndne_f32_e32 v29, v27
	v_fmac_f32_e32 v28, 0x33979a37, v25
	v_sub_f32_e32 v27, v27, v29
	v_add_f32_e32 v27, v27, v28
	v_cvt_i32_f32_e32 v28, v29
	v_exp_f32_e32 v27, v27
	v_ldexp_f32 v27, v27, v28
	v_cndmask_b32_e32 v28, 0, v27, vcc_lo
	v_cmp_nlt_f32_e32 vcc_lo, 0x421a209b, v25
	v_mad_u64_u32 v[26:27], null, s6, 9, v[0:1]
	v_mul_f32_e32 v0, v17, v16
	v_mov_b32_e32 v27, v1
	v_cndmask_b32_e32 v16, 0x7f800000, v28, vcc_lo
	v_mul_f32_e32 v37, v0, v16
	v_lshlrev_b64 v[16:17], 2, v[26:27]
	v_mul_f32_e32 v0, v24, v37
	v_add_co_u32 v24, vcc_lo, s12, v16
	v_add_co_ci_u32_e64 v25, null, s13, v17, vcc_lo
	global_store_dword v[22:23], v0, off
	v_add_co_u32 v18, vcc_lo, s2, v18
	global_load_dword v0, v[24:25], off
	v_add_co_ci_u32_e64 v19, null, s3, v19, vcc_lo
	v_mul_f32_e32 v22, 0xbba655c4, v34
	global_load_dword v18, v[18:19], off
	v_mul_f32_e32 v19, 0xba2a392f, v34
	v_mul_f32_e32 v27, 0x3fb8aa3b, v22
	;; [unrolled: 1-line block ×3, first 2 shown]
	v_fma_f32 v38, 0x3fb8aa3b, v22, -v27
	v_rndne_f32_e32 v39, v27
	v_cmp_ngt_f32_e64 s0, 0xc2ce8ed0, v19
	v_fma_f32 v28, 0x3fb8aa3b, v19, -v23
	v_rndne_f32_e32 v29, v23
	v_fmac_f32_e32 v38, 0x32a5705f, v22
	v_sub_f32_e32 v27, v27, v39
	v_cvt_i32_f32_e32 v39, v39
	v_fmac_f32_e32 v28, 0x32a5705f, v19
	v_sub_f32_e32 v23, v23, v29
	v_cvt_i32_f32_e32 v29, v29
	v_add_f32_e32 v27, v27, v38
	v_add_f32_e32 v23, v23, v28
	v_exp_f32_e32 v27, v27
	v_exp_f32_e32 v23, v23
	v_ldexp_f32 v27, v27, v39
	v_ldexp_f32 v23, v23, v29
	v_cndmask_b32_e64 v23, 0, v23, s0
	v_cmp_ngt_f32_e64 s0, 0xc2ce8ed0, v22
	v_cndmask_b32_e64 v27, 0, v27, s0
	v_cmp_nlt_f32_e64 s0, 0x42b17218, v19
	v_cndmask_b32_e64 v19, 0x7f800000, v23, s0
	v_cmp_nlt_f32_e64 s0, 0x42b17218, v22
	v_mul_f32_e32 v19, 0x3f6e978d, v19
	v_cndmask_b32_e64 v22, 0x7f800000, v27, s0
	v_cmp_ngt_f32_e64 s0, 0xc2ce8ed0, v40
	v_fmamk_f32 v19, v22, 0x3d8b4396, v19
	s_waitcnt vmcnt(1)
	v_div_scale_f32 v28, null, v0, v0, 1.0
	v_div_scale_f32 v44, vcc_lo, 1.0, v0, 1.0
	v_rcp_f32_e32 v38, v28
	v_fma_f32 v29, -v28, v38, 1.0
	v_fmac_f32_e32 v38, v29, v38
	v_add_f32_e32 v29, v41, v42
	v_cvt_i32_f32_e32 v41, v43
	v_mul_f32_e32 v39, v44, v38
	v_exp_f32_e32 v29, v29
	v_fma_f32 v23, -v28, v39, v44
	v_fmac_f32_e32 v39, v23, v38
	v_ldexp_f32 v23, v29, v41
	v_fma_f32 v22, -v28, v39, v44
	v_cndmask_b32_e64 v23, 0, v23, s0
	v_div_fmas_f32 v22, v22, v38, v39
	v_cmp_nlt_f32_e32 vcc_lo, 0x42b17218, v40
	v_div_fixup_f32 v22, v22, v0, 1.0
	v_cndmask_b32_e32 v23, 0x7f800000, v23, vcc_lo
	v_mul_f32_e32 v22, v30, v22
	v_add_f32_e32 v19, v23, v19
	s_waitcnt vmcnt(0)
	v_mul_f32_e32 v27, v18, v22
	v_max_f32_e32 v19, 0x800000, v19
	v_fma_f32 v18, v18, v22, 1.0
	v_max_f32_e32 v28, 0x800000, v27
	v_cmp_gt_f32_e32 vcc_lo, 0x800000, v19
	v_div_scale_f32 v22, null, v18, v18, 1.0
	v_cmp_gt_f32_e64 s0, 0x800000, v28
	v_cndmask_b32_e64 v23, 0, 32, vcc_lo
	v_cndmask_b32_e64 v38, 0, 0x411a209b, vcc_lo
	v_ldexp_f32 v19, v19, v23
	v_cndmask_b32_e64 v23, 0, 32, s0
	v_log_f32_e32 v19, v19
	v_ldexp_f32 v23, v28, v23
	v_log_f32_e32 v23, v23
	v_mul_f32_e32 v28, 0x3e9a209a, v19
	v_cmp_gt_f32_e64 vcc_lo, 0x7f800000, |v19|
	v_fma_f32 v28, 0x3e9a209a, v19, -v28
	v_mul_f32_e32 v29, 0x3e9a209a, v23
	v_fmac_f32_e32 v28, 0x3284fbcf, v19
	v_fma_f32 v29, 0x3e9a209a, v23, -v29
	v_fmac_f32_e32 v28, 0x3e9a209a, v19
	v_fmac_f32_e32 v29, 0x3284fbcf, v23
	v_cndmask_b32_e32 v19, v19, v28, vcc_lo
	v_fmac_f32_e32 v29, 0x3e9a209a, v23
	v_cmp_gt_f32_e64 vcc_lo, 0x7f800000, |v23|
	v_cndmask_b32_e64 v28, 0, 0x411a209b, s0
	v_sub_f32_e32 v19, v19, v38
	v_rcp_f32_e32 v38, v22
	v_cndmask_b32_e32 v23, v23, v29, vcc_lo
	v_div_scale_f32 v42, vcc_lo, 1.0, v18, 1.0
	v_fmaak_f32 v29, s4, v19, 0x3ecccccd
	v_sub_f32_e32 v23, v23, v28
	v_fmaak_f32 v28, s5, v19, 0x3f400000
	v_fma_f32 v40, -v22, v38, 1.0
	v_sub_f32_e32 v23, v23, v29
	v_fmac_f32_e32 v38, v40, v38
	v_fmac_f32_e32 v28, 0xbe0f5c29, v23
	v_div_scale_f32 v29, null, v28, v28, 1.0
	v_div_scale_f32 v40, s0, 1.0, v28, 1.0
	v_rcp_f32_e32 v39, v29
	v_fma_f32 v41, -v29, v39, 1.0
	v_fmac_f32_e32 v39, v41, v39
	v_mul_f32_e32 v41, v42, v38
	v_mul_f32_e32 v43, v40, v39
	v_fma_f32 v44, -v22, v41, v42
	v_fma_f32 v45, -v29, v43, v40
	v_fmac_f32_e32 v41, v44, v38
	v_fmac_f32_e32 v43, v45, v39
	v_fma_f32 v22, -v22, v41, v42
	v_fma_f32 v29, -v29, v43, v40
	v_div_fmas_f32 v22, v22, v38, v41
	s_mov_b32 vcc_lo, s0
	v_div_fmas_f32 v29, v29, v39, v43
	v_div_fixup_f32 v18, v22, v18, 1.0
	v_mul_f32_e32 v43, 0xc59e6800, v32
	v_div_fixup_f32 v28, v29, v28, 1.0
	v_mul_f32_e32 v18, v27, v18
	v_mul_f32_e32 v44, 0x3fb8aa3b, v43
	;; [unrolled: 1-line block ×3, first 2 shown]
	v_fma_f32 v45, 0x3fb8aa3b, v43, -v44
	v_rndne_f32_e32 v46, v44
	v_fma_f32 v23, v23, v23, 1.0
	v_fmac_f32_e32 v45, 0x32a5705f, v43
	v_sub_f32_e32 v44, v44, v46
	v_div_scale_f32 v28, null, v23, v23, 1.0
	v_div_scale_f32 v39, vcc_lo, 1.0, v23, 1.0
	v_rcp_f32_e32 v29, v28
	v_fma_f32 v38, -v28, v29, 1.0
	v_fmac_f32_e32 v29, v38, v29
	v_mul_f32_e32 v38, v39, v29
	v_fma_f32 v40, -v28, v38, v39
	v_fmac_f32_e32 v38, v40, v29
	v_fma_f32 v28, -v28, v38, v39
	v_div_fmas_f32 v28, v28, v29, v38
	v_div_fixup_f32 v23, v28, v23, 1.0
	v_mul_f32_e32 v19, v19, v23
	v_mul_f32_e32 v23, 0x40549a78, v19
	v_cmp_ngt_f32_e32 vcc_lo, 0xc23369f4, v19
	v_fma_f32 v28, 0x40549a78, v19, -v23
	v_rndne_f32_e32 v29, v23
	v_fmac_f32_e32 v28, 0x33979a37, v19
	v_sub_f32_e32 v23, v23, v29
	v_cvt_i32_f32_e32 v38, v29
	v_add_f32_e32 v23, v23, v28
	v_mad_u64_u32 v[28:29], null, 0xffffffe4, s6, v[26:27]
	v_mov_b32_e32 v29, v1
	v_exp_f32_e32 v23, v23
	v_ldexp_f32 v23, v23, v38
	v_cndmask_b32_e32 v26, 0, v23, vcc_lo
	v_cmp_nlt_f32_e32 vcc_lo, 0x421a209b, v19
	v_mad_u64_u32 v[22:23], null, s6, 36, v[28:29]
	v_mov_b32_e32 v23, v1
	v_lshlrev_b64 v[28:29], 2, v[28:29]
	v_cndmask_b32_e32 v19, 0x7f800000, v26, vcc_lo
	v_mul_f32_e32 v38, v18, v19
	v_lshlrev_b64 v[18:19], 2, v[22:23]
	v_mul_f32_e32 v23, 0xba1eaecd, v34
	v_mul_f32_e32 v0, v0, v38
	v_add_co_u32 v26, vcc_lo, s12, v18
	v_add_co_ci_u32_e64 v27, null, s13, v19, vcc_lo
	global_store_dword v[24:25], v0, off
	v_add_co_u32 v28, vcc_lo, s2, v28
	global_load_dword v24, v[26:27], off
	v_add_co_ci_u32_e64 v29, null, s3, v29, vcc_lo
	v_mul_f32_e32 v25, 0xbb8a42f8, v34
	v_cmp_ngt_f32_e64 s0, 0xc2ce8ed0, v23
	global_load_dword v0, v[28:29], off
	v_mul_f32_e32 v28, 0x3fb8aa3b, v23
	v_mul_f32_e32 v29, 0x3fb8aa3b, v25
	v_fma_f32 v39, 0x3fb8aa3b, v23, -v28
	v_rndne_f32_e32 v40, v28
	v_fma_f32 v41, 0x3fb8aa3b, v25, -v29
	v_rndne_f32_e32 v42, v29
	v_fmac_f32_e32 v39, 0x32a5705f, v23
	v_sub_f32_e32 v28, v28, v40
	v_fmac_f32_e32 v41, 0x32a5705f, v25
	v_sub_f32_e32 v29, v29, v42
	v_cvt_i32_f32_e32 v40, v40
	v_cvt_i32_f32_e32 v42, v42
	v_add_f32_e32 v28, v28, v39
	v_add_f32_e32 v29, v29, v41
	v_exp_f32_e32 v28, v28
	v_exp_f32_e32 v29, v29
	v_ldexp_f32 v28, v28, v40
	v_ldexp_f32 v29, v29, v42
	v_cndmask_b32_e64 v28, 0, v28, s0
	v_cmp_ngt_f32_e64 s0, 0xc2ce8ed0, v25
	v_cndmask_b32_e64 v29, 0, v29, s0
	v_cmp_nlt_f32_e64 s0, 0x42b17218, v23
	v_cndmask_b32_e64 v23, 0x7f800000, v28, s0
	v_cmp_nlt_f32_e64 s0, 0x42b17218, v25
	v_mul_f32_e32 v23, 0x3f136113, v23
	v_cndmask_b32_e64 v25, 0x7f800000, v29, s0
	v_cmp_ngt_f32_e64 s0, 0xc2ce8ed0, v43
	v_fmamk_f32 v23, v25, 0x3ed93dd9, v23
	s_waitcnt vmcnt(1)
	v_div_scale_f32 v39, null, v24, v24, 1.0
	v_div_scale_f32 v47, vcc_lo, 1.0, v24, 1.0
	v_rcp_f32_e32 v41, v39
	v_fma_f32 v40, -v39, v41, 1.0
	v_fmac_f32_e32 v41, v40, v41
	v_add_f32_e32 v40, v44, v45
	v_cvt_i32_f32_e32 v44, v46
	v_mul_f32_e32 v42, v47, v41
	v_exp_f32_e32 v40, v40
	v_fma_f32 v28, -v39, v42, v47
	v_fmac_f32_e32 v42, v28, v41
	v_ldexp_f32 v28, v40, v44
	v_fma_f32 v25, -v39, v42, v47
	v_cndmask_b32_e64 v28, 0, v28, s0
	v_div_fmas_f32 v25, v25, v41, v42
	v_cmp_nlt_f32_e32 vcc_lo, 0x42b17218, v43
	v_div_fixup_f32 v25, v25, v24, 1.0
	v_cndmask_b32_e32 v28, 0x7f800000, v28, vcc_lo
	v_mul_f32_e32 v25, v30, v25
	v_add_f32_e32 v23, v28, v23
	s_waitcnt vmcnt(0)
	v_mul_f32_e32 v28, v0, v25
	v_max_f32_e32 v23, 0x800000, v23
	v_fma_f32 v0, v0, v25, 1.0
	v_max_f32_e32 v39, 0x800000, v28
	v_cmp_gt_f32_e32 vcc_lo, 0x800000, v23
	v_div_scale_f32 v25, null, v0, v0, 1.0
	v_cmp_gt_f32_e64 s0, 0x800000, v39
	v_cndmask_b32_e64 v29, 0, 32, vcc_lo
	v_cndmask_b32_e64 v41, 0, 0x411a209b, vcc_lo
	v_ldexp_f32 v23, v23, v29
	v_cndmask_b32_e64 v29, 0, 32, s0
	v_log_f32_e32 v23, v23
	v_ldexp_f32 v29, v39, v29
	v_log_f32_e32 v29, v29
	v_mul_f32_e32 v39, 0x3e9a209a, v23
	v_cmp_gt_f32_e64 vcc_lo, 0x7f800000, |v23|
	v_fma_f32 v39, 0x3e9a209a, v23, -v39
	v_mul_f32_e32 v40, 0x3e9a209a, v29
	v_fmac_f32_e32 v39, 0x3284fbcf, v23
	v_fma_f32 v40, 0x3e9a209a, v29, -v40
	v_fmac_f32_e32 v39, 0x3e9a209a, v23
	v_fmac_f32_e32 v40, 0x3284fbcf, v29
	v_cndmask_b32_e32 v23, v23, v39, vcc_lo
	v_fmac_f32_e32 v40, 0x3e9a209a, v29
	v_cmp_gt_f32_e64 vcc_lo, 0x7f800000, |v29|
	v_cndmask_b32_e64 v39, 0, 0x411a209b, s0
	v_sub_f32_e32 v23, v23, v41
	v_rcp_f32_e32 v41, v25
	v_cndmask_b32_e32 v29, v29, v40, vcc_lo
	v_div_scale_f32 v45, vcc_lo, 1.0, v0, 1.0
	v_fmaak_f32 v40, s4, v23, 0x3ecccccd
	v_sub_f32_e32 v29, v29, v39
	v_fmaak_f32 v39, s5, v23, 0x3f400000
	v_fma_f32 v43, -v25, v41, 1.0
	v_sub_f32_e32 v29, v29, v40
	v_fmac_f32_e32 v41, v43, v41
	v_fmac_f32_e32 v39, 0xbe0f5c29, v29
	v_div_scale_f32 v40, null, v39, v39, 1.0
	v_div_scale_f32 v43, s0, 1.0, v39, 1.0
	v_rcp_f32_e32 v42, v40
	v_fma_f32 v44, -v40, v42, 1.0
	v_fmac_f32_e32 v42, v44, v42
	v_mul_f32_e32 v44, v45, v41
	v_mul_f32_e32 v46, v43, v42
	v_fma_f32 v47, -v25, v44, v45
	v_fma_f32 v48, -v40, v46, v43
	v_fmac_f32_e32 v44, v47, v41
	v_fmac_f32_e32 v46, v48, v42
	v_fma_f32 v25, -v25, v44, v45
	v_fma_f32 v40, -v40, v46, v43
	v_div_fmas_f32 v25, v25, v41, v44
	s_mov_b32 vcc_lo, s0
	v_mul_f32_e32 v44, 0xc5cd5000, v32
	v_div_fmas_f32 v40, v40, v42, v46
	v_div_fixup_f32 v0, v25, v0, 1.0
	v_mul_f32_e32 v45, 0x3fb8aa3b, v44
	v_div_fixup_f32 v39, v40, v39, 1.0
	v_mul_f32_e32 v28, v28, v0
	v_lshl_add_u32 v0, s6, 1, v22
	v_fma_f32 v46, 0x3fb8aa3b, v44, -v45
	v_rndne_f32_e32 v47, v45
	v_mul_f32_e32 v29, v29, v39
	v_fmac_f32_e32 v46, 0x32a5705f, v44
	v_sub_f32_e32 v45, v45, v47
	v_fma_f32 v29, v29, v29, 1.0
	v_div_scale_f32 v39, null, v29, v29, 1.0
	v_div_scale_f32 v42, vcc_lo, 1.0, v29, 1.0
	v_rcp_f32_e32 v40, v39
	v_fma_f32 v41, -v39, v40, 1.0
	v_fmac_f32_e32 v40, v41, v40
	v_mul_f32_e32 v41, v42, v40
	v_fma_f32 v43, -v39, v41, v42
	v_fmac_f32_e32 v41, v43, v40
	v_fma_f32 v39, -v39, v41, v42
	v_div_fmas_f32 v39, v39, v40, v41
	v_div_fixup_f32 v29, v39, v29, 1.0
	v_mul_f32_e32 v23, v23, v29
	v_mul_f32_e32 v29, 0x40549a78, v23
	v_cmp_ngt_f32_e32 vcc_lo, 0xc23369f4, v23
	v_fma_f32 v39, 0x40549a78, v23, -v29
	v_rndne_f32_e32 v40, v29
	v_fmac_f32_e32 v39, 0x33979a37, v23
	v_sub_f32_e32 v29, v29, v40
	v_add_f32_e32 v29, v29, v39
	v_cvt_i32_f32_e32 v39, v40
	v_exp_f32_e32 v29, v29
	v_ldexp_f32 v29, v29, v39
	v_cndmask_b32_e32 v25, 0, v29, vcc_lo
	v_cmp_nlt_f32_e32 vcc_lo, 0x421a209b, v23
	v_cndmask_b32_e32 v23, 0x7f800000, v25, vcc_lo
	v_mul_f32_e32 v39, v28, v23
	v_lshlrev_b64 v[22:23], 2, v[0:1]
	v_mul_f32_e32 v28, v24, v39
	v_add_co_u32 v24, vcc_lo, s12, v22
	v_add_co_ci_u32_e64 v25, null, s13, v23, vcc_lo
	global_store_dword v[26:27], v28, off
	v_add_co_u32 v20, vcc_lo, s2, v20
	global_load_dword v28, v[24:25], off
	v_add_co_ci_u32_e64 v21, null, s3, v21, vcc_lo
	v_mul_f32_e32 v26, 0xbb71d48c, v34
	global_load_dword v20, v[20:21], off
	v_mul_f32_e32 v21, 0xb9be4dde, v34
	v_mul_f32_e32 v29, 0x3fb8aa3b, v26
	;; [unrolled: 1-line block ×3, first 2 shown]
	v_fma_f32 v42, 0x3fb8aa3b, v26, -v29
	v_rndne_f32_e32 v43, v29
	v_cmp_ngt_f32_e64 s0, 0xc2ce8ed0, v21
	v_fma_f32 v40, 0x3fb8aa3b, v21, -v27
	v_rndne_f32_e32 v41, v27
	v_fmac_f32_e32 v42, 0x32a5705f, v26
	v_sub_f32_e32 v29, v29, v43
	v_cvt_i32_f32_e32 v43, v43
	v_fmac_f32_e32 v40, 0x32a5705f, v21
	v_sub_f32_e32 v27, v27, v41
	v_cvt_i32_f32_e32 v41, v41
	v_add_f32_e32 v29, v29, v42
	v_add_f32_e32 v27, v27, v40
	v_exp_f32_e32 v29, v29
	v_exp_f32_e32 v27, v27
	v_ldexp_f32 v29, v29, v43
	v_ldexp_f32 v27, v27, v41
	v_cndmask_b32_e64 v27, 0, v27, s0
	v_cmp_ngt_f32_e64 s0, 0xc2ce8ed0, v26
	v_cndmask_b32_e64 v29, 0, v29, s0
	v_cmp_nlt_f32_e64 s0, 0x42b17218, v21
	v_cndmask_b32_e64 v21, 0x7f800000, v27, s0
	v_cmp_nlt_f32_e64 s0, 0x42b17218, v26
	v_mul_f32_e32 v21, 0x3f484b5e, v21
	v_cndmask_b32_e64 v26, 0x7f800000, v29, s0
	v_cmp_ngt_f32_e64 s0, 0xc2ce8ed0, v44
	v_fmamk_f32 v21, v26, 0x3e5ed289, v21
	s_waitcnt vmcnt(1)
	v_div_scale_f32 v40, null, v28, v28, 1.0
	v_div_scale_f32 v48, vcc_lo, 1.0, v28, 1.0
	v_rcp_f32_e32 v42, v40
	v_fma_f32 v41, -v40, v42, 1.0
	v_fmac_f32_e32 v42, v41, v42
	v_add_f32_e32 v41, v45, v46
	v_cvt_i32_f32_e32 v45, v47
	v_mul_f32_e32 v43, v48, v42
	v_exp_f32_e32 v41, v41
	v_fma_f32 v27, -v40, v43, v48
	v_fmac_f32_e32 v43, v27, v42
	v_ldexp_f32 v27, v41, v45
	v_fma_f32 v26, -v40, v43, v48
	v_cndmask_b32_e64 v27, 0, v27, s0
	v_div_fmas_f32 v26, v26, v42, v43
	v_cmp_nlt_f32_e32 vcc_lo, 0x42b17218, v44
	v_div_fixup_f32 v26, v26, v28, 1.0
	v_cndmask_b32_e32 v27, 0x7f800000, v27, vcc_lo
	v_mul_f32_e32 v26, v30, v26
	v_add_f32_e32 v21, v27, v21
	s_waitcnt vmcnt(0)
	v_mul_f32_e32 v29, v20, v26
	v_max_f32_e32 v21, 0x800000, v21
	v_fma_f32 v20, v20, v26, 1.0
	v_max_f32_e32 v40, 0x800000, v29
	v_cmp_gt_f32_e32 vcc_lo, 0x800000, v21
	v_div_scale_f32 v26, null, v20, v20, 1.0
	v_cmp_gt_f32_e64 s0, 0x800000, v40
	v_cndmask_b32_e64 v27, 0, 32, vcc_lo
	v_cndmask_b32_e64 v42, 0, 0x411a209b, vcc_lo
	v_ldexp_f32 v21, v21, v27
	v_cndmask_b32_e64 v27, 0, 32, s0
	v_log_f32_e32 v21, v21
	v_ldexp_f32 v27, v40, v27
	v_log_f32_e32 v27, v27
	v_mul_f32_e32 v40, 0x3e9a209a, v21
	v_cmp_gt_f32_e64 vcc_lo, 0x7f800000, |v21|
	v_fma_f32 v40, 0x3e9a209a, v21, -v40
	v_mul_f32_e32 v41, 0x3e9a209a, v27
	v_fmac_f32_e32 v40, 0x3284fbcf, v21
	v_fma_f32 v41, 0x3e9a209a, v27, -v41
	v_fmac_f32_e32 v40, 0x3e9a209a, v21
	v_fmac_f32_e32 v41, 0x3284fbcf, v27
	v_cndmask_b32_e32 v21, v21, v40, vcc_lo
	v_fmac_f32_e32 v41, 0x3e9a209a, v27
	v_cmp_gt_f32_e64 vcc_lo, 0x7f800000, |v27|
	v_cndmask_b32_e64 v40, 0, 0x411a209b, s0
	v_sub_f32_e32 v21, v21, v42
	v_rcp_f32_e32 v42, v26
	v_cndmask_b32_e32 v27, v27, v41, vcc_lo
	v_div_scale_f32 v46, vcc_lo, 1.0, v20, 1.0
	v_fmaak_f32 v41, s4, v21, 0x3ecccccd
	v_sub_f32_e32 v27, v27, v40
	v_fmaak_f32 v40, s5, v21, 0x3f400000
	v_fma_f32 v44, -v26, v42, 1.0
	v_sub_f32_e32 v27, v27, v41
	v_fmac_f32_e32 v42, v44, v42
	v_fmac_f32_e32 v40, 0xbe0f5c29, v27
	v_div_scale_f32 v41, null, v40, v40, 1.0
	v_div_scale_f32 v44, s0, 1.0, v40, 1.0
	v_rcp_f32_e32 v43, v41
	v_fma_f32 v45, -v41, v43, 1.0
	v_fmac_f32_e32 v43, v45, v43
	v_mul_f32_e32 v45, v46, v42
	v_mul_f32_e32 v47, v44, v43
	v_fma_f32 v48, -v26, v45, v46
	v_fma_f32 v49, -v41, v47, v44
	v_fmac_f32_e32 v45, v48, v42
	v_fmac_f32_e32 v47, v49, v43
	v_fma_f32 v26, -v26, v45, v46
	v_fma_f32 v41, -v41, v47, v44
	v_div_fmas_f32 v26, v26, v42, v45
	s_mov_b32 vcc_lo, s0
	v_div_fmas_f32 v41, v41, v43, v47
	v_div_fixup_f32 v20, v26, v20, 1.0
	v_mul_f32_e32 v47, 0xc5aeb000, v32
	v_div_fixup_f32 v40, v41, v40, 1.0
	v_mul_f32_e32 v20, v29, v20
	v_mul_f32_e32 v48, 0x3fb8aa3b, v47
	;; [unrolled: 1-line block ×3, first 2 shown]
	v_fma_f32 v49, 0x3fb8aa3b, v47, -v48
	v_rndne_f32_e32 v50, v48
	v_fma_f32 v27, v27, v27, 1.0
	v_fmac_f32_e32 v49, 0x32a5705f, v47
	v_sub_f32_e32 v48, v48, v50
	v_div_scale_f32 v40, null, v27, v27, 1.0
	v_div_scale_f32 v43, vcc_lo, 1.0, v27, 1.0
	v_rcp_f32_e32 v41, v40
	v_fma_f32 v42, -v40, v41, 1.0
	v_fmac_f32_e32 v41, v42, v41
	v_mul_f32_e32 v42, v43, v41
	v_fma_f32 v44, -v40, v42, v43
	v_fmac_f32_e32 v42, v44, v41
	v_fma_f32 v40, -v40, v42, v43
	v_div_fmas_f32 v40, v40, v41, v42
	v_div_fixup_f32 v27, v40, v27, 1.0
	v_mul_f32_e32 v21, v21, v27
	v_mul_f32_e32 v27, 0x40549a78, v21
	v_cmp_ngt_f32_e32 vcc_lo, 0xc23369f4, v21
	v_fma_f32 v40, 0x40549a78, v21, -v27
	v_rndne_f32_e32 v41, v27
	v_fmac_f32_e32 v40, 0x33979a37, v21
	v_sub_f32_e32 v27, v27, v41
	v_add_f32_e32 v27, v27, v40
	v_cvt_i32_f32_e32 v40, v41
	v_mad_u64_u32 v[41:42], null, 0xffffffdc, s6, v[0:1]
	v_mov_b32_e32 v42, v1
	v_exp_f32_e32 v27, v27
	v_ldexp_f32 v0, v27, v40
	v_mad_u64_u32 v[26:27], null, s6, 43, v[41:42]
	v_mov_b32_e32 v27, v1
	v_cndmask_b32_e32 v0, 0, v0, vcc_lo
	v_cmp_nlt_f32_e32 vcc_lo, 0x421a209b, v21
	v_cndmask_b32_e32 v0, 0x7f800000, v0, vcc_lo
	v_mul_f32_e32 v40, v20, v0
	v_lshlrev_b64 v[20:21], 2, v[26:27]
	v_mul_f32_e32 v0, v28, v40
	v_add_co_u32 v28, vcc_lo, s12, v20
	v_add_co_ci_u32_e64 v29, null, s13, v21, vcc_lo
	global_store_dword v[24:25], v0, off
	v_lshlrev_b64 v[24:25], 2, v[41:42]
	global_load_dword v27, v[28:29], off
	v_add_co_u32 v24, vcc_lo, s2, v24
	v_add_co_ci_u32_e64 v25, null, s3, v25, vcc_lo
	global_load_dword v0, v[24:25], off
	v_mul_f32_e32 v24, 0xba036687, v34
	v_mul_f32_e32 v25, 0xbc520d21, v34
	;; [unrolled: 1-line block ×4, first 2 shown]
	v_cmp_ngt_f32_e64 s0, 0xc2ce8ed0, v24
	v_fma_f32 v43, 0x3fb8aa3b, v24, -v41
	v_rndne_f32_e32 v44, v41
	v_fma_f32 v45, 0x3fb8aa3b, v25, -v42
	v_rndne_f32_e32 v46, v42
	v_fmac_f32_e32 v43, 0x32a5705f, v24
	v_sub_f32_e32 v41, v41, v44
	v_fmac_f32_e32 v45, 0x32a5705f, v25
	v_sub_f32_e32 v42, v42, v46
	v_cvt_i32_f32_e32 v44, v44
	v_cvt_i32_f32_e32 v46, v46
	v_add_f32_e32 v41, v41, v43
	v_add_f32_e32 v42, v42, v45
	v_exp_f32_e32 v41, v41
	v_exp_f32_e32 v42, v42
	v_ldexp_f32 v41, v41, v44
	v_ldexp_f32 v42, v42, v46
	v_cndmask_b32_e64 v41, 0, v41, s0
	v_cmp_ngt_f32_e64 s0, 0xc2ce8ed0, v25
	v_cndmask_b32_e64 v42, 0, v42, s0
	v_cmp_nlt_f32_e64 s0, 0x42b17218, v24
	v_cndmask_b32_e64 v24, 0x7f800000, v41, s0
	v_cmp_nlt_f32_e64 s0, 0x42b17218, v25
	v_mul_f32_e32 v24, 0x3f2e147b, v24
	v_cndmask_b32_e64 v25, 0x7f800000, v42, s0
	v_cmp_ngt_f32_e64 s0, 0xc2ce8ed0, v47
	v_fmamk_f32 v24, v25, 0x3ea3d70a, v24
	s_waitcnt vmcnt(1)
	v_div_scale_f32 v43, null, v27, v27, 1.0
	v_div_scale_f32 v51, vcc_lo, 1.0, v27, 1.0
	v_rcp_f32_e32 v45, v43
	v_fma_f32 v44, -v43, v45, 1.0
	v_fmac_f32_e32 v45, v44, v45
	v_add_f32_e32 v44, v48, v49
	v_cvt_i32_f32_e32 v48, v50
	v_mul_f32_e32 v46, v51, v45
	v_exp_f32_e32 v44, v44
	v_fma_f32 v41, -v43, v46, v51
	v_fmac_f32_e32 v46, v41, v45
	v_ldexp_f32 v41, v44, v48
	v_fma_f32 v25, -v43, v46, v51
	v_cndmask_b32_e64 v41, 0, v41, s0
	v_div_fmas_f32 v25, v25, v45, v46
	v_cmp_nlt_f32_e32 vcc_lo, 0x42b17218, v47
	v_div_fixup_f32 v25, v25, v27, 1.0
	v_cndmask_b32_e32 v41, 0x7f800000, v41, vcc_lo
	v_mul_f32_e32 v25, v30, v25
	v_add_f32_e32 v24, v41, v24
	s_waitcnt vmcnt(0)
	v_mul_f32_e32 v41, v0, v25
	v_max_f32_e32 v24, 0x800000, v24
	v_fma_f32 v0, v0, v25, 1.0
	v_max_f32_e32 v43, 0x800000, v41
	v_cmp_gt_f32_e32 vcc_lo, 0x800000, v24
	v_div_scale_f32 v25, null, v0, v0, 1.0
	v_cmp_gt_f32_e64 s0, 0x800000, v43
	v_cndmask_b32_e64 v42, 0, 32, vcc_lo
	v_cndmask_b32_e64 v45, 0, 0x411a209b, vcc_lo
	v_ldexp_f32 v24, v24, v42
	v_cndmask_b32_e64 v42, 0, 32, s0
	v_log_f32_e32 v24, v24
	v_ldexp_f32 v42, v43, v42
	v_log_f32_e32 v42, v42
	v_mul_f32_e32 v43, 0x3e9a209a, v24
	v_cmp_gt_f32_e64 vcc_lo, 0x7f800000, |v24|
	v_fma_f32 v43, 0x3e9a209a, v24, -v43
	v_mul_f32_e32 v44, 0x3e9a209a, v42
	v_fmac_f32_e32 v43, 0x3284fbcf, v24
	v_fma_f32 v44, 0x3e9a209a, v42, -v44
	v_fmac_f32_e32 v43, 0x3e9a209a, v24
	v_fmac_f32_e32 v44, 0x3284fbcf, v42
	v_cndmask_b32_e32 v24, v24, v43, vcc_lo
	v_fmac_f32_e32 v44, 0x3e9a209a, v42
	v_cmp_gt_f32_e64 vcc_lo, 0x7f800000, |v42|
	v_cndmask_b32_e64 v43, 0, 0x411a209b, s0
	v_sub_f32_e32 v24, v24, v45
	v_rcp_f32_e32 v45, v25
	v_cndmask_b32_e32 v42, v42, v44, vcc_lo
	v_div_scale_f32 v49, vcc_lo, 1.0, v0, 1.0
	v_fmaak_f32 v44, s4, v24, 0x3ecccccd
	v_sub_f32_e32 v42, v42, v43
	v_fmaak_f32 v43, s5, v24, 0x3f400000
	v_fma_f32 v47, -v25, v45, 1.0
	v_sub_f32_e32 v42, v42, v44
	v_fmac_f32_e32 v45, v47, v45
	v_fmac_f32_e32 v43, 0xbe0f5c29, v42
	v_div_scale_f32 v44, null, v43, v43, 1.0
	v_div_scale_f32 v47, s0, 1.0, v43, 1.0
	v_rcp_f32_e32 v46, v44
	v_fma_f32 v48, -v44, v46, 1.0
	v_fmac_f32_e32 v46, v48, v46
	v_mul_f32_e32 v48, v49, v45
	v_mul_f32_e32 v50, v47, v46
	v_fma_f32 v51, -v25, v48, v49
	v_fma_f32 v52, -v44, v50, v47
	v_fmac_f32_e32 v48, v51, v45
	v_fmac_f32_e32 v50, v52, v46
	v_fma_f32 v25, -v25, v48, v49
	v_fma_f32 v44, -v44, v50, v47
	v_div_fmas_f32 v25, v25, v45, v48
	s_mov_b32 vcc_lo, s0
	v_div_fmas_f32 v44, v44, v46, v50
	v_div_fixup_f32 v0, v25, v0, 1.0
	v_div_fixup_f32 v43, v44, v43, 1.0
	v_mul_f32_e32 v41, v41, v0
	v_lshl_add_u32 v0, s6, 3, v26
	v_mul_f32_e32 v42, v42, v43
	v_fma_f32 v42, v42, v42, 1.0
	v_div_scale_f32 v43, null, v42, v42, 1.0
	v_div_scale_f32 v46, vcc_lo, 1.0, v42, 1.0
	v_rcp_f32_e32 v44, v43
	v_fma_f32 v45, -v43, v44, 1.0
	v_fmac_f32_e32 v44, v45, v44
	v_mul_f32_e32 v45, v46, v44
	v_fma_f32 v47, -v43, v45, v46
	v_fmac_f32_e32 v45, v47, v44
	v_fma_f32 v43, -v43, v45, v46
	v_div_fmas_f32 v43, v43, v44, v45
	v_div_fixup_f32 v42, v43, v42, 1.0
	v_mul_f32_e32 v24, v24, v42
	v_mul_f32_e32 v42, 0x40549a78, v24
	v_cmp_ngt_f32_e32 vcc_lo, 0xc23369f4, v24
	v_fma_f32 v43, 0x40549a78, v24, -v42
	v_rndne_f32_e32 v44, v42
	v_fmac_f32_e32 v43, 0x33979a37, v24
	v_sub_f32_e32 v42, v42, v44
	v_add_f32_e32 v42, v42, v43
	v_cvt_i32_f32_e32 v43, v44
	v_exp_f32_e32 v42, v42
	v_ldexp_f32 v42, v42, v43
	v_cndmask_b32_e32 v25, 0, v42, vcc_lo
	v_cmp_nlt_f32_e32 vcc_lo, 0x421a209b, v24
	v_cndmask_b32_e32 v24, 0x7f800000, v25, vcc_lo
	v_mul_f32_e32 v41, v41, v24
	v_lshlrev_b64 v[24:25], 2, v[0:1]
	v_mul_f32_e32 v42, v27, v41
	v_add_co_u32 v26, vcc_lo, s12, v24
	v_add_co_ci_u32_e64 v27, null, s13, v25, vcc_lo
	global_store_dword v[28:29], v42, off
	v_add_co_u32 v12, vcc_lo, s2, v12
	global_load_dword v28, v[26:27], off
	v_add_co_ci_u32_e64 v13, null, s3, v13, vcc_lo
	v_mul_f32_e32 v29, 0xbb6e500f, v34
	v_add_co_u32 v14, vcc_lo, s14, v14
	global_load_dword v12, v[12:13], off
	v_mul_f32_e32 v13, 0xba55d210, v34
	v_mul_f32_e32 v43, 0x3fb8aa3b, v29
	v_add_co_ci_u32_e64 v15, null, s15, v15, vcc_lo
	v_mul_f32_e32 v42, 0x3fb8aa3b, v13
	v_fma_f32 v46, 0x3fb8aa3b, v29, -v43
	v_rndne_f32_e32 v47, v43
	v_cmp_ngt_f32_e64 s0, 0xc2ce8ed0, v13
	global_load_dword v50, v[14:15], off
	v_fma_f32 v44, 0x3fb8aa3b, v13, -v42
	v_rndne_f32_e32 v45, v42
	v_fmac_f32_e32 v46, 0x32a5705f, v29
	v_sub_f32_e32 v43, v43, v47
	v_cvt_i32_f32_e32 v47, v47
	v_fmac_f32_e32 v44, 0x32a5705f, v13
	v_sub_f32_e32 v42, v42, v45
	v_cvt_i32_f32_e32 v45, v45
	v_add_f32_e32 v43, v43, v46
	v_add_f32_e32 v42, v42, v44
	v_mul_f32_e32 v44, 0xc5a20800, v32
	v_exp_f32_e32 v43, v43
	v_exp_f32_e32 v42, v42
	v_mul_f32_e32 v49, 0x3fb8aa3b, v44
	v_fma_f32 v51, 0x3fb8aa3b, v44, -v49
	v_rndne_f32_e32 v52, v49
	v_ldexp_f32 v43, v43, v47
	v_ldexp_f32 v42, v42, v45
	v_fmac_f32_e32 v51, 0x32a5705f, v44
	v_sub_f32_e32 v49, v49, v52
	v_cndmask_b32_e64 v42, 0, v42, s0
	v_cmp_ngt_f32_e64 s0, 0xc2ce8ed0, v29
	v_cndmask_b32_e64 v43, 0, v43, s0
	v_cmp_nlt_f32_e64 s0, 0x42b17218, v13
	v_cndmask_b32_e64 v13, 0x7f800000, v42, s0
	v_cmp_nlt_f32_e64 s0, 0x42b17218, v29
	v_mul_f32_e32 v13, 0x3f17381d, v13
	v_cndmask_b32_e64 v29, 0x7f800000, v43, s0
	v_cmp_ngt_f32_e64 s0, 0xc2ce8ed0, v44
	v_fmamk_f32 v13, v29, 0x3ed18fc5, v13
	s_waitcnt vmcnt(2)
	v_div_scale_f32 v48, null, v28, v28, 1.0
	v_div_scale_f32 v53, vcc_lo, 1.0, v28, 1.0
	v_rcp_f32_e32 v46, v48
	v_fma_f32 v45, -v48, v46, 1.0
	v_fmac_f32_e32 v46, v45, v46
	v_add_f32_e32 v45, v49, v51
	v_cvt_i32_f32_e32 v49, v52
	v_mul_f32_e32 v47, v53, v46
	v_exp_f32_e32 v45, v45
	v_fma_f32 v42, -v48, v47, v53
	v_fmac_f32_e32 v47, v42, v46
	v_ldexp_f32 v42, v45, v49
	v_fma_f32 v29, -v48, v47, v53
	v_cndmask_b32_e64 v42, 0, v42, s0
	v_div_fmas_f32 v29, v29, v46, v47
	v_cmp_nlt_f32_e32 vcc_lo, 0x42b17218, v44
	v_div_fixup_f32 v29, v29, v28, 1.0
	v_cndmask_b32_e32 v42, 0x7f800000, v42, vcc_lo
	v_mul_f32_e32 v29, v30, v29
	v_add_f32_e32 v13, v42, v13
	s_waitcnt vmcnt(1)
	v_mul_f32_e32 v44, v12, v29
	v_max_f32_e32 v13, 0x800000, v13
	v_fma_f32 v12, v12, v29, 1.0
	v_max_f32_e32 v43, 0x800000, v44
	v_cmp_gt_f32_e32 vcc_lo, 0x800000, v13
	v_div_scale_f32 v29, null, v12, v12, 1.0
	v_cmp_gt_f32_e64 s0, 0x800000, v43
	v_cndmask_b32_e64 v42, 0, 32, vcc_lo
	v_cndmask_b32_e64 v46, 0, 0x411a209b, vcc_lo
	v_ldexp_f32 v13, v13, v42
	v_cndmask_b32_e64 v42, 0, 32, s0
	v_log_f32_e32 v13, v13
	v_ldexp_f32 v42, v43, v42
	v_log_f32_e32 v42, v42
	v_mul_f32_e32 v43, 0x3e9a209a, v13
	v_cmp_gt_f32_e64 vcc_lo, 0x7f800000, |v13|
	v_fma_f32 v43, 0x3e9a209a, v13, -v43
	v_mul_f32_e32 v45, 0x3e9a209a, v42
	v_fmac_f32_e32 v43, 0x3284fbcf, v13
	v_fma_f32 v45, 0x3e9a209a, v42, -v45
	v_fmac_f32_e32 v43, 0x3e9a209a, v13
	v_fmac_f32_e32 v45, 0x3284fbcf, v42
	v_cndmask_b32_e32 v13, v13, v43, vcc_lo
	v_fmac_f32_e32 v45, 0x3e9a209a, v42
	v_cmp_gt_f32_e64 vcc_lo, 0x7f800000, |v42|
	v_cndmask_b32_e64 v43, 0, 0x411a209b, s0
	v_sub_f32_e32 v13, v13, v46
	v_rcp_f32_e32 v46, v29
	v_cndmask_b32_e32 v42, v42, v45, vcc_lo
	v_div_scale_f32 v51, vcc_lo, 1.0, v12, 1.0
	v_fmaak_f32 v45, s4, v13, 0x3ecccccd
	v_sub_f32_e32 v42, v42, v43
	v_fmaak_f32 v43, s5, v13, 0x3f400000
	v_fma_f32 v48, -v29, v46, 1.0
	v_sub_f32_e32 v42, v42, v45
	v_fmac_f32_e32 v46, v48, v46
	v_fmac_f32_e32 v43, 0xbe0f5c29, v42
	v_div_scale_f32 v45, null, v43, v43, 1.0
	v_div_scale_f32 v48, s0, 1.0, v43, 1.0
	v_rcp_f32_e32 v47, v45
	v_fma_f32 v49, -v45, v47, 1.0
	v_fmac_f32_e32 v47, v49, v47
	v_mul_f32_e32 v49, v51, v46
	v_mul_f32_e32 v52, v48, v47
	v_fma_f32 v53, -v29, v49, v51
	v_fma_f32 v54, -v45, v52, v48
	v_fmac_f32_e32 v49, v53, v46
	v_fmac_f32_e32 v52, v54, v47
	v_fma_f32 v29, -v29, v49, v51
	v_fma_f32 v45, -v45, v52, v48
	v_div_fmas_f32 v29, v29, v46, v49
	s_mov_b32 vcc_lo, s0
	v_div_fmas_f32 v45, v45, v47, v52
	v_div_fixup_f32 v12, v29, v12, 1.0
	v_div_fixup_f32 v43, v45, v43, 1.0
	v_mul_f32_e32 v42, v42, v43
	v_fma_f32 v42, v42, v42, 1.0
	v_div_scale_f32 v43, null, v42, v42, 1.0
	v_div_scale_f32 v47, vcc_lo, 1.0, v42, 1.0
	v_rcp_f32_e32 v45, v43
	v_fma_f32 v46, -v43, v45, 1.0
	v_fmac_f32_e32 v45, v46, v45
	v_mul_f32_e32 v46, v47, v45
	v_fma_f32 v48, -v43, v46, v47
	v_fmac_f32_e32 v46, v48, v45
	v_fma_f32 v43, -v43, v46, v47
	v_div_fmas_f32 v43, v43, v45, v46
	v_div_fixup_f32 v42, v43, v42, 1.0
	v_mul_f32_e32 v13, v13, v42
	v_mul_f32_e32 v42, 0x40549a78, v13
	v_cmp_ngt_f32_e32 vcc_lo, 0xc23369f4, v13
	v_fma_f32 v43, 0x40549a78, v13, -v42
	v_rndne_f32_e32 v45, v42
	v_fmac_f32_e32 v43, 0x33979a37, v13
	v_sub_f32_e32 v42, v42, v45
	v_add_f32_e32 v42, v42, v43
	v_cvt_i32_f32_e32 v43, v45
	v_exp_f32_e32 v42, v42
	v_ldexp_f32 v42, v42, v43
	v_cndmask_b32_e32 v29, 0, v42, vcc_lo
	v_cmp_nlt_f32_e32 vcc_lo, 0x421a209b, v13
	v_mad_u64_u32 v[42:43], null, s6, 15, v[0:1]
	v_mul_f32_e32 v0, v44, v12
	v_mov_b32_e32 v43, v1
	v_cndmask_b32_e32 v12, 0x7f800000, v29, vcc_lo
	v_mul_f32_e32 v0, v0, v12
	v_lshlrev_b64 v[12:13], 2, v[42:43]
	v_mul_f32_e32 v43, v28, v0
	v_add_co_u32 v28, vcc_lo, s12, v12
	v_add_co_ci_u32_e64 v29, null, s13, v13, vcc_lo
	global_store_dword v[26:27], v43, off
	v_add_co_u32 v16, vcc_lo, s14, v16
	global_load_dword v43, v[28:29], off
	s_waitcnt vmcnt(1)
	v_mul_f32_e32 v26, v50, v37
	v_add_co_ci_u32_e64 v17, null, s15, v17, vcc_lo
	v_add_co_u32 v10, vcc_lo, s2, v10
	global_store_dword v[14:15], v26, off
	global_load_dword v14, v[16:17], off
	v_add_co_ci_u32_e64 v11, null, s3, v11, vcc_lo
	v_mul_f32_e32 v37, 0xc5834000, v32
	global_load_dword v10, v[10:11], off
	v_mul_f32_e32 v11, 0xba2894d3, v34
	v_mul_f32_e32 v15, 0x3fb8aa3b, v11
	v_cmp_ngt_f32_e64 s0, 0xc2ce8ed0, v11
	v_fma_f32 v26, 0x3fb8aa3b, v11, -v15
	v_rndne_f32_e32 v27, v15
	v_fmac_f32_e32 v26, 0x32a5705f, v11
	v_sub_f32_e32 v15, v15, v27
	v_cvt_i32_f32_e32 v27, v27
	v_add_f32_e32 v15, v15, v26
	v_mul_f32_e32 v26, 0x3fb8aa3b, v37
	v_exp_f32_e32 v15, v15
	v_fma_f32 v46, 0x3fb8aa3b, v37, -v26
	v_rndne_f32_e32 v47, v26
	v_fmac_f32_e32 v46, 0x32a5705f, v37
	v_sub_f32_e32 v26, v26, v47
	v_ldexp_f32 v15, v15, v27
	v_add_f32_e32 v26, v26, v46
	v_cndmask_b32_e64 v15, 0, v15, s0
	v_cmp_nlt_f32_e64 s0, 0x42b17218, v11
	v_exp_f32_e32 v26, v26
	v_cndmask_b32_e64 v11, 0x7f800000, v15, s0
	v_cvt_i32_f32_e32 v15, v47
	v_mul_f32_e32 v11, 0x3f420c4a, v11
	v_ldexp_f32 v15, v26, v15
	v_add_co_u32 v26, s0, s14, v18
	v_fmamk_f32 v11, v36, 0x3e77ced9, v11
	s_waitcnt vmcnt(2)
	v_div_scale_f32 v44, null, v43, v43, 1.0
	v_div_scale_f32 v46, vcc_lo, 1.0, v43, 1.0
	v_rcp_f32_e32 v45, v44
	s_waitcnt vmcnt(1)
	v_mul_f32_e32 v14, v14, v38
	global_store_dword v[16:17], v14, off
	v_fma_f32 v48, -v44, v45, 1.0
	v_fmac_f32_e32 v45, v48, v45
	v_mul_f32_e32 v48, v46, v45
	v_fma_f32 v27, -v44, v48, v46
	v_fmac_f32_e32 v48, v27, v45
	v_add_co_ci_u32_e64 v27, null, s15, v19, s0
	v_cmp_ngt_f32_e64 s0, 0xc2ce8ed0, v37
	v_fma_f32 v18, -v44, v48, v46
	global_load_dword v36, v[26:27], off
	v_cndmask_b32_e64 v15, 0, v15, s0
	v_div_fmas_f32 v18, v18, v45, v48
	v_cmp_nlt_f32_e32 vcc_lo, 0x42b17218, v37
	v_div_fixup_f32 v14, v18, v43, 1.0
	v_cndmask_b32_e32 v15, 0x7f800000, v15, vcc_lo
	v_mul_f32_e32 v14, v30, v14
	v_add_f32_e32 v11, v15, v11
	s_waitcnt vmcnt(1)
	v_mul_f32_e32 v15, v10, v14
	v_max_f32_e32 v11, 0x800000, v11
	v_fma_f32 v10, v10, v14, 1.0
	v_max_f32_e32 v17, 0x800000, v15
	v_cmp_gt_f32_e32 vcc_lo, 0x800000, v11
	v_div_scale_f32 v14, null, v10, v10, 1.0
	v_cmp_gt_f32_e64 s0, 0x800000, v17
	v_cndmask_b32_e64 v16, 0, 32, vcc_lo
	v_cndmask_b32_e64 v19, 0, 0x411a209b, vcc_lo
	v_ldexp_f32 v11, v11, v16
	v_cndmask_b32_e64 v16, 0, 32, s0
	v_log_f32_e32 v11, v11
	v_ldexp_f32 v16, v17, v16
	v_log_f32_e32 v16, v16
	v_mul_f32_e32 v17, 0x3e9a209a, v11
	v_cmp_gt_f32_e64 vcc_lo, 0x7f800000, |v11|
	v_fma_f32 v17, 0x3e9a209a, v11, -v17
	v_mul_f32_e32 v18, 0x3e9a209a, v16
	v_fmac_f32_e32 v17, 0x3284fbcf, v11
	v_fma_f32 v18, 0x3e9a209a, v16, -v18
	v_fmac_f32_e32 v17, 0x3e9a209a, v11
	v_fmac_f32_e32 v18, 0x3284fbcf, v16
	v_cndmask_b32_e32 v11, v11, v17, vcc_lo
	v_fmac_f32_e32 v18, 0x3e9a209a, v16
	v_cmp_gt_f32_e64 vcc_lo, 0x7f800000, |v16|
	v_cndmask_b32_e64 v17, 0, 0x411a209b, s0
	v_sub_f32_e32 v11, v11, v19
	v_rcp_f32_e32 v19, v14
	v_cndmask_b32_e32 v16, v16, v18, vcc_lo
	v_div_scale_f32 v45, vcc_lo, 1.0, v10, 1.0
	v_fmaak_f32 v18, s4, v11, 0x3ecccccd
	v_sub_f32_e32 v16, v16, v17
	v_fmaak_f32 v17, s5, v11, 0x3f400000
	v_fma_f32 v38, -v14, v19, 1.0
	v_sub_f32_e32 v16, v16, v18
	v_fmac_f32_e32 v19, v38, v19
	v_fmac_f32_e32 v17, 0xbe0f5c29, v16
	v_div_scale_f32 v18, null, v17, v17, 1.0
	v_div_scale_f32 v38, s0, 1.0, v17, 1.0
	v_rcp_f32_e32 v37, v18
	v_fma_f32 v44, -v18, v37, 1.0
	v_fmac_f32_e32 v37, v44, v37
	v_mul_f32_e32 v44, v45, v19
	v_mul_f32_e32 v46, v38, v37
	v_fma_f32 v47, -v14, v44, v45
	v_fma_f32 v48, -v18, v46, v38
	v_fmac_f32_e32 v44, v47, v19
	v_fmac_f32_e32 v46, v48, v37
	v_fma_f32 v14, -v14, v44, v45
	v_fma_f32 v18, -v18, v46, v38
	v_div_fmas_f32 v14, v14, v19, v44
	s_mov_b32 vcc_lo, s0
	v_div_fmas_f32 v18, v18, v37, v46
	v_div_fixup_f32 v10, v14, v10, 1.0
	v_div_fixup_f32 v17, v18, v17, 1.0
	v_mul_f32_e32 v10, v15, v10
	v_mul_f32_e32 v16, v16, v17
	v_fma_f32 v16, v16, v16, 1.0
	v_div_scale_f32 v17, null, v16, v16, 1.0
	v_div_scale_f32 v37, vcc_lo, 1.0, v16, 1.0
	v_rcp_f32_e32 v18, v17
	v_fma_f32 v19, -v17, v18, 1.0
	v_fmac_f32_e32 v18, v19, v18
	v_mul_f32_e32 v19, v37, v18
	v_fma_f32 v38, -v17, v19, v37
	v_fmac_f32_e32 v19, v38, v18
	v_fma_f32 v17, -v17, v19, v37
	v_div_fmas_f32 v17, v17, v18, v19
	v_div_fixup_f32 v16, v17, v16, 1.0
	v_mul_f32_e32 v11, v11, v16
	v_mul_f32_e32 v16, 0x40549a78, v11
	v_cmp_ngt_f32_e32 vcc_lo, 0xc23369f4, v11
	v_fma_f32 v17, 0x40549a78, v11, -v16
	v_rndne_f32_e32 v18, v16
	v_fmac_f32_e32 v17, 0x33979a37, v11
	v_sub_f32_e32 v16, v16, v18
	v_add_f32_e32 v16, v16, v17
	v_cvt_i32_f32_e32 v17, v18
	v_exp_f32_e32 v16, v16
	v_ldexp_f32 v16, v16, v17
	v_cndmask_b32_e32 v14, 0, v16, vcc_lo
	v_cmp_nlt_f32_e32 vcc_lo, 0x421a209b, v11
	v_mad_u64_u32 v[16:17], null, s6, 7, v[42:43]
	v_mov_b32_e32 v17, v1
	v_cndmask_b32_e32 v11, 0x7f800000, v14, vcc_lo
	v_mul_f32_e32 v19, v10, v11
	v_lshlrev_b64 v[10:11], 2, v[16:17]
	v_mul_f32_e32 v17, v43, v19
	v_add_co_u32 v14, vcc_lo, s12, v10
	v_add_co_ci_u32_e64 v15, null, s13, v11, vcc_lo
	global_store_dword v[28:29], v17, off
	v_add_co_u32 v22, vcc_lo, s14, v22
	global_load_dword v18, v[14:15], off
	v_add_co_ci_u32_e64 v23, null, s15, v23, vcc_lo
	v_add_co_u32 v8, vcc_lo, s2, v8
	v_add_co_ci_u32_e64 v9, null, s3, v9, vcc_lo
	s_waitcnt vmcnt(1)
	v_mul_f32_e32 v17, v36, v39
	v_mul_f32_e32 v39, 0xc5d9a000, v32
	global_store_dword v[26:27], v17, off
	global_load_dword v17, v[22:23], off
	global_load_dword v8, v[8:9], off
	v_mul_f32_e32 v9, 0xbc5d67c9, v34
	v_mul_f32_e32 v26, 0xb9b244c4, v34
	v_mul_f32_e32 v27, 0x3fb8aa3b, v9
	v_mul_f32_e32 v28, 0x3fb8aa3b, v26
	v_cmp_ngt_f32_e64 s0, 0xc2ce8ed0, v26
	v_fma_f32 v29, 0x3fb8aa3b, v9, -v27
	v_rndne_f32_e32 v36, v27
	v_fma_f32 v37, 0x3fb8aa3b, v26, -v28
	v_rndne_f32_e32 v38, v28
	v_fmac_f32_e32 v29, 0x32a5705f, v9
	v_sub_f32_e32 v27, v27, v36
	v_fmac_f32_e32 v37, 0x32a5705f, v26
	v_sub_f32_e32 v28, v28, v38
	v_cvt_i32_f32_e32 v36, v36
	v_cvt_i32_f32_e32 v38, v38
	v_add_f32_e32 v27, v27, v29
	v_mul_f32_e32 v29, 0x3fb8aa3b, v39
	v_add_f32_e32 v28, v28, v37
	v_exp_f32_e32 v27, v27
	v_fma_f32 v37, 0x3fb8aa3b, v39, -v29
	v_exp_f32_e32 v28, v28
	v_rndne_f32_e32 v44, v29
	v_fmac_f32_e32 v37, 0x32a5705f, v39
	v_sub_f32_e32 v29, v29, v44
	v_ldexp_f32 v27, v27, v36
	v_ldexp_f32 v28, v28, v38
	v_add_f32_e32 v29, v29, v37
	v_cndmask_b32_e64 v28, 0, v28, s0
	v_cmp_ngt_f32_e64 s0, 0xc2ce8ed0, v9
	v_exp_f32_e32 v29, v29
	v_cndmask_b32_e64 v27, 0, v27, s0
	v_cmp_nlt_f32_e64 s0, 0x42b17218, v26
	v_cndmask_b32_e64 v26, 0x7f800000, v28, s0
	v_cmp_nlt_f32_e64 s0, 0x42b17218, v9
	v_mul_f32_e32 v26, 0x3f4872b0, v26
	v_cndmask_b32_e64 v9, 0x7f800000, v27, s0
	v_cmp_ngt_f32_e64 s0, 0xc2ce8ed0, v39
	v_fmamk_f32 v9, v9, 0x3e5e353f, v26
	s_waitcnt vmcnt(2)
	v_div_scale_f32 v42, null, v18, v18, 1.0
	v_div_scale_f32 v37, vcc_lo, 1.0, v18, 1.0
	v_rcp_f32_e32 v43, v42
	v_fma_f32 v36, -v42, v43, 1.0
	v_fmac_f32_e32 v43, v36, v43
	v_cvt_i32_f32_e32 v36, v44
	v_mul_f32_e32 v38, v37, v43
	v_ldexp_f32 v29, v29, v36
	v_fma_f32 v28, -v42, v38, v37
	v_cndmask_b32_e64 v27, 0, v29, s0
	v_cmp_nlt_f32_e64 s0, 0x42b17218, v39
	v_fmac_f32_e32 v38, v28, v43
	v_cndmask_b32_e64 v27, 0x7f800000, v27, s0
	v_fma_f32 v26, -v42, v38, v37
	v_add_f32_e32 v9, v27, v9
	s_waitcnt vmcnt(1)
	v_mul_f32_e32 v17, v17, v40
	v_div_fmas_f32 v26, v26, v43, v38
	v_max_f32_e32 v9, 0x800000, v9
	global_store_dword v[22:23], v17, off
	v_div_fixup_f32 v26, v26, v18, 1.0
	v_cmp_gt_f32_e32 vcc_lo, 0x800000, v9
	v_mul_f32_e32 v28, v30, v26
	v_add_co_u32 v26, s0, s14, v20
	v_cndmask_b32_e64 v29, 0, 32, vcc_lo
	v_add_co_ci_u32_e64 v27, null, s15, v21, s0
	s_waitcnt vmcnt(0)
	v_mul_f32_e32 v36, v8, v28
	v_cndmask_b32_e64 v22, 0, 0x411a209b, vcc_lo
	v_ldexp_f32 v9, v9, v29
	global_load_dword v23, v[26:27], off
	v_fma_f32 v8, v8, v28, 1.0
	v_max_f32_e32 v20, 0x800000, v36
	v_log_f32_e32 v9, v9
	v_cmp_gt_f32_e64 s0, 0x800000, v20
	v_cndmask_b32_e64 v17, 0, 32, s0
	v_cmp_gt_f32_e64 vcc_lo, 0x7f800000, |v9|
	v_ldexp_f32 v17, v20, v17
	v_mul_f32_e32 v20, 0x3e9a209a, v9
	v_log_f32_e32 v17, v17
	v_fma_f32 v20, 0x3e9a209a, v9, -v20
	v_fmac_f32_e32 v20, 0x3284fbcf, v9
	v_mul_f32_e32 v21, 0x3e9a209a, v17
	v_fmac_f32_e32 v20, 0x3e9a209a, v9
	v_fma_f32 v21, 0x3e9a209a, v17, -v21
	v_cndmask_b32_e32 v9, v9, v20, vcc_lo
	v_cmp_gt_f32_e64 vcc_lo, 0x7f800000, |v17|
	v_cndmask_b32_e64 v20, 0, 0x411a209b, s0
	v_fmac_f32_e32 v21, 0x3284fbcf, v17
	v_sub_f32_e32 v9, v9, v22
	v_fmac_f32_e32 v21, 0x3e9a209a, v17
	v_cndmask_b32_e32 v17, v17, v21, vcc_lo
	v_fmaak_f32 v21, s4, v9, 0x3ecccccd
	v_div_scale_f32 v39, vcc_lo, 1.0, v8, 1.0
	v_sub_f32_e32 v17, v17, v20
	v_fmaak_f32 v20, s5, v9, 0x3f400000
	v_sub_f32_e32 v17, v17, v21
	v_div_scale_f32 v21, null, v8, v8, 1.0
	v_fmac_f32_e32 v20, 0xbe0f5c29, v17
	v_rcp_f32_e32 v28, v21
	v_div_scale_f32 v22, null, v20, v20, 1.0
	v_rcp_f32_e32 v29, v22
	v_fma_f32 v37, -v21, v28, 1.0
	v_fmac_f32_e32 v28, v37, v28
	v_div_scale_f32 v37, s0, 1.0, v20, 1.0
	v_fma_f32 v38, -v22, v29, 1.0
	v_fmac_f32_e32 v29, v38, v29
	v_mul_f32_e32 v38, v39, v28
	v_mul_f32_e32 v40, v37, v29
	v_fma_f32 v42, -v21, v38, v39
	v_fma_f32 v43, -v22, v40, v37
	v_fmac_f32_e32 v38, v42, v28
	v_fmac_f32_e32 v40, v43, v29
	v_fma_f32 v21, -v21, v38, v39
	v_fma_f32 v22, -v22, v40, v37
	v_div_fmas_f32 v28, v21, v28, v38
	s_mov_b32 vcc_lo, s0
	v_mul_f32_e32 v38, 0xc59f2800, v32
	v_div_fmas_f32 v21, v22, v29, v40
	v_div_fixup_f32 v8, v28, v8, 1.0
	v_div_fixup_f32 v20, v21, v20, 1.0
	v_mul_f32_e32 v8, v36, v8
	v_mul_f32_e32 v17, v17, v20
	v_fma_f32 v17, v17, v17, 1.0
	v_div_scale_f32 v20, null, v17, v17, 1.0
	v_div_scale_f32 v29, vcc_lo, 1.0, v17, 1.0
	v_rcp_f32_e32 v21, v20
	v_fma_f32 v22, -v20, v21, 1.0
	v_fmac_f32_e32 v21, v22, v21
	v_mul_f32_e32 v22, v29, v21
	v_fma_f32 v37, -v20, v22, v29
	v_fmac_f32_e32 v22, v37, v21
	v_fma_f32 v20, -v20, v22, v29
	v_div_fmas_f32 v20, v20, v21, v22
	v_div_fixup_f32 v17, v20, v17, 1.0
	v_mul_f32_e32 v9, v9, v17
	v_mul_f32_e32 v17, 0x40549a78, v9
	v_cmp_ngt_f32_e32 vcc_lo, 0xc23369f4, v9
	v_fma_f32 v20, 0x40549a78, v9, -v17
	v_rndne_f32_e32 v21, v17
	v_fmac_f32_e32 v20, 0x33979a37, v9
	v_sub_f32_e32 v17, v17, v21
	v_add_f32_e32 v17, v17, v20
	v_cvt_i32_f32_e32 v20, v21
	v_exp_f32_e32 v17, v17
	v_mad_u64_u32 v[21:22], null, 0xffffffbb, s6, v[16:17]
	v_ldexp_f32 v16, v17, v20
	v_mov_b32_e32 v22, v1
	v_cndmask_b32_e32 v20, 0, v16, vcc_lo
	v_cmp_nlt_f32_e32 vcc_lo, 0x421a209b, v9
	v_mad_u64_u32 v[16:17], null, 0x50, s6, v[21:22]
	v_mov_b32_e32 v17, v1
	v_lshlrev_b64 v[21:22], 2, v[21:22]
	v_cndmask_b32_e32 v9, 0x7f800000, v20, vcc_lo
	v_mul_f32_e32 v20, v8, v9
	v_lshlrev_b64 v[8:9], 2, v[16:17]
	v_mul_f32_e32 v28, v18, v20
	v_add_co_u32 v17, vcc_lo, s12, v8
	v_add_co_ci_u32_e64 v18, null, s13, v9, vcc_lo
	global_store_dword v[14:15], v28, off
	v_add_co_u32 v21, vcc_lo, s2, v21
	global_load_dword v14, v[17:18], off
	v_add_co_ci_u32_e64 v22, null, s3, v22, vcc_lo
	global_load_dword v15, v[21:22], off
	v_add_co_u32 v21, vcc_lo, s14, v24
	v_add_co_ci_u32_e64 v22, null, s15, v25, vcc_lo
	v_mul_f32_e32 v25, 0xb9fc4ddc, v34
	v_mul_f32_e32 v24, 0xbd9c9f71, v34
	v_cmp_ngt_f32_e64 s0, 0xc2ce8ed0, v25
	s_waitcnt vmcnt(2)
	v_mul_f32_e32 v23, v23, v41
	global_store_dword v[26:27], v23, off
	global_load_dword v23, v[21:22], off
	v_mul_f32_e32 v27, 0x3fb8aa3b, v25
	v_mul_f32_e32 v26, 0x3fb8aa3b, v24
	v_fma_f32 v36, 0x3fb8aa3b, v25, -v27
	v_rndne_f32_e32 v37, v27
	v_fma_f32 v28, 0x3fb8aa3b, v24, -v26
	v_rndne_f32_e32 v29, v26
	v_fmac_f32_e32 v36, 0x32a5705f, v25
	v_sub_f32_e32 v27, v27, v37
	v_fmac_f32_e32 v28, 0x32a5705f, v24
	v_sub_f32_e32 v26, v26, v29
	v_cvt_i32_f32_e32 v37, v37
	v_cvt_i32_f32_e32 v29, v29
	v_add_f32_e32 v27, v27, v36
	v_add_f32_e32 v26, v26, v28
	v_mul_f32_e32 v28, 0x3fb8aa3b, v38
	v_exp_f32_e32 v27, v27
	v_exp_f32_e32 v26, v26
	v_fma_f32 v36, 0x3fb8aa3b, v38, -v28
	v_rndne_f32_e32 v41, v28
	v_fmac_f32_e32 v36, 0x32a5705f, v38
	v_sub_f32_e32 v28, v28, v41
	v_ldexp_f32 v27, v27, v37
	v_ldexp_f32 v26, v26, v29
	v_add_f32_e32 v28, v28, v36
	v_cndmask_b32_e64 v27, 0, v27, s0
	v_cmp_ngt_f32_e64 s0, 0xc2ce8ed0, v24
	v_exp_f32_e32 v28, v28
	v_cndmask_b32_e64 v26, 0, v26, s0
	v_cmp_nlt_f32_e64 s0, 0x42b17218, v25
	v_cndmask_b32_e64 v25, 0x7f800000, v27, s0
	v_cmp_nlt_f32_e64 s0, 0x42b17218, v24
	v_mul_f32_e32 v25, 0x3f1e075f, v25
	v_cndmask_b32_e64 v24, 0x7f800000, v26, s0
	v_cmp_ngt_f32_e64 s0, 0xc2ce8ed0, v38
	v_fmamk_f32 v24, v24, 0x3ec3f141, v25
	s_waitcnt vmcnt(2)
	v_div_scale_f32 v39, null, v14, v14, 1.0
	v_div_scale_f32 v36, vcc_lo, 1.0, v14, 1.0
	v_rcp_f32_e32 v40, v39
	v_fma_f32 v29, -v39, v40, 1.0
	v_fmac_f32_e32 v40, v29, v40
	v_cvt_i32_f32_e32 v29, v41
	v_mul_f32_e32 v37, v36, v40
	v_ldexp_f32 v28, v28, v29
	v_fma_f32 v27, -v39, v37, v36
	v_cndmask_b32_e64 v26, 0, v28, s0
	v_cmp_nlt_f32_e64 s0, 0x42b17218, v38
	v_fmac_f32_e32 v37, v27, v40
	v_cndmask_b32_e64 v26, 0x7f800000, v26, s0
	v_fma_f32 v25, -v39, v37, v36
	v_add_f32_e32 v24, v26, v24
	v_div_fmas_f32 v25, v25, v40, v37
	v_max_f32_e32 v24, 0x800000, v24
	v_div_fixup_f32 v25, v25, v14, 1.0
	v_cmp_gt_f32_e32 vcc_lo, 0x800000, v24
	v_mul_f32_e32 v25, v30, v25
	v_cndmask_b32_e64 v26, 0, 32, vcc_lo
	s_waitcnt vmcnt(1)
	v_mul_f32_e32 v27, v15, v25
	v_fma_f32 v15, v15, v25, 1.0
	v_ldexp_f32 v24, v24, v26
	v_max_f32_e32 v26, 0x800000, v27
	s_waitcnt vmcnt(0)
	v_mul_f32_e32 v0, v23, v0
	v_log_f32_e32 v28, v24
	v_add_co_u32 v23, s1, s14, v12
	v_cmp_gt_f32_e64 s0, 0x800000, v26
	global_store_dword v[21:22], v0, off
	v_cndmask_b32_e64 v24, 0, 32, s0
	v_ldexp_f32 v24, v26, v24
	v_mul_f32_e32 v26, 0x3e9a209a, v28
	v_log_f32_e32 v29, v24
	v_add_co_ci_u32_e64 v24, null, s15, v13, s1
	v_fma_f32 v12, 0x3e9a209a, v28, -v26
	v_cndmask_b32_e64 v13, 0, 0x411a209b, vcc_lo
	v_cmp_gt_f32_e64 vcc_lo, 0x7f800000, |v28|
	global_load_dword v21, v[23:24], off
	v_add_co_u32 v8, s1, s14, v8
	v_fmac_f32_e32 v12, 0x3284fbcf, v28
	v_mul_f32_e32 v0, 0x3e9a209a, v29
	v_add_co_ci_u32_e64 v9, null, s15, v9, s1
	v_fmac_f32_e32 v12, 0x3e9a209a, v28
	v_fma_f32 v0, 0x3e9a209a, v29, -v0
	v_cndmask_b32_e32 v12, v28, v12, vcc_lo
	v_fmac_f32_e32 v0, 0x3284fbcf, v29
	v_cmp_gt_f32_e64 vcc_lo, 0x7f800000, |v29|
	v_sub_f32_e32 v12, v12, v13
	v_fmac_f32_e32 v0, 0x3e9a209a, v29
	v_cndmask_b32_e64 v13, 0, 0x411a209b, s0
	v_fmaak_f32 v22, s4, v12, 0x3ecccccd
	v_cndmask_b32_e32 v0, v29, v0, vcc_lo
	v_div_scale_f32 v37, vcc_lo, 1.0, v15, 1.0
	v_sub_f32_e32 v0, v0, v13
	v_fmaak_f32 v13, s5, v12, 0x3f400000
	v_sub_f32_e32 v0, v0, v22
	v_div_scale_f32 v22, null, v15, v15, 1.0
	v_fmac_f32_e32 v13, 0xbe0f5c29, v0
	v_rcp_f32_e32 v26, v22
	v_div_scale_f32 v25, null, v13, v13, 1.0
	v_rcp_f32_e32 v28, v25
	v_fma_f32 v29, -v22, v26, 1.0
	v_fmac_f32_e32 v26, v29, v26
	v_div_scale_f32 v29, s0, 1.0, v13, 1.0
	v_fma_f32 v36, -v25, v28, 1.0
	v_fmac_f32_e32 v28, v36, v28
	v_mul_f32_e32 v36, v37, v26
	v_mul_f32_e32 v38, v29, v28
	v_fma_f32 v39, -v22, v36, v37
	v_fma_f32 v40, -v25, v38, v29
	v_fmac_f32_e32 v36, v39, v26
	v_fmac_f32_e32 v38, v40, v28
	v_fma_f32 v22, -v22, v36, v37
	v_fma_f32 v25, -v25, v38, v29
	v_div_fmas_f32 v22, v22, v26, v36
	s_mov_b32 vcc_lo, s0
	v_div_fmas_f32 v25, v25, v28, v38
	v_div_fixup_f32 v13, v25, v13, 1.0
	v_mul_f32_e32 v0, v0, v13
	v_fma_f32 v0, v0, v0, 1.0
	v_div_scale_f32 v13, null, v0, v0, 1.0
	v_div_scale_f32 v28, vcc_lo, 1.0, v0, 1.0
	v_rcp_f32_e32 v25, v13
	v_fma_f32 v26, -v13, v25, 1.0
	v_fmac_f32_e32 v25, v26, v25
	v_mul_f32_e32 v26, v28, v25
	v_fma_f32 v29, -v13, v26, v28
	v_fmac_f32_e32 v26, v29, v25
	v_fma_f32 v13, -v13, v26, v28
	v_div_fmas_f32 v13, v13, v25, v26
	v_div_fixup_f32 v0, v13, v0, 1.0
	v_mul_f32_e32 v0, v12, v0
	v_mul_f32_e32 v12, 0x40549a78, v0
	v_cmp_ngt_f32_e32 vcc_lo, 0xc23369f4, v0
	v_fma_f32 v13, 0x40549a78, v0, -v12
	v_rndne_f32_e32 v25, v12
	v_fmac_f32_e32 v13, 0x33979a37, v0
	v_sub_f32_e32 v12, v12, v25
	v_add_f32_e32 v12, v12, v13
	v_cvt_i32_f32_e32 v13, v25
	v_exp_f32_e32 v12, v12
	v_ldexp_f32 v12, v12, v13
	v_div_fixup_f32 v13, v22, v15, 1.0
	v_cndmask_b32_e32 v12, 0, v12, vcc_lo
	v_cmp_nlt_f32_e32 vcc_lo, 0x421a209b, v0
	v_mul_f32_e32 v13, v27, v13
	v_lshl_add_u32 v0, s6, 2, v16
	v_mul_f32_e32 v27, 0xc59b5000, v32
	v_cndmask_b32_e32 v12, 0x7f800000, v12, vcc_lo
	v_mul_f32_e32 v29, 0x3fb8aa3b, v27
	v_mul_f32_e32 v16, v13, v12
	v_lshlrev_b64 v[12:13], 2, v[0:1]
	v_mul_f32_e32 v22, v14, v16
	v_add_co_u32 v14, vcc_lo, s12, v12
	v_add_co_ci_u32_e64 v15, null, s13, v13, vcc_lo
	global_store_dword v[17:18], v22, off
	v_add_co_u32 v6, vcc_lo, s2, v6
	global_load_dword v17, v[14:15], off
	v_add_co_ci_u32_e64 v7, null, s3, v7, vcc_lo
	global_load_dword v18, v[6:7], off
	v_add_co_u32 v6, vcc_lo, s14, v10
	v_add_co_ci_u32_e64 v7, null, s15, v11, vcc_lo
	v_mul_f32_e32 v11, 0xbbd901b2, v34
	s_waitcnt vmcnt(2)
	v_mul_f32_e32 v19, v21, v19
	v_mul_f32_e32 v21, 0x3fb8aa3b, v11
	global_store_dword v[23:24], v19, off
	global_load_dword v10, v[6:7], off
	v_mul_f32_e32 v19, 0xba7c8c16, v34
	v_fma_f32 v23, 0x3fb8aa3b, v11, -v21
	v_rndne_f32_e32 v24, v21
	v_mul_f32_e32 v22, 0x3fb8aa3b, v19
	v_fmac_f32_e32 v23, 0x32a5705f, v11
	v_sub_f32_e32 v21, v21, v24
	v_cvt_i32_f32_e32 v24, v24
	v_cmp_ngt_f32_e64 s0, 0xc2ce8ed0, v19
	v_fma_f32 v25, 0x3fb8aa3b, v19, -v22
	v_rndne_f32_e32 v26, v22
	v_add_f32_e32 v21, v21, v23
	v_fma_f32 v23, 0x3fb8aa3b, v27, -v29
	v_fmac_f32_e32 v25, 0x32a5705f, v19
	v_sub_f32_e32 v22, v22, v26
	v_exp_f32_e32 v21, v21
	v_cvt_i32_f32_e32 v26, v26
	v_fmac_f32_e32 v23, 0x32a5705f, v27
	v_add_f32_e32 v22, v22, v25
	v_rndne_f32_e32 v25, v29
	v_exp_f32_e32 v22, v22
	v_sub_f32_e32 v29, v29, v25
	v_ldexp_f32 v21, v21, v24
	v_cvt_i32_f32_e32 v25, v25
	v_add_f32_e32 v23, v29, v23
	v_ldexp_f32 v22, v22, v26
	v_exp_f32_e32 v23, v23
	v_cndmask_b32_e64 v22, 0, v22, s0
	v_cmp_ngt_f32_e64 s0, 0xc2ce8ed0, v11
	v_cndmask_b32_e64 v21, 0, v21, s0
	v_cmp_nlt_f32_e64 s0, 0x42b17218, v19
	v_cndmask_b32_e64 v19, 0x7f800000, v22, s0
	v_cmp_nlt_f32_e64 s0, 0x42b17218, v11
	v_ldexp_f32 v22, v23, v25
	v_mul_f32_e32 v19, 0x3f0851ec, v19
	v_cndmask_b32_e64 v11, 0x7f800000, v21, s0
	v_cmp_ngt_f32_e64 s0, 0xc2ce8ed0, v27
	v_fmamk_f32 v11, v11, 0x3eef5c29, v19
	v_cndmask_b32_e64 v22, 0, v22, s0
	s_waitcnt vmcnt(2)
	v_div_scale_f32 v28, null, v17, v17, 1.0
	v_div_scale_f32 v38, vcc_lo, 1.0, v17, 1.0
	v_rcp_f32_e32 v36, v28
	v_fma_f32 v37, -v28, v36, 1.0
	v_fmac_f32_e32 v36, v37, v36
	v_mul_f32_e32 v24, v38, v36
	v_fma_f32 v26, -v28, v24, v38
	v_fmac_f32_e32 v24, v26, v36
	v_fma_f32 v21, -v28, v24, v38
	v_div_fmas_f32 v21, v21, v36, v24
	v_cmp_nlt_f32_e32 vcc_lo, 0x42b17218, v27
	v_div_fixup_f32 v21, v21, v17, 1.0
	v_cndmask_b32_e32 v19, 0x7f800000, v22, vcc_lo
	v_add_f32_e32 v11, v19, v11
	v_mul_f32_e32 v19, v30, v21
	v_max_f32_e32 v11, 0x800000, v11
	s_waitcnt vmcnt(1)
	v_mul_f32_e32 v21, v18, v19
	v_cmp_gt_f32_e32 vcc_lo, 0x800000, v11
	v_max_f32_e32 v23, 0x800000, v21
	v_cndmask_b32_e64 v22, 0, 32, vcc_lo
	v_cmp_gt_f32_e64 s0, 0x800000, v23
	v_ldexp_f32 v11, v11, v22
	v_cndmask_b32_e64 v22, 0, 32, s0
	v_log_f32_e32 v11, v11
	v_ldexp_f32 v22, v23, v22
	v_log_f32_e32 v22, v22
	v_mul_f32_e32 v23, 0x3e9a209a, v11
	v_fma_f32 v23, 0x3e9a209a, v11, -v23
	v_mul_f32_e32 v24, 0x3e9a209a, v22
	s_waitcnt vmcnt(0)
	v_mul_f32_e32 v10, v10, v20
	v_cndmask_b32_e64 v20, 0, 0x411a209b, vcc_lo
	v_cmp_gt_f32_e64 vcc_lo, 0x7f800000, |v11|
	v_fmac_f32_e32 v23, 0x3284fbcf, v11
	v_fma_f32 v24, 0x3e9a209a, v22, -v24
	global_store_dword v[6:7], v10, off
	v_cndmask_b32_e64 v7, 0, 0x411a209b, s0
	v_fmac_f32_e32 v23, 0x3e9a209a, v11
	v_fmac_f32_e32 v24, 0x3284fbcf, v22
	v_cndmask_b32_e32 v11, v11, v23, vcc_lo
	global_load_dword v23, v[8:9], off
	v_fmac_f32_e32 v24, 0x3e9a209a, v22
	v_cmp_gt_f32_e64 vcc_lo, 0x7f800000, |v22|
	v_sub_f32_e32 v6, v11, v20
	v_cndmask_b32_e32 v10, v22, v24, vcc_lo
	v_fmaak_f32 v11, s4, v6, 0x3ecccccd
	v_sub_f32_e32 v7, v10, v7
	v_fmaak_f32 v10, s5, v6, 0x3f400000
	v_sub_f32_e32 v7, v7, v11
	v_fma_f32 v11, v18, v19, 1.0
	v_fmac_f32_e32 v10, 0xbe0f5c29, v7
	v_div_scale_f32 v18, null, v11, v11, 1.0
	v_div_scale_f32 v26, vcc_lo, 1.0, v11, 1.0
	v_div_scale_f32 v19, null, v10, v10, 1.0
	v_rcp_f32_e32 v20, v18
	v_rcp_f32_e32 v22, v19
	v_fma_f32 v24, -v18, v20, 1.0
	v_fma_f32 v25, -v19, v22, 1.0
	v_fmac_f32_e32 v20, v24, v20
	v_div_scale_f32 v24, s0, 1.0, v10, 1.0
	v_fmac_f32_e32 v22, v25, v22
	v_mul_f32_e32 v25, v26, v20
	v_mul_f32_e32 v27, v24, v22
	v_fma_f32 v28, -v18, v25, v26
	v_fma_f32 v29, -v19, v27, v24
	v_fmac_f32_e32 v25, v28, v20
	v_fmac_f32_e32 v27, v29, v22
	v_fma_f32 v18, -v18, v25, v26
	v_fma_f32 v19, -v19, v27, v24
	v_div_fmas_f32 v18, v18, v20, v25
	s_mov_b32 vcc_lo, s0
	v_div_fmas_f32 v19, v19, v22, v27
	v_div_fixup_f32 v11, v18, v11, 1.0
	v_div_fixup_f32 v10, v19, v10, 1.0
	v_mul_f32_e32 v7, v7, v10
	v_fma_f32 v7, v7, v7, 1.0
	v_div_scale_f32 v10, null, v7, v7, 1.0
	v_div_scale_f32 v22, vcc_lo, 1.0, v7, 1.0
	v_rcp_f32_e32 v19, v10
	v_fma_f32 v20, -v10, v19, 1.0
	v_fmac_f32_e32 v19, v20, v19
	v_mul_f32_e32 v20, v22, v19
	v_fma_f32 v24, -v10, v20, v22
	v_fmac_f32_e32 v20, v24, v19
	v_fma_f32 v10, -v10, v20, v22
	v_div_fmas_f32 v10, v10, v19, v20
	v_div_fixup_f32 v7, v10, v7, 1.0
	v_mul_f32_e32 v10, v6, v7
	v_mul_f32_e32 v6, 0x40549a78, v10
	v_cmp_ngt_f32_e32 vcc_lo, 0xc23369f4, v10
	v_fma_f32 v7, 0x40549a78, v10, -v6
	v_rndne_f32_e32 v19, v6
	v_fmac_f32_e32 v7, 0x33979a37, v10
	v_sub_f32_e32 v6, v6, v19
	v_add_f32_e32 v6, v6, v7
	v_cvt_i32_f32_e32 v7, v19
	v_exp_f32_e32 v6, v6
	v_ldexp_f32 v6, v6, v7
	v_cndmask_b32_e32 v18, 0, v6, vcc_lo
	v_cmp_nlt_f32_e32 vcc_lo, 0x421a209b, v10
	v_mad_u64_u32 v[6:7], null, s6, 21, v[0:1]
	v_mul_f32_e32 v0, v21, v11
	v_mov_b32_e32 v7, v1
	v_cndmask_b32_e32 v10, 0x7f800000, v18, vcc_lo
	v_mul_f32_e32 v0, v0, v10
	v_lshlrev_b64 v[10:11], 2, v[6:7]
	v_mul_f32_e32 v7, v17, v0
	v_add_co_u32 v17, vcc_lo, s12, v10
	v_add_co_ci_u32_e64 v18, null, s13, v11, vcc_lo
	global_store_dword v[14:15], v7, off
	v_add_co_u32 v4, vcc_lo, s2, v4
	global_load_dword v14, v[17:18], off
	v_add_co_ci_u32_e64 v5, null, s3, v5, vcc_lo
	global_load_dword v15, v[4:5], off
	v_add_co_u32 v4, vcc_lo, s14, v12
	v_add_co_ci_u32_e64 v5, null, s15, v13, vcc_lo
	s_waitcnt vmcnt(2)
	v_mul_f32_e32 v7, v23, v16
	global_store_dword v[8:9], v7, off
	global_load_dword v9, v[4:5], off
	s_waitcnt vmcnt(2)
	v_div_scale_f32 v7, null, v14, v14, 1.0
	v_div_scale_f32 v13, vcc_lo, 1.0, v14, 1.0
	v_rcp_f32_e32 v8, v7
	v_fma_f32 v12, -v7, v8, 1.0
	v_fmac_f32_e32 v8, v12, v8
	v_mul_f32_e32 v12, v13, v8
	v_fma_f32 v16, -v7, v12, v13
	v_fmac_f32_e32 v12, v16, v8
	v_fma_f32 v7, -v7, v12, v13
	v_div_fmas_f32 v7, v7, v8, v12
	v_div_fixup_f32 v7, v7, v14, 1.0
	v_mul_f32_e32 v12, v35, v7
	s_waitcnt vmcnt(1)
	v_fma_f32 v13, v15, v12, 1.0
	v_div_scale_f32 v7, null, v13, v13, 1.0
	v_div_scale_f32 v19, vcc_lo, 1.0, v13, 1.0
	v_rcp_f32_e32 v8, v7
	v_fma_f32 v16, -v7, v8, 1.0
	v_fmac_f32_e32 v8, v16, v8
	v_mul_f32_e32 v16, v19, v8
	v_fma_f32 v20, -v7, v16, v19
	v_fmac_f32_e32 v16, v20, v8
	v_fma_f32 v7, -v7, v16, v19
	v_div_fmas_f32 v16, v7, v8, v16
	v_add_co_u32 v7, vcc_lo, s14, v10
	s_waitcnt vmcnt(0)
	v_mul_f32_e32 v9, v9, v0
	v_add_co_ci_u32_e64 v8, null, s15, v11, vcc_lo
	v_add_nc_u32_e32 v0, s6, v6
	v_mul_f32_e32 v10, v15, v12
	v_div_fixup_f32 v11, v16, v13, 1.0
	global_store_dword v[4:5], v9, off
	global_load_dword v9, v[7:8], off
	v_lshlrev_b64 v[5:6], 2, v[0:1]
	v_mul_f32_e32 v12, 0xb942c4c6, v34
	v_mul_f32_e32 v10, v10, v11
	;; [unrolled: 1-line block ×3, first 2 shown]
	v_add_co_u32 v0, vcc_lo, s12, v5
	v_mul_f32_e32 v4, v14, v10
	v_add_co_ci_u32_e64 v1, null, s13, v6, vcc_lo
	v_add_co_u32 v2, vcc_lo, s2, v2
	global_store_dword v[17:18], v4, off
	global_load_dword v4, v[0:1], off
	v_add_co_ci_u32_e64 v3, null, s3, v3, vcc_lo
	v_mul_f32_e32 v14, 0x3fb8aa3b, v12
	v_mul_f32_e32 v15, 0x3fb8aa3b, v13
	v_cmp_ngt_f32_e64 s0, 0xc2ce8ed0, v12
	global_load_dword v11, v[2:3], off
	v_add_co_u32 v2, vcc_lo, s14, v5
	v_add_co_ci_u32_e64 v3, null, s15, v6, vcc_lo
	v_fma_f32 v6, 0x3fb8aa3b, v12, -v14
	v_rndne_f32_e32 v16, v15
	v_fmac_f32_e32 v6, 0x32a5705f, v12
	s_waitcnt vmcnt(2)
	v_mul_f32_e32 v5, v9, v10
	v_rndne_f32_e32 v9, v14
	v_fma_f32 v10, 0x3fb8aa3b, v13, -v15
	global_store_dword v[7:8], v5, off
	global_load_dword v5, v[2:3], off
	v_sub_f32_e32 v7, v14, v9
	v_fmac_f32_e32 v10, 0x32a5705f, v13
	v_sub_f32_e32 v8, v15, v16
	v_mul_f32_e32 v14, 0x3da2d0e5, v32
	v_cvt_i32_f32_e32 v9, v9
	v_add_f32_e32 v6, v7, v6
	v_cvt_i32_f32_e32 v16, v16
	v_add_f32_e32 v8, v8, v10
	s_waitcnt vmcnt(2)
	v_div_scale_f32 v7, null, v4, v4, 1.0
	v_exp_f32_e32 v6, v6
	v_mul_f32_e32 v15, 0x3fb8aa3b, v14
	v_exp_f32_e32 v8, v8
	v_rcp_f32_e32 v10, v7
	v_div_scale_f32 v19, vcc_lo, 1.0, v4, 1.0
	v_fma_f32 v17, 0x3fb8aa3b, v14, -v15
	v_rndne_f32_e32 v18, v15
	v_ldexp_f32 v6, v6, v9
	v_fmac_f32_e32 v17, 0x32a5705f, v14
	v_sub_f32_e32 v15, v15, v18
	v_fma_f32 v9, -v7, v10, 1.0
	v_ldexp_f32 v8, v8, v16
	v_cndmask_b32_e64 v6, 0, v6, s0
	v_cmp_ngt_f32_e64 s0, 0xc2ce8ed0, v13
	v_cvt_i32_f32_e32 v16, v18
	v_fmac_f32_e32 v10, v9, v10
	v_add_f32_e32 v9, v15, v17
	v_cndmask_b32_e64 v8, 0, v8, s0
	v_cmp_nlt_f32_e64 s0, 0x42b17218, v12
	v_mul_f32_e32 v15, v19, v10
	v_exp_f32_e32 v9, v9
	v_cndmask_b32_e64 v6, 0x7f800000, v6, s0
	v_fma_f32 v12, -v7, v15, v19
	v_cmp_nlt_f32_e64 s0, 0x42b17218, v13
	v_mul_f32_e32 v6, 0xbf7b4a23, v6
	v_fmac_f32_e32 v15, v12, v10
	v_cndmask_b32_e64 v8, 0x7f800000, v8, s0
	v_ldexp_f32 v9, v9, v16
	v_cmp_ngt_f32_e64 s0, 0xc2ce8ed0, v14
	v_fma_f32 v7, -v7, v15, v19
	v_fmamk_f32 v6, v8, 0x3ffda512, v6
	v_cndmask_b32_e64 v8, 0, v9, s0
	v_div_fmas_f32 v7, v7, v10, v15
	v_cmp_nlt_f32_e32 vcc_lo, 0x42b17218, v14
	v_div_fixup_f32 v7, v7, v4, 1.0
	v_cndmask_b32_e32 v8, 0x7f800000, v8, vcc_lo
	v_mul_f32_e32 v7, v30, v7
	v_add_f32_e32 v6, v8, v6
	s_waitcnt vmcnt(1)
	v_mul_f32_e32 v8, v11, v7
	v_max_f32_e32 v6, 0x800000, v6
	v_fma_f32 v7, v11, v7, 1.0
	v_max_f32_e32 v10, 0x800000, v8
	v_cmp_gt_f32_e32 vcc_lo, 0x800000, v6
	v_div_scale_f32 v11, null, v7, v7, 1.0
	v_cmp_gt_f32_e64 s0, 0x800000, v10
	v_cndmask_b32_e64 v9, 0, 32, vcc_lo
	v_cndmask_b32_e64 v13, 0, 0x411a209b, vcc_lo
	v_ldexp_f32 v6, v6, v9
	v_cndmask_b32_e64 v9, 0, 32, s0
	v_log_f32_e32 v6, v6
	v_ldexp_f32 v9, v10, v9
	v_log_f32_e32 v9, v9
	v_mul_f32_e32 v10, 0x3e9a209a, v6
	v_cmp_gt_f32_e64 vcc_lo, 0x7f800000, |v6|
	v_fma_f32 v10, 0x3e9a209a, v6, -v10
	v_mul_f32_e32 v12, 0x3e9a209a, v9
	v_fmac_f32_e32 v10, 0x3284fbcf, v6
	v_fma_f32 v12, 0x3e9a209a, v9, -v12
	v_fmac_f32_e32 v10, 0x3e9a209a, v6
	v_fmac_f32_e32 v12, 0x3284fbcf, v9
	v_cndmask_b32_e32 v6, v6, v10, vcc_lo
	v_fmac_f32_e32 v12, 0x3e9a209a, v9
	v_cmp_gt_f32_e64 vcc_lo, 0x7f800000, |v9|
	v_cndmask_b32_e64 v10, 0, 0x411a209b, s0
	v_sub_f32_e32 v6, v6, v13
	v_rcp_f32_e32 v13, v11
	v_cndmask_b32_e32 v9, v9, v12, vcc_lo
	v_div_scale_f32 v17, vcc_lo, 1.0, v7, 1.0
	v_fmaak_f32 v12, s4, v6, 0x3ecccccd
	v_sub_f32_e32 v9, v9, v10
	v_fmaak_f32 v10, s5, v6, 0x3f400000
	v_fma_f32 v15, -v11, v13, 1.0
	v_sub_f32_e32 v9, v9, v12
	v_fmac_f32_e32 v13, v15, v13
	v_fmac_f32_e32 v10, 0xbe0f5c29, v9
	v_div_scale_f32 v12, null, v10, v10, 1.0
	v_div_scale_f32 v15, s0, 1.0, v10, 1.0
	v_rcp_f32_e32 v14, v12
	v_fma_f32 v16, -v12, v14, 1.0
	v_fmac_f32_e32 v14, v16, v14
	v_mul_f32_e32 v16, v17, v13
	v_mul_f32_e32 v18, v15, v14
	v_fma_f32 v19, -v11, v16, v17
	v_fma_f32 v20, -v12, v18, v15
	v_fmac_f32_e32 v16, v19, v13
	v_fmac_f32_e32 v18, v20, v14
	v_fma_f32 v11, -v11, v16, v17
	v_fma_f32 v12, -v12, v18, v15
	v_div_fmas_f32 v11, v11, v13, v16
	s_mov_b32 vcc_lo, s0
	v_div_fmas_f32 v12, v12, v14, v18
	v_div_fixup_f32 v7, v11, v7, 1.0
	v_div_fixup_f32 v10, v12, v10, 1.0
	v_mul_f32_e32 v7, v8, v7
	v_mul_f32_e32 v9, v9, v10
	v_fma_f32 v9, v9, v9, 1.0
	v_div_scale_f32 v10, null, v9, v9, 1.0
	v_div_scale_f32 v14, vcc_lo, 1.0, v9, 1.0
	v_rcp_f32_e32 v12, v10
	v_fma_f32 v13, -v10, v12, 1.0
	v_fmac_f32_e32 v12, v13, v12
	v_mul_f32_e32 v13, v14, v12
	v_fma_f32 v15, -v10, v13, v14
	v_fmac_f32_e32 v13, v15, v12
	v_fma_f32 v10, -v10, v13, v14
	v_div_fmas_f32 v10, v10, v12, v13
	v_div_fixup_f32 v9, v10, v9, 1.0
	v_mul_f32_e32 v6, v6, v9
	v_mul_f32_e32 v9, 0x40549a78, v6
	v_cmp_ngt_f32_e32 vcc_lo, 0xc23369f4, v6
	v_fma_f32 v10, 0x40549a78, v6, -v9
	v_rndne_f32_e32 v12, v9
	v_fmac_f32_e32 v10, 0x33979a37, v6
	v_sub_f32_e32 v9, v9, v12
	v_add_f32_e32 v9, v9, v10
	v_cvt_i32_f32_e32 v10, v12
	v_exp_f32_e32 v9, v9
	v_ldexp_f32 v9, v9, v10
	v_cndmask_b32_e32 v9, 0, v9, vcc_lo
	v_cmp_nlt_f32_e32 vcc_lo, 0x421a209b, v6
	v_cndmask_b32_e32 v6, 0x7f800000, v9, vcc_lo
	v_mul_f32_e32 v6, v7, v6
	v_mul_f32_e32 v4, v4, v6
	s_waitcnt vmcnt(0)
	v_mul_f32_e32 v5, v5, v6
	global_store_dword v[0:1], v4, off
	global_store_dword v[2:3], v5, off
	s_endpgm
	.section	.rodata,"a",@progbits
	.p2align	6, 0x0
	.amdhsa_kernel _Z11ratx_kernelIfEvPKT_S2_PS0_S3_S2_S0_
		.amdhsa_group_segment_fixed_size 0
		.amdhsa_private_segment_fixed_size 0
		.amdhsa_kernarg_size 304
		.amdhsa_user_sgpr_count 6
		.amdhsa_user_sgpr_private_segment_buffer 1
		.amdhsa_user_sgpr_dispatch_ptr 0
		.amdhsa_user_sgpr_queue_ptr 0
		.amdhsa_user_sgpr_kernarg_segment_ptr 1
		.amdhsa_user_sgpr_dispatch_id 0
		.amdhsa_user_sgpr_flat_scratch_init 0
		.amdhsa_user_sgpr_private_segment_size 0
		.amdhsa_wavefront_size32 1
		.amdhsa_uses_dynamic_stack 0
		.amdhsa_system_sgpr_private_segment_wavefront_offset 0
		.amdhsa_system_sgpr_workgroup_id_x 1
		.amdhsa_system_sgpr_workgroup_id_y 0
		.amdhsa_system_sgpr_workgroup_id_z 0
		.amdhsa_system_sgpr_workgroup_info 0
		.amdhsa_system_vgpr_workitem_id 0
		.amdhsa_next_free_vgpr 55
		.amdhsa_next_free_sgpr 16
		.amdhsa_reserve_vcc 1
		.amdhsa_reserve_flat_scratch 0
		.amdhsa_float_round_mode_32 0
		.amdhsa_float_round_mode_16_64 0
		.amdhsa_float_denorm_mode_32 3
		.amdhsa_float_denorm_mode_16_64 3
		.amdhsa_dx10_clamp 1
		.amdhsa_ieee_mode 1
		.amdhsa_fp16_overflow 0
		.amdhsa_workgroup_processor_mode 1
		.amdhsa_memory_ordered 1
		.amdhsa_forward_progress 1
		.amdhsa_shared_vgpr_count 0
		.amdhsa_exception_fp_ieee_invalid_op 0
		.amdhsa_exception_fp_denorm_src 0
		.amdhsa_exception_fp_ieee_div_zero 0
		.amdhsa_exception_fp_ieee_overflow 0
		.amdhsa_exception_fp_ieee_underflow 0
		.amdhsa_exception_fp_ieee_inexact 0
		.amdhsa_exception_int_div_zero 0
	.end_amdhsa_kernel
	.section	.text._Z11ratx_kernelIfEvPKT_S2_PS0_S3_S2_S0_,"axG",@progbits,_Z11ratx_kernelIfEvPKT_S2_PS0_S3_S2_S0_,comdat
.Lfunc_end12:
	.size	_Z11ratx_kernelIfEvPKT_S2_PS0_S3_S2_S0_, .Lfunc_end12-_Z11ratx_kernelIfEvPKT_S2_PS0_S3_S2_S0_
                                        ; -- End function
	.set _Z11ratx_kernelIfEvPKT_S2_PS0_S3_S2_S0_.num_vgpr, 55
	.set _Z11ratx_kernelIfEvPKT_S2_PS0_S3_S2_S0_.num_agpr, 0
	.set _Z11ratx_kernelIfEvPKT_S2_PS0_S3_S2_S0_.numbered_sgpr, 16
	.set _Z11ratx_kernelIfEvPKT_S2_PS0_S3_S2_S0_.num_named_barrier, 0
	.set _Z11ratx_kernelIfEvPKT_S2_PS0_S3_S2_S0_.private_seg_size, 0
	.set _Z11ratx_kernelIfEvPKT_S2_PS0_S3_S2_S0_.uses_vcc, 1
	.set _Z11ratx_kernelIfEvPKT_S2_PS0_S3_S2_S0_.uses_flat_scratch, 0
	.set _Z11ratx_kernelIfEvPKT_S2_PS0_S3_S2_S0_.has_dyn_sized_stack, 0
	.set _Z11ratx_kernelIfEvPKT_S2_PS0_S3_S2_S0_.has_recursion, 0
	.set _Z11ratx_kernelIfEvPKT_S2_PS0_S3_S2_S0_.has_indirect_call, 0
	.section	.AMDGPU.csdata,"",@progbits
; Kernel info:
; codeLenInByte = 13756
; TotalNumSgprs: 18
; NumVgprs: 55
; ScratchSize: 0
; MemoryBound: 0
; FloatMode: 240
; IeeeMode: 1
; LDSByteSize: 0 bytes/workgroup (compile time only)
; SGPRBlocks: 0
; VGPRBlocks: 6
; NumSGPRsForWavesPerEU: 18
; NumVGPRsForWavesPerEU: 55
; Occupancy: 16
; WaveLimiterHint : 0
; COMPUTE_PGM_RSRC2:SCRATCH_EN: 0
; COMPUTE_PGM_RSRC2:USER_SGPR: 6
; COMPUTE_PGM_RSRC2:TRAP_HANDLER: 0
; COMPUTE_PGM_RSRC2:TGID_X_EN: 1
; COMPUTE_PGM_RSRC2:TGID_Y_EN: 0
; COMPUTE_PGM_RSRC2:TGID_Z_EN: 0
; COMPUTE_PGM_RSRC2:TIDIG_COMP_CNT: 0
	.section	.text._Z12ratxb_kernelIfEvPKT_S2_PS0_S3_S2_S0_,"axG",@progbits,_Z12ratxb_kernelIfEvPKT_S2_PS0_S3_S2_S0_,comdat
	.protected	_Z12ratxb_kernelIfEvPKT_S2_PS0_S3_S2_S0_ ; -- Begin function _Z12ratxb_kernelIfEvPKT_S2_PS0_S3_S2_S0_
	.globl	_Z12ratxb_kernelIfEvPKT_S2_PS0_S3_S2_S0_
	.p2align	8
	.type	_Z12ratxb_kernelIfEvPKT_S2_PS0_S3_S2_S0_,@function
_Z12ratxb_kernelIfEvPKT_S2_PS0_S3_S2_S0_: ; @_Z12ratxb_kernelIfEvPKT_S2_PS0_S3_S2_S0_
; %bb.0:
	s_clause 0x4
	s_load_dwordx8 s[8:15], s[4:5], 0x0
	s_load_dwordx2 s[2:3], s[4:5], 0x20
	s_load_dword s0, s[4:5], 0x28
	s_load_dword s1, s[4:5], 0x30
	;; [unrolled: 1-line block ×3, first 2 shown]
	s_mov_b32 s5, 0x3f2b851f
	s_waitcnt lgkmcnt(0)
	s_and_b32 s4, s4, 0xffff
	v_mad_u64_u32 v[0:1], null, s6, s4, v[0:1]
	v_mov_b32_e32 v1, 0
	s_mul_i32 s1, s1, s4
	s_mov_b32 s4, 0xbfa28f5c
	s_mul_i32 s6, s1, 5
	v_lshlrev_b64 v[2:3], 2, v[0:1]
	v_add_nc_u32_e32 v0, s1, v0
	v_add_co_u32 v4, vcc_lo, s8, v2
	v_add_co_ci_u32_e64 v5, null, s9, v3, vcc_lo
	v_add_co_u32 v2, vcc_lo, s10, v2
	v_add_co_ci_u32_e64 v3, null, s11, v3, vcc_lo
	global_load_dword v27, v[4:5], off
	global_load_dword v26, v[2:3], off
	v_lshlrev_b64 v[2:3], 2, v[0:1]
	v_add_nc_u32_e32 v0, s1, v0
	v_add_co_u32 v2, vcc_lo, s10, v2
	v_add_co_ci_u32_e64 v3, null, s11, v3, vcc_lo
	global_load_dword v37, v[2:3], off
	v_lshlrev_b64 v[2:3], 2, v[0:1]
	v_add_nc_u32_e32 v0, s1, v0
	v_add_co_u32 v2, vcc_lo, s10, v2
	v_add_co_ci_u32_e64 v3, null, s11, v3, vcc_lo
	global_load_dword v2, v[2:3], off
	s_waitcnt vmcnt(2)
	v_add_f32_e32 v4, 0, v26
	s_waitcnt vmcnt(1)
	v_add_f32_e32 v4, v4, v37
	;; [unrolled: 2-line block ×3, first 2 shown]
	v_lshlrev_b64 v[2:3], 2, v[0:1]
	v_add_nc_u32_e32 v0, s1, v0
	v_add_co_u32 v2, vcc_lo, s10, v2
	v_add_co_ci_u32_e64 v3, null, s11, v3, vcc_lo
	global_load_dword v40, v[2:3], off
	v_lshlrev_b64 v[2:3], 2, v[0:1]
	v_add_nc_u32_e32 v0, s1, v0
	v_add_co_u32 v2, vcc_lo, s10, v2
	v_add_co_ci_u32_e64 v3, null, s11, v3, vcc_lo
	global_load_dword v2, v[2:3], off
	s_waitcnt vmcnt(1)
	v_add_f32_e32 v4, v4, v40
	s_waitcnt vmcnt(0)
	v_add_f32_e32 v4, v4, v2
	v_lshlrev_b64 v[2:3], 2, v[0:1]
	v_add_nc_u32_e32 v0, s1, v0
	v_add_co_u32 v2, vcc_lo, s10, v2
	v_add_co_ci_u32_e64 v3, null, s11, v3, vcc_lo
	global_load_dword v42, v[2:3], off
	v_lshlrev_b64 v[2:3], 2, v[0:1]
	v_add_nc_u32_e32 v0, s1, v0
	v_add_co_u32 v20, vcc_lo, s10, v2
	v_add_co_ci_u32_e64 v21, null, s11, v3, vcc_lo
	s_clause 0x1
	global_load_dword v2, v[20:21], off
	global_load_dword v20, v[20:21], off
	s_waitcnt vmcnt(2)
	v_add_f32_e32 v4, v4, v42
	s_waitcnt vmcnt(1)
	v_add_f32_e32 v4, v4, v2
	v_lshlrev_b64 v[2:3], 2, v[0:1]
	v_add_nc_u32_e32 v0, s1, v0
	v_add_co_u32 v2, vcc_lo, s10, v2
	v_add_co_ci_u32_e64 v3, null, s11, v3, vcc_lo
	global_load_dword v2, v[2:3], off
	s_waitcnt vmcnt(0)
	v_add_f32_e32 v4, v4, v2
	v_lshlrev_b64 v[2:3], 2, v[0:1]
	v_add_nc_u32_e32 v0, s1, v0
	v_add_co_u32 v2, vcc_lo, s10, v2
	v_add_co_ci_u32_e64 v3, null, s11, v3, vcc_lo
	v_lshlrev_b64 v[28:29], 2, v[0:1]
	v_add_nc_u32_e32 v0, s1, v0
	global_load_dword v2, v[2:3], off
	v_lshlrev_b64 v[30:31], 2, v[0:1]
	v_add_nc_u32_e32 v0, s1, v0
	v_lshlrev_b64 v[32:33], 2, v[0:1]
	v_add_nc_u32_e32 v0, s1, v0
	;; [unrolled: 2-line block ×6, first 2 shown]
	s_waitcnt vmcnt(0)
	v_add_f32_e32 v4, v4, v2
	v_add_co_u32 v2, vcc_lo, s10, v28
	v_add_co_ci_u32_e64 v3, null, s11, v29, vcc_lo
	v_add_co_u32 v18, vcc_lo, s10, v30
	v_add_co_ci_u32_e64 v19, null, s11, v31, vcc_lo
	s_clause 0x2
	global_load_dword v43, v[2:3], off
	global_load_dword v38, v[18:19], off
	;; [unrolled: 1-line block ×3, first 2 shown]
	s_waitcnt vmcnt(2)
	v_add_f32_e32 v2, v4, v43
	s_waitcnt vmcnt(1)
	v_add_f32_e32 v4, v2, v38
	v_add_co_u32 v2, vcc_lo, s10, v32
	v_add_co_ci_u32_e64 v3, null, s11, v33, vcc_lo
	global_load_dword v39, v[2:3], off
	v_add_co_u32 v2, vcc_lo, s10, v16
	v_add_co_ci_u32_e64 v3, null, s11, v17, vcc_lo
	v_add_co_u32 v22, vcc_lo, s10, v14
	v_add_co_ci_u32_e64 v23, null, s11, v15, vcc_lo
	s_clause 0x1
	global_load_dword v2, v[2:3], off
	global_load_dword v44, v[22:23], off
	s_waitcnt vmcnt(2)
	v_add_f32_e32 v4, v4, v39
	s_waitcnt vmcnt(1)
	v_add_f32_e32 v2, v4, v2
	;; [unrolled: 2-line block ×3, first 2 shown]
	v_add_co_u32 v2, vcc_lo, s10, v12
	v_add_co_ci_u32_e64 v3, null, s11, v13, vcc_lo
	global_load_dword v45, v[2:3], off
	v_add_co_u32 v2, vcc_lo, s10, v10
	v_add_co_ci_u32_e64 v3, null, s11, v11, vcc_lo
	global_load_dword v46, v[2:3], off
	v_lshlrev_b64 v[2:3], 2, v[0:1]
	v_add_nc_u32_e32 v0, s1, v0
	v_add_co_u32 v2, vcc_lo, s10, v2
	v_add_co_ci_u32_e64 v3, null, s11, v3, vcc_lo
	v_lshlrev_b64 v[8:9], 2, v[0:1]
	v_add_nc_u32_e32 v0, s1, v0
	global_load_dword v2, v[2:3], off
	v_lshlrev_b64 v[6:7], 2, v[0:1]
	v_add_nc_u32_e32 v0, s1, v0
	s_waitcnt vmcnt(2)
	v_add_f32_e32 v4, v4, v45
	s_waitcnt vmcnt(1)
	v_add_f32_e32 v4, v4, v46
	;; [unrolled: 2-line block ×3, first 2 shown]
	v_add_co_u32 v2, vcc_lo, s10, v8
	v_add_co_ci_u32_e64 v3, null, s11, v9, vcc_lo
	global_load_dword v2, v[2:3], off
	s_waitcnt vmcnt(0)
	v_add_f32_e32 v4, v4, v2
	v_add_co_u32 v2, vcc_lo, s10, v6
	v_add_co_ci_u32_e64 v3, null, s11, v7, vcc_lo
	global_load_dword v2, v[2:3], off
	s_waitcnt vmcnt(0)
	v_add_f32_e32 v2, v4, v2
	v_lshlrev_b64 v[4:5], 2, v[0:1]
	v_add_nc_u32_e32 v0, s1, v0
	v_add_co_u32 v24, vcc_lo, s10, v4
	v_add_co_ci_u32_e64 v25, null, s11, v5, vcc_lo
	global_load_dword v3, v[24:25], off
	s_waitcnt vmcnt(0)
	v_add_f32_e32 v36, v2, v3
	v_lshlrev_b64 v[2:3], 2, v[0:1]
	v_add_nc_u32_e32 v0, s1, v0
	v_add_co_u32 v34, vcc_lo, s10, v2
	v_add_co_ci_u32_e64 v35, null, s11, v3, vcc_lo
	global_load_dword v34, v[34:35], off
	s_waitcnt vmcnt(0)
	v_add_f32_e32 v36, v36, v34
	v_lshlrev_b64 v[34:35], 2, v[0:1]
	v_add_co_u32 v34, vcc_lo, s10, v34
	v_add_co_ci_u32_e64 v35, null, s11, v35, vcc_lo
	global_load_dword v47, v[34:35], off
	v_mul_f32_e32 v34, s0, v27
	s_waitcnt vmcnt(0)
	v_add_f32_e32 v41, v36, v47
	v_fmamk_f32 v35, v26, 0xbe8a3d71, v41
	v_add_f32_e32 v48, v41, v26
	v_sub_f32_e32 v27, v41, v26
	v_fmamk_f32 v50, v26, 0x3fb33333, v41
	v_sub_f32_e32 v51, v41, v40
	v_fmamk_f32 v35, v42, 0x4029999a, v35
	v_sub_f32_e32 v27, v27, v42
	v_fmamk_f32 v50, v42, 0x41666666, v50
	v_sub_f32_e32 v51, v51, v42
	v_add_f32_e32 v49, v43, v35
	v_fmamk_f32 v35, v42, 0x40a00000, v48
	v_fmac_f32_e32 v48, 0x40a00000, v40
	v_add_f32_e32 v27, v27, v43
	v_add_f32_e32 v50, v43, v50
	v_fmamk_f32 v51, v38, 0xbe800000, v51
	v_add_f32_e32 v35, v43, v35
	v_fmac_f32_e32 v48, 0x40a00000, v42
	v_sub_f32_e32 v27, v27, v39
	v_fmac_f32_e32 v50, 0x3f400000, v38
	v_fmac_f32_e32 v51, 0.5, v39
	v_fmac_f32_e32 v35, 0.5, v38
	v_add_f32_e32 v43, v43, v48
	v_fmac_f32_e32 v27, 2.0, v46
	v_fmamk_f32 v50, v39, 0x40266666, v50
	v_fmac_f32_e32 v51, 0.5, v46
	v_add_f32_e32 v35, v39, v35
	v_fmac_f32_e32 v43, 0.5, v38
	v_fmac_f32_e32 v49, 2.0, v46
	;; [unrolled: 1-line block ×3, first 2 shown]
	v_sub_f32_e32 v51, v51, v47
	v_fmac_f32_e32 v35, 2.0, v46
	v_fmamk_f32 v43, v39, 0x40200000, v43
	v_fmac_f32_e32 v27, 2.0, v44
	v_fmac_f32_e32 v49, 2.0, v44
	;; [unrolled: 1-line block ×3, first 2 shown]
	v_fma_f32 v36, 2.0, v44, v35
	v_fmac_f32_e32 v43, 2.0, v46
	v_fmac_f32_e32 v51, 2.0, v44
	;; [unrolled: 1-line block ×9, first 2 shown]
	v_mad_u64_u32 v[44:45], null, 0xffffffef, s1, v[0:1]
	v_mov_b32_e32 v45, v1
	v_lshlrev_b64 v[45:46], 2, v[44:45]
	v_add_co_u32 v47, vcc_lo, s12, v45
	v_add_co_ci_u32_e64 v48, null, s13, v46, vcc_lo
	global_load_dword v0, v[47:48], off
	s_waitcnt vmcnt(0)
	v_mul_f32_e32 v0, v27, v0
	v_mul_f32_e32 v0, v0, v37
	;; [unrolled: 1-line block ×3, first 2 shown]
	global_store_dword v[47:48], v0, off
	v_add_co_u32 v47, vcc_lo, s14, v45
	v_add_co_ci_u32_e64 v48, null, s15, v46, vcc_lo
	global_load_dword v0, v[47:48], off
	s_waitcnt vmcnt(0)
	v_mul_f32_e32 v0, v27, v0
	v_mul_f32_e32 v0, v26, v0
	global_store_dword v[47:48], v0, off
	v_lshl_add_u32 v0, s1, 2, v44
	v_lshlrev_b64 v[26:27], 2, v[0:1]
	v_add_co_u32 v47, vcc_lo, s12, v26
	v_add_co_ci_u32_e64 v48, null, s13, v27, vcc_lo
	global_load_dword v44, v[47:48], off
	s_waitcnt vmcnt(0)
	v_mul_f32_e32 v44, v49, v44
	v_mul_f32_e32 v52, v37, v44
	v_add_co_u32 v44, vcc_lo, s10, v45
	v_add_co_ci_u32_e64 v45, null, s11, v46, vcc_lo
	global_load_dword v53, v[44:45], off
	s_waitcnt vmcnt(0)
	v_mul_f32_e32 v44, v53, v52
	global_store_dword v[47:48], v44, off
	v_add_co_u32 v44, vcc_lo, s14, v26
	v_add_co_ci_u32_e64 v45, null, s15, v27, vcc_lo
	global_load_dword v46, v[44:45], off
	s_waitcnt vmcnt(0)
	v_mul_f32_e32 v46, v49, v46
	v_mul_f32_e32 v42, v42, v46
	v_mad_u64_u32 v[46:47], null, s1, -6, v[0:1]
	v_mov_b32_e32 v47, v1
	global_store_dword v[44:45], v42, off
	v_add_co_u32 v44, vcc_lo, s12, v28
	v_add_co_ci_u32_e64 v45, null, s13, v29, vcc_lo
	v_lshlrev_b64 v[47:48], 2, v[46:47]
	global_load_dword v42, v[44:45], off
	v_add_co_u32 v47, vcc_lo, s10, v47
	v_add_co_ci_u32_e64 v48, null, s11, v48, vcc_lo
	v_add_co_u32 v28, vcc_lo, s14, v28
	v_add_co_ci_u32_e64 v29, null, s15, v29, vcc_lo
	global_load_dword v0, v[47:48], off
	s_waitcnt vmcnt(1)
	v_mul_f32_e32 v42, v36, v42
	s_waitcnt vmcnt(0)
	v_mul_f32_e32 v42, v42, v0
	v_mul_f32_e32 v42, v37, v42
	global_store_dword v[44:45], v42, off
	global_load_dword v42, v[28:29], off
	s_waitcnt vmcnt(0)
	v_mul_f32_e32 v42, v36, v42
	v_mul_f32_e32 v42, v53, v42
	global_store_dword v[28:29], v42, off
	v_add_co_u32 v28, vcc_lo, s12, v30
	v_add_co_ci_u32_e64 v29, null, s13, v31, vcc_lo
	global_load_dword v42, v[28:29], off
	s_waitcnt vmcnt(0)
	v_mul_f32_e32 v42, v50, v42
	v_mul_f32_e32 v42, v0, v42
	;; [unrolled: 1-line block ×3, first 2 shown]
	global_store_dword v[28:29], v42, off
	v_add_co_u32 v28, vcc_lo, s14, v30
	v_add_co_ci_u32_e64 v29, null, s15, v31, vcc_lo
	global_load_dword v30, v[28:29], off
	s_waitcnt vmcnt(0)
	v_mul_f32_e32 v30, v50, v30
	v_mul_f32_e32 v30, v40, v30
	global_store_dword v[28:29], v30, off
	v_add_co_u32 v28, vcc_lo, s12, v32
	v_add_co_ci_u32_e64 v29, null, s13, v33, vcc_lo
	global_load_dword v30, v[28:29], off
	s_waitcnt vmcnt(0)
	v_mul_f32_e32 v30, v51, v30
	v_mul_f32_e32 v30, v37, v30
	;; [unrolled: 1-line block ×3, first 2 shown]
	global_store_dword v[28:29], v30, off
	v_add_co_u32 v28, vcc_lo, s14, v32
	v_add_co_ci_u32_e64 v29, null, s15, v33, vcc_lo
	global_load_dword v30, v[28:29], off
	s_waitcnt vmcnt(0)
	v_mul_f32_e32 v30, v51, v30
	v_mul_f32_e32 v20, v30, v20
	global_store_dword v[28:29], v20, off
	v_mad_u64_u32 v[20:21], null, s1, 26, v[46:47]
	v_mov_b32_e32 v21, v1
	v_lshlrev_b64 v[28:29], 2, v[20:21]
	v_add_co_u32 v30, vcc_lo, s12, v28
	v_add_co_ci_u32_e64 v31, null, s13, v29, vcc_lo
	v_add_co_u32 v28, vcc_lo, s14, v28
	v_add_co_ci_u32_e64 v29, null, s15, v29, vcc_lo
	global_load_dword v21, v[30:31], off
	s_waitcnt vmcnt(0)
	v_mul_f32_e32 v21, v43, v21
	v_mul_f32_e32 v21, v38, v21
	;; [unrolled: 1-line block ×3, first 2 shown]
	v_mad_u64_u32 v[20:21], null, s1, 17, v[20:21]
	v_mov_b32_e32 v21, v1
	global_store_dword v[30:31], v0, off
	global_load_dword v0, v[28:29], off
	s_waitcnt vmcnt(0)
	v_mul_f32_e32 v0, v43, v0
	v_mul_f32_e32 v0, v39, v0
	global_store_dword v[28:29], v0, off
	v_lshlrev_b64 v[28:29], 2, v[20:21]
	v_add_co_u32 v30, vcc_lo, s12, v28
	v_add_co_ci_u32_e64 v31, null, s13, v29, vcc_lo
	v_add_co_u32 v28, vcc_lo, s14, v28
	v_add_co_ci_u32_e64 v29, null, s15, v29, vcc_lo
	global_load_dword v0, v[30:31], off
	s_waitcnt vmcnt(0)
	v_mul_f32_e32 v0, v36, v0
	global_store_dword v[30:31], v0, off
	global_load_dword v0, v[28:29], off
	s_waitcnt vmcnt(0)
	v_mul_f32_e32 v0, v36, v0
	v_mul_f32_e32 v0, v0, v18
	v_mad_u64_u32 v[18:19], null, 0x4b, s1, v[20:21]
	v_mov_b32_e32 v19, v1
	global_load_dword v21, v[22:23], off
	v_mul_f32_e32 v0, v0, v37
	v_lshlrev_b64 v[19:20], 2, v[18:19]
	global_store_dword v[28:29], v0, off
	v_add_co_u32 v28, vcc_lo, s12, v19
	v_add_co_ci_u32_e64 v29, null, s13, v20, vcc_lo
	global_load_dword v0, v[28:29], off
	s_waitcnt vmcnt(0)
	v_mul_f32_e32 v0, v41, v0
	v_mul_f32_e32 v0, v0, v21
	v_add_co_u32 v21, vcc_lo, s10, v26
	v_add_co_ci_u32_e64 v22, null, s11, v27, vcc_lo
	v_add_co_u32 v19, vcc_lo, s14, v19
	v_add_co_ci_u32_e64 v20, null, s15, v20, vcc_lo
	global_load_dword v21, v[21:22], off
	v_add_co_u32 v16, vcc_lo, s2, v16
	v_add_co_ci_u32_e64 v17, null, s3, v17, vcc_lo
	s_waitcnt vmcnt(0)
	v_mul_f32_e32 v0, v0, v21
	global_load_dword v21, v[24:25], off
	global_store_dword v[28:29], v0, off
	global_load_dword v0, v[19:20], off
	s_waitcnt vmcnt(0)
	v_mul_f32_e32 v0, v41, v0
	v_mul_f32_e32 v0, v0, v21
	global_store_dword v[19:20], v0, off
	v_add_nc_u32_e32 v0, s6, v18
	global_load_dword v19, v[16:17], off
	v_lshlrev_b64 v[16:17], 2, v[0:1]
	v_add_co_u32 v20, vcc_lo, s12, v16
	v_add_co_ci_u32_e64 v21, null, s13, v17, vcc_lo
	global_load_dword v18, v[20:21], off
	s_waitcnt vmcnt(0)
	v_div_scale_f32 v22, null, v18, v18, 1.0
	v_rcp_f32_e32 v23, v22
	v_fma_f32 v24, -v22, v23, 1.0
	v_fmac_f32_e32 v23, v24, v23
	v_div_scale_f32 v24, vcc_lo, 1.0, v18, 1.0
	v_mul_f32_e32 v25, v24, v23
	v_fma_f32 v26, -v22, v25, v24
	v_fmac_f32_e32 v25, v26, v23
	v_fma_f32 v22, -v22, v25, v24
	v_div_fmas_f32 v22, v22, v23, v25
	v_div_fixup_f32 v22, v22, v18, 1.0
	v_mul_f32_e32 v22, v36, v22
	v_mul_f32_e32 v23, v19, v22
	v_fma_f32 v19, v19, v22, 1.0
	v_div_scale_f32 v22, null, v19, v19, 1.0
	v_rcp_f32_e32 v24, v22
	v_fma_f32 v25, -v22, v24, 1.0
	v_fmac_f32_e32 v24, v25, v24
	v_div_scale_f32 v25, vcc_lo, 1.0, v19, 1.0
	v_mul_f32_e32 v26, v25, v24
	v_fma_f32 v27, -v22, v26, v25
	v_fmac_f32_e32 v26, v27, v24
	v_fma_f32 v22, -v22, v26, v25
	v_div_fmas_f32 v22, v22, v24, v26
	v_div_fixup_f32 v19, v22, v19, 1.0
	v_mul_f32_e32 v22, v23, v19
	v_max_f32_e32 v19, 0x800000, v23
	v_cmp_gt_f32_e32 vcc_lo, 0x800000, v19
	v_cndmask_b32_e64 v23, 0, 32, vcc_lo
	v_ldexp_f32 v19, v19, v23
	v_log_f32_e32 v19, v19
	v_mul_f32_e32 v23, 0x3e9a209a, v19
	v_cmp_gt_f32_e64 s0, 0x7f800000, |v19|
	v_fma_f32 v23, 0x3e9a209a, v19, -v23
	v_fmac_f32_e32 v23, 0x3284fbcf, v19
	v_fmac_f32_e32 v23, 0x3e9a209a, v19
	v_cndmask_b32_e64 v19, v19, v23, s0
	v_cndmask_b32_e64 v23, 0, 0x411a209b, vcc_lo
	v_sub_f32_e32 v23, v19, v23
	v_mul_f32_e32 v19, 0xba1991ec, v34
	v_mul_f32_e32 v24, 0x3fb8aa3b, v19
	v_cmp_ngt_f32_e32 vcc_lo, 0xc2ce8ed0, v19
	v_fma_f32 v25, 0x3fb8aa3b, v19, -v24
	v_rndne_f32_e32 v26, v24
	v_fmac_f32_e32 v25, 0x32a5705f, v19
	v_sub_f32_e32 v24, v24, v26
	v_add_f32_e32 v24, v24, v25
	v_cvt_i32_f32_e32 v25, v26
	v_exp_f32_e32 v24, v24
	v_ldexp_f32 v24, v24, v25
	v_cndmask_b32_e32 v24, 0, v24, vcc_lo
	v_cmp_nlt_f32_e32 vcc_lo, 0x42b17218, v19
	v_cndmask_b32_e32 v19, 0x7f800000, v24, vcc_lo
	v_mul_f32_e32 v24, 0xb9a3d70a, v34
	v_mul_f32_e32 v25, 0x3fb8aa3b, v24
	v_cmp_ngt_f32_e32 vcc_lo, 0xc2ce8ed0, v24
	v_fma_f32 v26, 0x3fb8aa3b, v24, -v25
	v_rndne_f32_e32 v27, v25
	v_fmac_f32_e32 v26, 0x32a5705f, v24
	v_sub_f32_e32 v25, v25, v27
	v_add_f32_e32 v25, v25, v26
	v_cvt_i32_f32_e32 v26, v27
	v_exp_f32_e32 v25, v25
	v_ldexp_f32 v25, v25, v26
	v_cndmask_b32_e32 v25, 0, v25, vcc_lo
	v_cmp_nlt_f32_e32 vcc_lo, 0x42b17218, v24
	v_cndmask_b32_e32 v24, 0x7f800000, v25, vcc_lo
	v_mul_f32_e32 v24, 0x3eac8b44, v24
	v_fmamk_f32 v24, v19, 0x3f29ba5e, v24
	v_div_scale_f32 v19, null, v34, v34, 1.0
	v_rcp_f32_e32 v25, v19
	v_fma_f32 v26, -v19, v25, 1.0
	v_fmac_f32_e32 v25, v26, v25
	v_div_scale_f32 v26, vcc_lo, 1.0, v34, 1.0
	v_mul_f32_e32 v27, v26, v25
	v_fma_f32 v28, -v19, v27, v26
	v_fmac_f32_e32 v27, v28, v25
	v_fma_f32 v19, -v19, v27, v26
	v_div_fmas_f32 v19, v19, v25, v27
	v_div_fixup_f32 v19, v19, v34, 1.0
	v_mul_f32_e32 v25, 0xc5811800, v19
	v_mul_f32_e32 v26, 0x3fb8aa3b, v25
	v_cmp_ngt_f32_e32 vcc_lo, 0xc2ce8ed0, v25
	v_fma_f32 v27, 0x3fb8aa3b, v25, -v26
	v_rndne_f32_e32 v28, v26
	v_fmac_f32_e32 v27, 0x32a5705f, v25
	v_sub_f32_e32 v26, v26, v28
	v_add_f32_e32 v26, v26, v27
	v_cvt_i32_f32_e32 v27, v28
	v_exp_f32_e32 v26, v26
	v_ldexp_f32 v26, v26, v27
	v_cndmask_b32_e32 v26, 0, v26, vcc_lo
	v_cmp_nlt_f32_e32 vcc_lo, 0x42b17218, v25
	v_cndmask_b32_e32 v25, 0x7f800000, v26, vcc_lo
	v_add_f32_e32 v24, v25, v24
	v_max_f32_e32 v24, 0x800000, v24
	v_cmp_gt_f32_e32 vcc_lo, 0x800000, v24
	v_cndmask_b32_e64 v25, 0, 32, vcc_lo
	v_ldexp_f32 v24, v24, v25
	v_log_f32_e32 v24, v24
	v_mul_f32_e32 v25, 0x3e9a209a, v24
	v_cmp_gt_f32_e64 s0, 0x7f800000, |v24|
	v_fma_f32 v25, 0x3e9a209a, v24, -v25
	v_fmac_f32_e32 v25, 0x3284fbcf, v24
	v_fmac_f32_e32 v25, 0x3e9a209a, v24
	v_cndmask_b32_e64 v24, v24, v25, s0
	v_cndmask_b32_e64 v25, 0, 0x411a209b, vcc_lo
	v_sub_f32_e32 v24, v24, v25
	v_fmaak_f32 v26, s5, v24, 0x3ecccccd
	v_fmaak_f32 v25, s4, v24, 0x3f400000
	v_sub_f32_e32 v23, v23, v26
	v_fmac_f32_e32 v25, 0xbe0f5c29, v23
	v_div_scale_f32 v26, null, v25, v25, 1.0
	v_rcp_f32_e32 v27, v26
	v_fma_f32 v28, -v26, v27, 1.0
	v_fmac_f32_e32 v27, v28, v27
	v_div_scale_f32 v28, vcc_lo, 1.0, v25, 1.0
	v_mul_f32_e32 v29, v28, v27
	v_fma_f32 v30, -v26, v29, v28
	v_fmac_f32_e32 v29, v30, v27
	v_fma_f32 v26, -v26, v29, v28
	v_div_fmas_f32 v26, v26, v27, v29
	v_div_fixup_f32 v25, v26, v25, 1.0
	v_mul_f32_e32 v23, v23, v25
	v_fma_f32 v23, v23, v23, 1.0
	v_div_scale_f32 v25, null, v23, v23, 1.0
	v_rcp_f32_e32 v26, v25
	v_fma_f32 v27, -v25, v26, 1.0
	v_fmac_f32_e32 v26, v27, v26
	v_div_scale_f32 v27, vcc_lo, 1.0, v23, 1.0
	v_mul_f32_e32 v28, v27, v26
	v_fma_f32 v29, -v25, v28, v27
	v_fmac_f32_e32 v28, v29, v26
	v_fma_f32 v25, -v25, v28, v27
	v_div_fmas_f32 v25, v25, v26, v28
	v_div_fixup_f32 v23, v25, v23, 1.0
	v_mul_f32_e32 v23, v24, v23
	v_mul_f32_e32 v24, 0x40549a78, v23
	v_cmp_ngt_f32_e32 vcc_lo, 0xc23369f4, v23
	v_fma_f32 v25, 0x40549a78, v23, -v24
	v_rndne_f32_e32 v26, v24
	v_fmac_f32_e32 v25, 0x33979a37, v23
	v_sub_f32_e32 v24, v24, v26
	v_add_f32_e32 v24, v24, v25
	v_cvt_i32_f32_e32 v25, v26
	v_exp_f32_e32 v24, v24
	v_ldexp_f32 v24, v24, v25
	v_cndmask_b32_e32 v24, 0, v24, vcc_lo
	v_cmp_nlt_f32_e32 vcc_lo, 0x421a209b, v23
	v_cndmask_b32_e32 v23, 0x7f800000, v24, vcc_lo
	v_add_co_u32 v16, vcc_lo, s14, v16
	v_add_co_ci_u32_e64 v17, null, s15, v17, vcc_lo
	v_mul_f32_e32 v22, v22, v23
	v_add_co_u32 v14, vcc_lo, s2, v14
	v_add_co_ci_u32_e64 v15, null, s3, v15, vcc_lo
	v_mul_f32_e32 v18, v18, v22
	global_store_dword v[20:21], v18, off
	global_load_dword v18, v[16:17], off
	global_load_dword v20, v[14:15], off
	v_mad_u64_u32 v[14:15], null, s1, 6, v[0:1]
	v_mov_b32_e32 v15, v1
	s_waitcnt vmcnt(1)
	v_mul_f32_e32 v18, v18, v22
	global_store_dword v[16:17], v18, off
	v_lshlrev_b64 v[15:16], 2, v[14:15]
	v_add_co_u32 v17, vcc_lo, s12, v15
	v_add_co_ci_u32_e64 v18, null, s13, v16, vcc_lo
	global_load_dword v0, v[17:18], off
	s_waitcnt vmcnt(0)
	v_div_scale_f32 v21, null, v0, v0, 1.0
	v_rcp_f32_e32 v22, v21
	v_fma_f32 v23, -v21, v22, 1.0
	v_fmac_f32_e32 v22, v23, v22
	v_div_scale_f32 v23, vcc_lo, 1.0, v0, 1.0
	v_mul_f32_e32 v24, v23, v22
	v_fma_f32 v25, -v21, v24, v23
	v_fmac_f32_e32 v24, v25, v22
	v_fma_f32 v21, -v21, v24, v23
	v_div_fmas_f32 v21, v21, v22, v24
	v_div_fixup_f32 v21, v21, v0, 1.0
	v_mul_f32_e32 v21, v36, v21
	v_mul_f32_e32 v22, v20, v21
	v_fma_f32 v20, v20, v21, 1.0
	v_div_scale_f32 v21, null, v20, v20, 1.0
	v_rcp_f32_e32 v23, v21
	v_fma_f32 v24, -v21, v23, 1.0
	v_fmac_f32_e32 v23, v24, v23
	v_div_scale_f32 v24, vcc_lo, 1.0, v20, 1.0
	v_mul_f32_e32 v25, v24, v23
	v_fma_f32 v26, -v21, v25, v24
	v_fmac_f32_e32 v25, v26, v23
	v_fma_f32 v21, -v21, v25, v24
	v_div_fmas_f32 v21, v21, v23, v25
	v_div_fixup_f32 v20, v21, v20, 1.0
	v_max_f32_e32 v21, 0x800000, v22
	v_mul_f32_e32 v20, v22, v20
	v_cmp_gt_f32_e32 vcc_lo, 0x800000, v21
	v_cndmask_b32_e64 v22, 0, 32, vcc_lo
	v_ldexp_f32 v21, v21, v22
	v_log_f32_e32 v21, v21
	v_mul_f32_e32 v22, 0x3e9a209a, v21
	v_cmp_gt_f32_e64 s0, 0x7f800000, |v21|
	v_fma_f32 v22, 0x3e9a209a, v21, -v22
	v_fmac_f32_e32 v22, 0x3284fbcf, v21
	v_fmac_f32_e32 v22, 0x3e9a209a, v21
	v_cndmask_b32_e64 v21, v21, v22, s0
	v_cndmask_b32_e64 v22, 0, 0x411a209b, vcc_lo
	v_sub_f32_e32 v21, v21, v22
	v_mul_f32_e32 v22, 0xbb9deb07, v34
	v_mul_f32_e32 v23, 0x3fb8aa3b, v22
	v_cmp_ngt_f32_e32 vcc_lo, 0xc2ce8ed0, v22
	v_fma_f32 v24, 0x3fb8aa3b, v22, -v23
	v_rndne_f32_e32 v25, v23
	v_fmac_f32_e32 v24, 0x32a5705f, v22
	v_sub_f32_e32 v23, v23, v25
	v_add_f32_e32 v23, v23, v24
	v_cvt_i32_f32_e32 v24, v25
	v_exp_f32_e32 v23, v23
	v_ldexp_f32 v23, v23, v24
	v_cndmask_b32_e32 v23, 0, v23, vcc_lo
	v_cmp_nlt_f32_e32 vcc_lo, 0x42b17218, v22
	v_cndmask_b32_e32 v22, 0x7f800000, v23, vcc_lo
	v_mul_f32_e32 v23, 0xb9c4e0f3, v34
	v_mul_f32_e32 v24, 0x3fb8aa3b, v23
	v_cmp_ngt_f32_e32 vcc_lo, 0xc2ce8ed0, v23
	v_fma_f32 v25, 0x3fb8aa3b, v23, -v24
	v_rndne_f32_e32 v26, v24
	v_fmac_f32_e32 v25, 0x32a5705f, v23
	v_sub_f32_e32 v24, v24, v26
	v_add_f32_e32 v24, v24, v25
	v_cvt_i32_f32_e32 v25, v26
	v_exp_f32_e32 v24, v24
	v_ldexp_f32 v24, v24, v25
	v_cndmask_b32_e32 v24, 0, v24, vcc_lo
	v_cmp_nlt_f32_e32 vcc_lo, 0x42b17218, v23
	v_cndmask_b32_e32 v23, 0x7f800000, v24, vcc_lo
	v_mul_f32_e32 v23, 0x3f483127, v23
	v_fmamk_f32 v22, v22, 0x3e5f3b64, v23
	v_mul_f32_e32 v23, 0xc5be7800, v19
	v_mul_f32_e32 v24, 0x3fb8aa3b, v23
	v_cmp_ngt_f32_e32 vcc_lo, 0xc2ce8ed0, v23
	v_fma_f32 v25, 0x3fb8aa3b, v23, -v24
	v_rndne_f32_e32 v26, v24
	v_fmac_f32_e32 v25, 0x32a5705f, v23
	v_sub_f32_e32 v24, v24, v26
	v_add_f32_e32 v24, v24, v25
	v_cvt_i32_f32_e32 v25, v26
	v_exp_f32_e32 v24, v24
	v_ldexp_f32 v24, v24, v25
	v_cndmask_b32_e32 v24, 0, v24, vcc_lo
	v_cmp_nlt_f32_e32 vcc_lo, 0x42b17218, v23
	v_cndmask_b32_e32 v23, 0x7f800000, v24, vcc_lo
	v_add_f32_e32 v22, v23, v22
	v_max_f32_e32 v22, 0x800000, v22
	v_cmp_gt_f32_e32 vcc_lo, 0x800000, v22
	v_cndmask_b32_e64 v23, 0, 32, vcc_lo
	v_ldexp_f32 v22, v22, v23
	v_log_f32_e32 v22, v22
	v_mul_f32_e32 v23, 0x3e9a209a, v22
	v_cmp_gt_f32_e64 s0, 0x7f800000, |v22|
	v_fma_f32 v23, 0x3e9a209a, v22, -v23
	v_fmac_f32_e32 v23, 0x3284fbcf, v22
	v_fmac_f32_e32 v23, 0x3e9a209a, v22
	v_cndmask_b32_e64 v22, v22, v23, s0
	v_cndmask_b32_e64 v23, 0, 0x411a209b, vcc_lo
	v_sub_f32_e32 v22, v22, v23
	v_fmaak_f32 v24, s5, v22, 0x3ecccccd
	v_fmaak_f32 v23, s4, v22, 0x3f400000
	v_sub_f32_e32 v21, v21, v24
	v_fmac_f32_e32 v23, 0xbe0f5c29, v21
	v_div_scale_f32 v24, null, v23, v23, 1.0
	v_rcp_f32_e32 v25, v24
	v_fma_f32 v26, -v24, v25, 1.0
	v_fmac_f32_e32 v25, v26, v25
	v_div_scale_f32 v26, vcc_lo, 1.0, v23, 1.0
	v_mul_f32_e32 v27, v26, v25
	v_fma_f32 v28, -v24, v27, v26
	v_fmac_f32_e32 v27, v28, v25
	v_fma_f32 v24, -v24, v27, v26
	v_div_fmas_f32 v24, v24, v25, v27
	v_div_fixup_f32 v23, v24, v23, 1.0
	v_mul_f32_e32 v21, v21, v23
	v_fma_f32 v21, v21, v21, 1.0
	v_div_scale_f32 v23, null, v21, v21, 1.0
	v_rcp_f32_e32 v24, v23
	v_fma_f32 v25, -v23, v24, 1.0
	v_fmac_f32_e32 v24, v25, v24
	v_div_scale_f32 v25, vcc_lo, 1.0, v21, 1.0
	v_mul_f32_e32 v26, v25, v24
	v_fma_f32 v27, -v23, v26, v25
	v_fmac_f32_e32 v26, v27, v24
	v_fma_f32 v23, -v23, v26, v25
	v_div_fmas_f32 v23, v23, v24, v26
	v_div_fixup_f32 v21, v23, v21, 1.0
	v_mul_f32_e32 v21, v22, v21
	v_mul_f32_e32 v22, 0x40549a78, v21
	v_cmp_ngt_f32_e32 vcc_lo, 0xc23369f4, v21
	v_fma_f32 v23, 0x40549a78, v21, -v22
	v_rndne_f32_e32 v24, v22
	v_fmac_f32_e32 v23, 0x33979a37, v21
	v_sub_f32_e32 v22, v22, v24
	v_add_f32_e32 v22, v22, v23
	v_cvt_i32_f32_e32 v23, v24
	v_exp_f32_e32 v22, v22
	v_ldexp_f32 v22, v22, v23
	v_cndmask_b32_e32 v22, 0, v22, vcc_lo
	v_cmp_nlt_f32_e32 vcc_lo, 0x421a209b, v21
	v_cndmask_b32_e32 v21, 0x7f800000, v22, vcc_lo
	v_add_co_u32 v15, vcc_lo, s14, v15
	v_add_co_ci_u32_e64 v16, null, s15, v16, vcc_lo
	v_mul_f32_e32 v20, v20, v21
	v_add_co_u32 v12, vcc_lo, s2, v12
	v_add_co_ci_u32_e64 v13, null, s3, v13, vcc_lo
	v_mul_f32_e32 v0, v0, v20
	global_store_dword v[17:18], v0, off
	global_load_dword v0, v[15:16], off
	global_load_dword v17, v[12:13], off
	v_mad_u64_u32 v[12:13], null, s1, 13, v[14:15]
	v_mov_b32_e32 v13, v1
	v_lshlrev_b64 v[13:14], 2, v[12:13]
	s_waitcnt vmcnt(1)
	v_mul_f32_e32 v0, v0, v20
	global_store_dword v[15:16], v0, off
	v_add_co_u32 v15, vcc_lo, s12, v13
	v_add_co_ci_u32_e64 v16, null, s13, v14, vcc_lo
	global_load_dword v0, v[15:16], off
	s_waitcnt vmcnt(0)
	v_div_scale_f32 v18, null, v0, v0, 1.0
	v_rcp_f32_e32 v20, v18
	v_fma_f32 v21, -v18, v20, 1.0
	v_fmac_f32_e32 v20, v21, v20
	v_div_scale_f32 v21, vcc_lo, 1.0, v0, 1.0
	v_mul_f32_e32 v22, v21, v20
	v_fma_f32 v23, -v18, v22, v21
	v_fmac_f32_e32 v22, v23, v20
	v_fma_f32 v18, -v18, v22, v21
	v_div_fmas_f32 v18, v18, v20, v22
	v_div_fixup_f32 v18, v18, v0, 1.0
	v_mul_f32_e32 v18, v36, v18
	v_mul_f32_e32 v20, v17, v18
	v_fma_f32 v17, v17, v18, 1.0
	v_div_scale_f32 v18, null, v17, v17, 1.0
	v_rcp_f32_e32 v21, v18
	v_fma_f32 v22, -v18, v21, 1.0
	v_fmac_f32_e32 v21, v22, v21
	v_div_scale_f32 v22, vcc_lo, 1.0, v17, 1.0
	v_mul_f32_e32 v23, v22, v21
	v_fma_f32 v24, -v18, v23, v22
	v_fmac_f32_e32 v23, v24, v21
	v_fma_f32 v18, -v18, v23, v22
	v_div_fmas_f32 v18, v18, v21, v23
	v_div_fixup_f32 v17, v18, v17, 1.0
	v_max_f32_e32 v18, 0x800000, v20
	v_mul_f32_e32 v17, v20, v17
	v_cmp_gt_f32_e32 vcc_lo, 0x800000, v18
	v_cndmask_b32_e64 v20, 0, 32, vcc_lo
	v_ldexp_f32 v18, v18, v20
	v_log_f32_e32 v18, v18
	v_mul_f32_e32 v20, 0x3e9a209a, v18
	v_cmp_gt_f32_e64 s0, 0x7f800000, |v18|
	v_fma_f32 v20, 0x3e9a209a, v18, -v20
	v_fmac_f32_e32 v20, 0x3284fbcf, v18
	v_fmac_f32_e32 v20, 0x3e9a209a, v18
	v_cndmask_b32_e64 v18, v18, v20, s0
	v_cndmask_b32_e64 v20, 0, 0x411a209b, vcc_lo
	v_sub_f32_e32 v18, v18, v20
	v_mul_f32_e32 v20, 0xba438ad4, v34
	v_mul_f32_e32 v21, 0x3fb8aa3b, v20
	v_cmp_ngt_f32_e32 vcc_lo, 0xc2ce8ed0, v20
	v_fma_f32 v22, 0x3fb8aa3b, v20, -v21
	v_rndne_f32_e32 v23, v21
	v_fmac_f32_e32 v22, 0x32a5705f, v20
	v_sub_f32_e32 v21, v21, v23
	v_add_f32_e32 v21, v21, v22
	v_cvt_i32_f32_e32 v22, v23
	v_exp_f32_e32 v21, v21
	v_ldexp_f32 v21, v21, v22
	v_cndmask_b32_e32 v21, 0, v21, vcc_lo
	v_cmp_nlt_f32_e32 vcc_lo, 0x42b17218, v20
	v_cndmask_b32_e32 v20, 0x7f800000, v21, vcc_lo
	v_mul_f32_e32 v21, 0xb78bcf65, v34
	v_mul_f32_e32 v22, 0x3fb8aa3b, v21
	v_cmp_ngt_f32_e32 vcc_lo, 0xc2ce8ed0, v21
	v_fma_f32 v23, 0x3fb8aa3b, v21, -v22
	v_rndne_f32_e32 v24, v22
	v_fmac_f32_e32 v23, 0x32a5705f, v21
	v_sub_f32_e32 v22, v22, v24
	v_add_f32_e32 v22, v22, v23
	v_cvt_i32_f32_e32 v23, v24
	v_exp_f32_e32 v22, v22
	v_ldexp_f32 v22, v22, v23
	v_cndmask_b32_e32 v22, 0, v22, vcc_lo
	v_cmp_nlt_f32_e32 vcc_lo, 0x42b17218, v21
	v_cndmask_b32_e32 v21, 0x7f800000, v22, vcc_lo
	v_mul_f32_e32 v21, 0x3e333333, v21
	v_fmamk_f32 v20, v20, 0x3f533333, v21
	v_mul_f32_e32 v21, 0xc61e6f33, v19
	v_mul_f32_e32 v22, 0x3fb8aa3b, v21
	v_cmp_ngt_f32_e32 vcc_lo, 0xc2ce8ed0, v21
	v_fma_f32 v23, 0x3fb8aa3b, v21, -v22
	v_rndne_f32_e32 v24, v22
	v_fmac_f32_e32 v23, 0x32a5705f, v21
	v_sub_f32_e32 v22, v22, v24
	v_add_f32_e32 v22, v22, v23
	v_cvt_i32_f32_e32 v23, v24
	v_exp_f32_e32 v22, v22
	v_ldexp_f32 v22, v22, v23
	v_cndmask_b32_e32 v22, 0, v22, vcc_lo
	v_cmp_nlt_f32_e32 vcc_lo, 0x42b17218, v21
	v_cndmask_b32_e32 v21, 0x7f800000, v22, vcc_lo
	v_add_f32_e32 v20, v21, v20
	v_max_f32_e32 v20, 0x800000, v20
	v_cmp_gt_f32_e32 vcc_lo, 0x800000, v20
	v_cndmask_b32_e64 v21, 0, 32, vcc_lo
	v_ldexp_f32 v20, v20, v21
	v_log_f32_e32 v20, v20
	v_mul_f32_e32 v21, 0x3e9a209a, v20
	v_cmp_gt_f32_e64 s0, 0x7f800000, |v20|
	v_fma_f32 v21, 0x3e9a209a, v20, -v21
	v_fmac_f32_e32 v21, 0x3284fbcf, v20
	v_fmac_f32_e32 v21, 0x3e9a209a, v20
	v_cndmask_b32_e64 v20, v20, v21, s0
	v_cndmask_b32_e64 v21, 0, 0x411a209b, vcc_lo
	v_sub_f32_e32 v20, v20, v21
	v_fmaak_f32 v22, s5, v20, 0x3ecccccd
	v_fmaak_f32 v21, s4, v20, 0x3f400000
	v_sub_f32_e32 v18, v18, v22
	v_fmac_f32_e32 v21, 0xbe0f5c29, v18
	v_div_scale_f32 v22, null, v21, v21, 1.0
	v_rcp_f32_e32 v23, v22
	v_fma_f32 v24, -v22, v23, 1.0
	v_fmac_f32_e32 v23, v24, v23
	v_div_scale_f32 v24, vcc_lo, 1.0, v21, 1.0
	v_mul_f32_e32 v25, v24, v23
	v_fma_f32 v26, -v22, v25, v24
	v_fmac_f32_e32 v25, v26, v23
	v_fma_f32 v22, -v22, v25, v24
	v_div_fmas_f32 v22, v22, v23, v25
	v_div_fixup_f32 v21, v22, v21, 1.0
	v_mul_f32_e32 v18, v18, v21
	v_fma_f32 v18, v18, v18, 1.0
	v_div_scale_f32 v21, null, v18, v18, 1.0
	v_rcp_f32_e32 v22, v21
	v_fma_f32 v23, -v21, v22, 1.0
	v_fmac_f32_e32 v22, v23, v22
	v_div_scale_f32 v23, vcc_lo, 1.0, v18, 1.0
	v_mul_f32_e32 v24, v23, v22
	v_fma_f32 v25, -v21, v24, v23
	v_fmac_f32_e32 v24, v25, v22
	v_fma_f32 v21, -v21, v24, v23
	v_div_fmas_f32 v21, v21, v22, v24
	v_div_fixup_f32 v18, v21, v18, 1.0
	v_mul_f32_e32 v18, v20, v18
	v_mul_f32_e32 v20, 0x40549a78, v18
	v_cmp_ngt_f32_e32 vcc_lo, 0xc23369f4, v18
	v_fma_f32 v21, 0x40549a78, v18, -v20
	v_rndne_f32_e32 v22, v20
	v_fmac_f32_e32 v21, 0x33979a37, v18
	v_sub_f32_e32 v20, v20, v22
	v_add_f32_e32 v20, v20, v21
	v_cvt_i32_f32_e32 v21, v22
	v_exp_f32_e32 v20, v20
	v_ldexp_f32 v20, v20, v21
	v_cndmask_b32_e32 v20, 0, v20, vcc_lo
	v_cmp_nlt_f32_e32 vcc_lo, 0x421a209b, v18
	v_cndmask_b32_e32 v18, 0x7f800000, v20, vcc_lo
	v_add_co_u32 v13, vcc_lo, s14, v13
	v_add_co_ci_u32_e64 v14, null, s15, v14, vcc_lo
	v_mul_f32_e32 v17, v17, v18
	v_add_co_u32 v10, vcc_lo, s2, v10
	v_add_co_ci_u32_e64 v11, null, s3, v11, vcc_lo
	v_mul_f32_e32 v0, v0, v17
	global_store_dword v[15:16], v0, off
	global_load_dword v0, v[13:14], off
	global_load_dword v15, v[10:11], off
	v_mad_u64_u32 v[10:11], null, s1, 3, v[12:13]
	v_mov_b32_e32 v11, v1
	v_lshlrev_b64 v[11:12], 2, v[10:11]
	s_waitcnt vmcnt(1)
	v_mul_f32_e32 v0, v0, v17
	global_store_dword v[13:14], v0, off
	v_add_co_u32 v13, vcc_lo, s12, v11
	v_add_co_ci_u32_e64 v14, null, s13, v12, vcc_lo
	global_load_dword v0, v[13:14], off
	s_waitcnt vmcnt(0)
	v_div_scale_f32 v16, null, v0, v0, 1.0
	v_rcp_f32_e32 v17, v16
	v_fma_f32 v18, -v16, v17, 1.0
	v_fmac_f32_e32 v17, v18, v17
	v_div_scale_f32 v18, vcc_lo, 1.0, v0, 1.0
	v_mul_f32_e32 v20, v18, v17
	v_fma_f32 v21, -v16, v20, v18
	v_fmac_f32_e32 v20, v21, v17
	v_fma_f32 v16, -v16, v20, v18
	v_div_fmas_f32 v16, v16, v17, v20
	v_div_fixup_f32 v16, v16, v0, 1.0
	v_mul_f32_e32 v16, v36, v16
	v_mul_f32_e32 v17, v15, v16
	v_fma_f32 v15, v15, v16, 1.0
	v_div_scale_f32 v16, null, v15, v15, 1.0
	v_rcp_f32_e32 v18, v16
	v_fma_f32 v20, -v16, v18, 1.0
	v_fmac_f32_e32 v18, v20, v18
	v_div_scale_f32 v20, vcc_lo, 1.0, v15, 1.0
	v_mul_f32_e32 v21, v20, v18
	v_fma_f32 v22, -v16, v21, v20
	v_fmac_f32_e32 v21, v22, v18
	v_fma_f32 v16, -v16, v21, v20
	v_div_fmas_f32 v16, v16, v18, v21
	v_div_fixup_f32 v15, v16, v15, 1.0
	v_max_f32_e32 v16, 0x800000, v17
	v_mul_f32_e32 v15, v17, v15
	v_cmp_gt_f32_e32 vcc_lo, 0x800000, v16
	v_cndmask_b32_e64 v17, 0, 32, vcc_lo
	v_ldexp_f32 v16, v16, v17
	v_log_f32_e32 v16, v16
	v_mul_f32_e32 v17, 0x3e9a209a, v16
	v_cmp_gt_f32_e64 s0, 0x7f800000, |v16|
	v_fma_f32 v17, 0x3e9a209a, v16, -v17
	v_fmac_f32_e32 v17, 0x3284fbcf, v16
	v_fmac_f32_e32 v17, 0x3e9a209a, v16
	v_cndmask_b32_e64 v16, v16, v17, s0
	v_cndmask_b32_e64 v17, 0, 0x411a209b, vcc_lo
	v_sub_f32_e32 v16, v16, v17
	v_mul_f32_e32 v17, 0xb8eba293, v34
	v_mul_f32_e32 v18, 0x3fb8aa3b, v17
	v_cmp_ngt_f32_e32 vcc_lo, 0xc2ce8ed0, v17
	v_fma_f32 v20, 0x3fb8aa3b, v17, -v18
	v_rndne_f32_e32 v21, v18
	v_fmac_f32_e32 v20, 0x32a5705f, v17
	v_sub_f32_e32 v18, v18, v21
	v_add_f32_e32 v18, v18, v20
	v_cvt_i32_f32_e32 v20, v21
	v_exp_f32_e32 v18, v18
	v_ldexp_f32 v18, v18, v20
	v_cndmask_b32_e32 v18, 0, v18, vcc_lo
	v_cmp_nlt_f32_e32 vcc_lo, 0x42b17218, v17
	v_cndmask_b32_e32 v17, 0x7f800000, v18, vcc_lo
	v_mul_f32_e32 v18, 0xb9710d4d, v34
	v_mul_f32_e32 v20, 0x3fb8aa3b, v18
	v_cmp_ngt_f32_e32 vcc_lo, 0xc2ce8ed0, v18
	v_fma_f32 v21, 0x3fb8aa3b, v18, -v20
	v_rndne_f32_e32 v22, v20
	v_fmac_f32_e32 v21, 0x32a5705f, v18
	v_sub_f32_e32 v20, v20, v22
	v_add_f32_e32 v20, v20, v21
	v_cvt_i32_f32_e32 v21, v22
	v_exp_f32_e32 v20, v20
	v_ldexp_f32 v20, v20, v21
	v_cndmask_b32_e32 v20, 0, v20, vcc_lo
	v_cmp_nlt_f32_e32 vcc_lo, 0x42b17218, v18
	v_cndmask_b32_e32 v18, 0x7f800000, v20, vcc_lo
	v_mul_f32_e32 v18, 0x3f0ccccd, v18
	v_fmamk_f32 v17, v17, 0x3ee66666, v18
	v_mul_f32_e32 v18, 0xc5e26000, v19
	v_mul_f32_e32 v20, 0x3fb8aa3b, v18
	v_cmp_ngt_f32_e32 vcc_lo, 0xc2ce8ed0, v18
	v_fma_f32 v21, 0x3fb8aa3b, v18, -v20
	v_rndne_f32_e32 v22, v20
	v_fmac_f32_e32 v21, 0x32a5705f, v18
	v_sub_f32_e32 v20, v20, v22
	v_add_f32_e32 v20, v20, v21
	v_cvt_i32_f32_e32 v21, v22
	v_exp_f32_e32 v20, v20
	v_ldexp_f32 v20, v20, v21
	v_cndmask_b32_e32 v20, 0, v20, vcc_lo
	v_cmp_nlt_f32_e32 vcc_lo, 0x42b17218, v18
	v_cndmask_b32_e32 v18, 0x7f800000, v20, vcc_lo
	v_add_f32_e32 v17, v18, v17
	v_max_f32_e32 v17, 0x800000, v17
	v_cmp_gt_f32_e32 vcc_lo, 0x800000, v17
	v_cndmask_b32_e64 v18, 0, 32, vcc_lo
	v_ldexp_f32 v17, v17, v18
	v_log_f32_e32 v17, v17
	v_mul_f32_e32 v18, 0x3e9a209a, v17
	v_cmp_gt_f32_e64 s0, 0x7f800000, |v17|
	v_fma_f32 v18, 0x3e9a209a, v17, -v18
	v_fmac_f32_e32 v18, 0x3284fbcf, v17
	v_fmac_f32_e32 v18, 0x3e9a209a, v17
	v_cndmask_b32_e64 v17, v17, v18, s0
	v_cndmask_b32_e64 v18, 0, 0x411a209b, vcc_lo
	v_sub_f32_e32 v17, v17, v18
	v_fmaak_f32 v20, s5, v17, 0x3ecccccd
	v_fmaak_f32 v18, s4, v17, 0x3f400000
	v_sub_f32_e32 v16, v16, v20
	v_fmac_f32_e32 v18, 0xbe0f5c29, v16
	v_div_scale_f32 v20, null, v18, v18, 1.0
	v_rcp_f32_e32 v21, v20
	v_fma_f32 v22, -v20, v21, 1.0
	v_fmac_f32_e32 v21, v22, v21
	v_div_scale_f32 v22, vcc_lo, 1.0, v18, 1.0
	v_mul_f32_e32 v23, v22, v21
	v_fma_f32 v24, -v20, v23, v22
	v_fmac_f32_e32 v23, v24, v21
	v_fma_f32 v20, -v20, v23, v22
	v_div_fmas_f32 v20, v20, v21, v23
	v_div_fixup_f32 v18, v20, v18, 1.0
	v_mul_f32_e32 v16, v16, v18
	v_fma_f32 v16, v16, v16, 1.0
	v_div_scale_f32 v18, null, v16, v16, 1.0
	v_rcp_f32_e32 v20, v18
	v_fma_f32 v21, -v18, v20, 1.0
	v_fmac_f32_e32 v20, v21, v20
	v_div_scale_f32 v21, vcc_lo, 1.0, v16, 1.0
	v_mul_f32_e32 v22, v21, v20
	v_fma_f32 v23, -v18, v22, v21
	v_fmac_f32_e32 v22, v23, v20
	v_fma_f32 v18, -v18, v22, v21
	v_div_fmas_f32 v18, v18, v20, v22
	v_div_fixup_f32 v16, v18, v16, 1.0
	v_mul_f32_e32 v16, v17, v16
	v_mul_f32_e32 v17, 0x40549a78, v16
	v_cmp_ngt_f32_e32 vcc_lo, 0xc23369f4, v16
	v_fma_f32 v18, 0x40549a78, v16, -v17
	v_rndne_f32_e32 v20, v17
	v_fmac_f32_e32 v18, 0x33979a37, v16
	v_sub_f32_e32 v17, v17, v20
	v_add_f32_e32 v17, v17, v18
	v_cvt_i32_f32_e32 v18, v20
	v_exp_f32_e32 v17, v17
	v_ldexp_f32 v17, v17, v18
	v_cndmask_b32_e32 v17, 0, v17, vcc_lo
	v_cmp_nlt_f32_e32 vcc_lo, 0x421a209b, v16
	v_cndmask_b32_e32 v16, 0x7f800000, v17, vcc_lo
	v_add_co_u32 v11, vcc_lo, s14, v11
	v_add_co_ci_u32_e64 v12, null, s15, v12, vcc_lo
	v_mul_f32_e32 v15, v15, v16
	v_mul_f32_e32 v0, v0, v15
	global_store_dword v[13:14], v0, off
	global_load_dword v0, v[11:12], off
	s_waitcnt vmcnt(0)
	v_mul_f32_e32 v0, v0, v15
	global_store_dword v[11:12], v0, off
	v_mad_u64_u32 v[10:11], null, 0xffffff7d, s1, v[10:11]
	v_mov_b32_e32 v11, v1
	v_lshlrev_b64 v[12:13], 2, v[10:11]
	v_mad_u64_u32 v[10:11], null, 0x8a, s1, v[10:11]
	v_mov_b32_e32 v11, v1
	v_add_co_u32 v12, vcc_lo, s2, v12
	v_add_co_ci_u32_e64 v13, null, s3, v13, vcc_lo
	global_load_dword v15, v[12:13], off
	v_lshlrev_b64 v[11:12], 2, v[10:11]
	v_add_co_u32 v13, vcc_lo, s12, v11
	v_add_co_ci_u32_e64 v14, null, s13, v12, vcc_lo
	global_load_dword v0, v[13:14], off
	s_waitcnt vmcnt(0)
	v_div_scale_f32 v16, null, v0, v0, 1.0
	v_rcp_f32_e32 v17, v16
	v_fma_f32 v18, -v16, v17, 1.0
	v_fmac_f32_e32 v17, v18, v17
	v_div_scale_f32 v18, vcc_lo, 1.0, v0, 1.0
	v_mul_f32_e32 v20, v18, v17
	v_fma_f32 v21, -v16, v20, v18
	v_fmac_f32_e32 v20, v21, v17
	v_fma_f32 v16, -v16, v20, v18
	v_div_fmas_f32 v16, v16, v17, v20
	v_div_fixup_f32 v16, v16, v0, 1.0
	v_mul_f32_e32 v16, v36, v16
	v_mul_f32_e32 v17, v15, v16
	v_fma_f32 v15, v15, v16, 1.0
	v_div_scale_f32 v16, null, v15, v15, 1.0
	v_rcp_f32_e32 v18, v16
	v_fma_f32 v20, -v16, v18, 1.0
	v_fmac_f32_e32 v18, v20, v18
	v_div_scale_f32 v20, vcc_lo, 1.0, v15, 1.0
	v_mul_f32_e32 v21, v20, v18
	v_fma_f32 v22, -v16, v21, v20
	v_fmac_f32_e32 v21, v22, v18
	v_fma_f32 v16, -v16, v21, v20
	v_div_fmas_f32 v16, v16, v18, v21
	v_div_fixup_f32 v15, v16, v15, 1.0
	v_max_f32_e32 v16, 0x800000, v17
	v_mul_f32_e32 v15, v17, v15
	v_cmp_gt_f32_e32 vcc_lo, 0x800000, v16
	v_cndmask_b32_e64 v17, 0, 32, vcc_lo
	v_ldexp_f32 v16, v16, v17
	v_log_f32_e32 v16, v16
	v_mul_f32_e32 v17, 0x3e9a209a, v16
	v_cmp_gt_f32_e64 s0, 0x7f800000, |v16|
	v_fma_f32 v17, 0x3e9a209a, v16, -v17
	v_fmac_f32_e32 v17, 0x3284fbcf, v16
	v_fmac_f32_e32 v17, 0x3e9a209a, v16
	v_cndmask_b32_e64 v16, v16, v17, s0
	v_cndmask_b32_e64 v17, 0, 0x411a209b, vcc_lo
	v_sub_f32_e32 v16, v16, v17
	v_mul_f32_e32 v17, 0xbbb60b61, v34
	v_mul_f32_e32 v18, 0x3fb8aa3b, v17
	v_cmp_ngt_f32_e32 vcc_lo, 0xc2ce8ed0, v17
	v_fma_f32 v20, 0x3fb8aa3b, v17, -v18
	v_rndne_f32_e32 v21, v18
	v_fmac_f32_e32 v20, 0x32a5705f, v17
	v_sub_f32_e32 v18, v18, v21
	v_add_f32_e32 v18, v18, v20
	v_cvt_i32_f32_e32 v20, v21
	v_exp_f32_e32 v18, v18
	v_ldexp_f32 v18, v18, v20
	v_cndmask_b32_e32 v18, 0, v18, vcc_lo
	v_cmp_nlt_f32_e32 vcc_lo, 0x42b17218, v17
	v_cndmask_b32_e32 v17, 0x7f800000, v18, vcc_lo
	v_mul_f32_e32 v18, 0xba7d477b, v34
	v_mul_f32_e32 v20, 0x3fb8aa3b, v18
	v_cmp_ngt_f32_e32 vcc_lo, 0xc2ce8ed0, v18
	v_fma_f32 v21, 0x3fb8aa3b, v18, -v20
	v_rndne_f32_e32 v22, v20
	v_fmac_f32_e32 v21, 0x32a5705f, v18
	v_sub_f32_e32 v20, v20, v22
	v_add_f32_e32 v20, v20, v21
	v_cvt_i32_f32_e32 v21, v22
	v_exp_f32_e32 v20, v20
	v_ldexp_f32 v20, v20, v21
	v_cndmask_b32_e32 v20, 0, v20, vcc_lo
	v_cmp_nlt_f32_e32 vcc_lo, 0x42b17218, v18
	v_cndmask_b32_e32 v18, 0x7f800000, v20, vcc_lo
	v_mul_f32_e32 v18, 0x3f3c0831, v18
	v_fmamk_f32 v17, v17, 0x3e87ef9e, v18
	v_mul_f32_e32 v18, 0xc5a94800, v19
	v_mul_f32_e32 v20, 0x3fb8aa3b, v18
	v_cmp_ngt_f32_e32 vcc_lo, 0xc2ce8ed0, v18
	v_fma_f32 v21, 0x3fb8aa3b, v18, -v20
	v_rndne_f32_e32 v22, v20
	v_fmac_f32_e32 v21, 0x32a5705f, v18
	v_sub_f32_e32 v20, v20, v22
	v_add_f32_e32 v20, v20, v21
	v_cvt_i32_f32_e32 v21, v22
	v_exp_f32_e32 v20, v20
	v_ldexp_f32 v20, v20, v21
	v_cndmask_b32_e32 v20, 0, v20, vcc_lo
	v_cmp_nlt_f32_e32 vcc_lo, 0x42b17218, v18
	v_cndmask_b32_e32 v18, 0x7f800000, v20, vcc_lo
	v_add_f32_e32 v17, v18, v17
	v_max_f32_e32 v17, 0x800000, v17
	v_cmp_gt_f32_e32 vcc_lo, 0x800000, v17
	v_cndmask_b32_e64 v18, 0, 32, vcc_lo
	v_ldexp_f32 v17, v17, v18
	v_log_f32_e32 v17, v17
	v_mul_f32_e32 v18, 0x3e9a209a, v17
	v_cmp_gt_f32_e64 s0, 0x7f800000, |v17|
	v_fma_f32 v18, 0x3e9a209a, v17, -v18
	v_fmac_f32_e32 v18, 0x3284fbcf, v17
	v_fmac_f32_e32 v18, 0x3e9a209a, v17
	v_cndmask_b32_e64 v17, v17, v18, s0
	v_cndmask_b32_e64 v18, 0, 0x411a209b, vcc_lo
	v_sub_f32_e32 v17, v17, v18
	v_fmaak_f32 v20, s5, v17, 0x3ecccccd
	v_fmaak_f32 v18, s4, v17, 0x3f400000
	v_sub_f32_e32 v16, v16, v20
	v_fmac_f32_e32 v18, 0xbe0f5c29, v16
	v_div_scale_f32 v20, null, v18, v18, 1.0
	v_rcp_f32_e32 v21, v20
	v_fma_f32 v22, -v20, v21, 1.0
	v_fmac_f32_e32 v21, v22, v21
	v_div_scale_f32 v22, vcc_lo, 1.0, v18, 1.0
	v_mul_f32_e32 v23, v22, v21
	v_fma_f32 v24, -v20, v23, v22
	v_fmac_f32_e32 v23, v24, v21
	v_fma_f32 v20, -v20, v23, v22
	v_div_fmas_f32 v20, v20, v21, v23
	v_div_fixup_f32 v18, v20, v18, 1.0
	v_mul_f32_e32 v16, v16, v18
	v_fma_f32 v16, v16, v16, 1.0
	v_div_scale_f32 v18, null, v16, v16, 1.0
	v_rcp_f32_e32 v20, v18
	v_fma_f32 v21, -v18, v20, 1.0
	v_fmac_f32_e32 v20, v21, v20
	v_div_scale_f32 v21, vcc_lo, 1.0, v16, 1.0
	v_mul_f32_e32 v22, v21, v20
	v_fma_f32 v23, -v18, v22, v21
	v_fmac_f32_e32 v22, v23, v20
	v_fma_f32 v18, -v18, v22, v21
	v_div_fmas_f32 v18, v18, v20, v22
	v_div_fixup_f32 v16, v18, v16, 1.0
	v_mul_f32_e32 v16, v17, v16
	v_mul_f32_e32 v17, 0x40549a78, v16
	v_cmp_ngt_f32_e32 vcc_lo, 0xc23369f4, v16
	v_fma_f32 v18, 0x40549a78, v16, -v17
	v_rndne_f32_e32 v20, v17
	v_fmac_f32_e32 v18, 0x33979a37, v16
	v_sub_f32_e32 v17, v17, v20
	v_add_f32_e32 v17, v17, v18
	v_cvt_i32_f32_e32 v18, v20
	v_exp_f32_e32 v17, v17
	v_ldexp_f32 v17, v17, v18
	v_cndmask_b32_e32 v17, 0, v17, vcc_lo
	v_cmp_nlt_f32_e32 vcc_lo, 0x421a209b, v16
	v_cndmask_b32_e32 v16, 0x7f800000, v17, vcc_lo
	v_add_co_u32 v11, vcc_lo, s14, v11
	v_add_co_ci_u32_e64 v12, null, s15, v12, vcc_lo
	v_mul_f32_e32 v15, v15, v16
	v_add_co_u32 v8, vcc_lo, s2, v8
	v_add_co_ci_u32_e64 v9, null, s3, v9, vcc_lo
	v_mul_f32_e32 v0, v0, v15
	global_store_dword v[13:14], v0, off
	global_load_dword v0, v[11:12], off
	global_load_dword v13, v[8:9], off
	s_waitcnt vmcnt(1)
	v_mul_f32_e32 v0, v0, v15
	global_store_dword v[11:12], v0, off
	v_add_nc_u32_e32 v0, s1, v10
	v_lshlrev_b64 v[8:9], 2, v[0:1]
	v_add_co_u32 v10, vcc_lo, s12, v8
	v_add_co_ci_u32_e64 v11, null, s13, v9, vcc_lo
	global_load_dword v12, v[10:11], off
	s_waitcnt vmcnt(0)
	v_div_scale_f32 v14, null, v12, v12, 1.0
	v_rcp_f32_e32 v15, v14
	v_fma_f32 v16, -v14, v15, 1.0
	v_fmac_f32_e32 v15, v16, v15
	v_div_scale_f32 v16, vcc_lo, 1.0, v12, 1.0
	v_mul_f32_e32 v17, v16, v15
	v_fma_f32 v18, -v14, v17, v16
	v_fmac_f32_e32 v17, v18, v15
	v_fma_f32 v14, -v14, v17, v16
	v_div_fmas_f32 v14, v14, v15, v17
	v_div_fixup_f32 v14, v14, v12, 1.0
	v_mul_f32_e32 v14, v36, v14
	v_mul_f32_e32 v15, v13, v14
	v_fma_f32 v13, v13, v14, 1.0
	v_div_scale_f32 v14, null, v13, v13, 1.0
	v_rcp_f32_e32 v16, v14
	v_fma_f32 v17, -v14, v16, 1.0
	v_fmac_f32_e32 v16, v17, v16
	v_div_scale_f32 v17, vcc_lo, 1.0, v13, 1.0
	v_mul_f32_e32 v18, v17, v16
	v_fma_f32 v20, -v14, v18, v17
	v_fmac_f32_e32 v18, v20, v16
	v_fma_f32 v14, -v14, v18, v17
	v_div_fmas_f32 v14, v14, v16, v18
	v_div_fixup_f32 v13, v14, v13, 1.0
	v_max_f32_e32 v14, 0x800000, v15
	v_mul_f32_e32 v13, v15, v13
	v_cmp_gt_f32_e32 vcc_lo, 0x800000, v14
	v_cndmask_b32_e64 v15, 0, 32, vcc_lo
	v_ldexp_f32 v14, v14, v15
	v_log_f32_e32 v14, v14
	v_mul_f32_e32 v15, 0x3e9a209a, v14
	v_cmp_gt_f32_e64 s0, 0x7f800000, |v14|
	v_fma_f32 v15, 0x3e9a209a, v14, -v15
	v_fmac_f32_e32 v15, 0x3284fbcf, v14
	v_fmac_f32_e32 v15, 0x3e9a209a, v14
	v_cndmask_b32_e64 v14, v14, v15, s0
	v_cndmask_b32_e64 v15, 0, 0x411a209b, vcc_lo
	v_sub_f32_e32 v14, v14, v15
	v_mul_f32_e32 v15, 0xbb9c09c1, v34
	v_mul_f32_e32 v16, 0x3fb8aa3b, v15
	v_cmp_ngt_f32_e32 vcc_lo, 0xc2ce8ed0, v15
	v_fma_f32 v17, 0x3fb8aa3b, v15, -v16
	v_rndne_f32_e32 v18, v16
	v_fmac_f32_e32 v17, 0x32a5705f, v15
	v_sub_f32_e32 v16, v16, v18
	v_add_f32_e32 v16, v16, v17
	v_cvt_i32_f32_e32 v17, v18
	v_exp_f32_e32 v16, v16
	v_ldexp_f32 v16, v16, v17
	v_cndmask_b32_e32 v16, 0, v16, vcc_lo
	v_cmp_nlt_f32_e32 vcc_lo, 0x42b17218, v15
	v_cndmask_b32_e32 v15, 0x7f800000, v16, vcc_lo
	v_mul_f32_e32 v16, 0xba853408, v34
	v_mul_f32_e32 v17, 0x3fb8aa3b, v16
	v_cmp_ngt_f32_e32 vcc_lo, 0xc2ce8ed0, v16
	v_fma_f32 v18, 0x3fb8aa3b, v16, -v17
	v_rndne_f32_e32 v20, v17
	v_fmac_f32_e32 v18, 0x32a5705f, v16
	v_sub_f32_e32 v17, v17, v20
	v_add_f32_e32 v17, v17, v18
	v_cvt_i32_f32_e32 v18, v20
	v_exp_f32_e32 v17, v17
	v_ldexp_f32 v17, v17, v18
	v_cndmask_b32_e32 v17, 0, v17, vcc_lo
	v_cmp_nlt_f32_e32 vcc_lo, 0x42b17218, v16
	v_cndmask_b32_e32 v16, 0x7f800000, v17, vcc_lo
	v_mul_f32_e32 v16, 0x3f79ad43, v16
	v_fmamk_f32 v15, v15, 0x3cca57a8, v16
	v_mul_f32_e32 v16, 0xc588b000, v19
	v_mul_f32_e32 v17, 0x3fb8aa3b, v16
	v_cmp_ngt_f32_e32 vcc_lo, 0xc2ce8ed0, v16
	v_fma_f32 v18, 0x3fb8aa3b, v16, -v17
	v_rndne_f32_e32 v20, v17
	v_fmac_f32_e32 v18, 0x32a5705f, v16
	v_sub_f32_e32 v17, v17, v20
	v_add_f32_e32 v17, v17, v18
	v_cvt_i32_f32_e32 v18, v20
	v_exp_f32_e32 v17, v17
	v_ldexp_f32 v17, v17, v18
	v_cndmask_b32_e32 v17, 0, v17, vcc_lo
	v_cmp_nlt_f32_e32 vcc_lo, 0x42b17218, v16
	v_cndmask_b32_e32 v16, 0x7f800000, v17, vcc_lo
	v_add_f32_e32 v15, v16, v15
	v_max_f32_e32 v15, 0x800000, v15
	v_cmp_gt_f32_e32 vcc_lo, 0x800000, v15
	v_cndmask_b32_e64 v16, 0, 32, vcc_lo
	v_ldexp_f32 v15, v15, v16
	v_log_f32_e32 v15, v15
	v_mul_f32_e32 v16, 0x3e9a209a, v15
	v_cmp_gt_f32_e64 s0, 0x7f800000, |v15|
	v_fma_f32 v16, 0x3e9a209a, v15, -v16
	v_fmac_f32_e32 v16, 0x3284fbcf, v15
	v_fmac_f32_e32 v16, 0x3e9a209a, v15
	v_cndmask_b32_e64 v15, v15, v16, s0
	v_cndmask_b32_e64 v16, 0, 0x411a209b, vcc_lo
	v_sub_f32_e32 v15, v15, v16
	v_fmaak_f32 v17, s5, v15, 0x3ecccccd
	v_fmaak_f32 v16, s4, v15, 0x3f400000
	v_sub_f32_e32 v14, v14, v17
	v_fmac_f32_e32 v16, 0xbe0f5c29, v14
	v_div_scale_f32 v17, null, v16, v16, 1.0
	v_rcp_f32_e32 v18, v17
	v_fma_f32 v20, -v17, v18, 1.0
	v_fmac_f32_e32 v18, v20, v18
	v_div_scale_f32 v20, vcc_lo, 1.0, v16, 1.0
	v_mul_f32_e32 v21, v20, v18
	v_fma_f32 v22, -v17, v21, v20
	v_fmac_f32_e32 v21, v22, v18
	v_fma_f32 v17, -v17, v21, v20
	v_div_fmas_f32 v17, v17, v18, v21
	v_div_fixup_f32 v16, v17, v16, 1.0
	v_mul_f32_e32 v14, v14, v16
	v_fma_f32 v14, v14, v14, 1.0
	v_div_scale_f32 v16, null, v14, v14, 1.0
	v_rcp_f32_e32 v17, v16
	v_fma_f32 v18, -v16, v17, 1.0
	v_fmac_f32_e32 v17, v18, v17
	v_div_scale_f32 v18, vcc_lo, 1.0, v14, 1.0
	v_mul_f32_e32 v20, v18, v17
	v_fma_f32 v21, -v16, v20, v18
	v_fmac_f32_e32 v20, v21, v17
	v_fma_f32 v16, -v16, v20, v18
	v_div_fmas_f32 v16, v16, v17, v20
	v_div_fixup_f32 v14, v16, v14, 1.0
	v_mul_f32_e32 v14, v15, v14
	v_mul_f32_e32 v15, 0x40549a78, v14
	v_cmp_ngt_f32_e32 vcc_lo, 0xc23369f4, v14
	v_fma_f32 v16, 0x40549a78, v14, -v15
	v_rndne_f32_e32 v17, v15
	v_fmac_f32_e32 v16, 0x33979a37, v14
	v_sub_f32_e32 v15, v15, v17
	v_add_f32_e32 v15, v15, v16
	v_cvt_i32_f32_e32 v16, v17
	v_exp_f32_e32 v15, v15
	v_ldexp_f32 v15, v15, v16
	v_cndmask_b32_e32 v15, 0, v15, vcc_lo
	v_cmp_nlt_f32_e32 vcc_lo, 0x421a209b, v14
	v_cndmask_b32_e32 v14, 0x7f800000, v15, vcc_lo
	v_add_co_u32 v8, vcc_lo, s14, v8
	v_add_co_ci_u32_e64 v9, null, s15, v9, vcc_lo
	v_mul_f32_e32 v13, v13, v14
	v_add_co_u32 v6, vcc_lo, s2, v6
	v_add_co_ci_u32_e64 v7, null, s3, v7, vcc_lo
	v_mul_f32_e32 v12, v12, v13
	global_store_dword v[10:11], v12, off
	global_load_dword v10, v[8:9], off
	global_load_dword v11, v[6:7], off
	v_mad_u64_u32 v[6:7], null, s1, 14, v[0:1]
	v_mov_b32_e32 v7, v1
	s_waitcnt vmcnt(1)
	v_mul_f32_e32 v10, v10, v13
	global_store_dword v[8:9], v10, off
	v_lshlrev_b64 v[7:8], 2, v[6:7]
	v_add_co_u32 v9, vcc_lo, s12, v7
	v_add_co_ci_u32_e64 v10, null, s13, v8, vcc_lo
	global_load_dword v0, v[9:10], off
	s_waitcnt vmcnt(0)
	v_div_scale_f32 v12, null, v0, v0, 1.0
	v_rcp_f32_e32 v13, v12
	v_fma_f32 v14, -v12, v13, 1.0
	v_fmac_f32_e32 v13, v14, v13
	v_div_scale_f32 v14, vcc_lo, 1.0, v0, 1.0
	v_mul_f32_e32 v15, v14, v13
	v_fma_f32 v16, -v12, v15, v14
	v_fmac_f32_e32 v15, v16, v13
	v_fma_f32 v12, -v12, v15, v14
	v_div_fmas_f32 v12, v12, v13, v15
	v_div_fixup_f32 v12, v12, v0, 1.0
	v_mul_f32_e32 v12, v36, v12
	v_mul_f32_e32 v13, v11, v12
	v_fma_f32 v11, v11, v12, 1.0
	v_div_scale_f32 v12, null, v11, v11, 1.0
	v_rcp_f32_e32 v14, v12
	v_fma_f32 v15, -v12, v14, 1.0
	v_fmac_f32_e32 v14, v15, v14
	v_div_scale_f32 v15, vcc_lo, 1.0, v11, 1.0
	v_mul_f32_e32 v16, v15, v14
	v_fma_f32 v17, -v12, v16, v15
	v_fmac_f32_e32 v16, v17, v14
	v_fma_f32 v12, -v12, v16, v15
	v_div_fmas_f32 v12, v12, v14, v16
	v_div_fixup_f32 v11, v12, v11, 1.0
	v_max_f32_e32 v12, 0x800000, v13
	v_mul_f32_e32 v11, v13, v11
	v_cmp_gt_f32_e32 vcc_lo, 0x800000, v12
	v_cndmask_b32_e64 v13, 0, 32, vcc_lo
	v_ldexp_f32 v12, v12, v13
	v_log_f32_e32 v12, v12
	v_mul_f32_e32 v13, 0x3e9a209a, v12
	v_cmp_gt_f32_e64 s0, 0x7f800000, |v12|
	v_fma_f32 v13, 0x3e9a209a, v12, -v13
	v_fmac_f32_e32 v13, 0x3284fbcf, v12
	v_fmac_f32_e32 v13, 0x3e9a209a, v12
	v_cndmask_b32_e64 v12, v12, v13, s0
	v_cndmask_b32_e64 v13, 0, 0x411a209b, vcc_lo
	v_sub_f32_e32 v12, v12, v13
	v_mul_f32_e32 v13, 0xbc03126f, v34
	v_mul_f32_e32 v14, 0x3fb8aa3b, v13
	v_cmp_ngt_f32_e32 vcc_lo, 0xc2ce8ed0, v13
	v_fma_f32 v15, 0x3fb8aa3b, v13, -v14
	v_rndne_f32_e32 v16, v14
	v_fmac_f32_e32 v15, 0x32a5705f, v13
	v_sub_f32_e32 v14, v14, v16
	v_add_f32_e32 v14, v14, v15
	v_cvt_i32_f32_e32 v15, v16
	v_exp_f32_e32 v14, v14
	v_ldexp_f32 v14, v14, v15
	v_cndmask_b32_e32 v14, 0, v14, vcc_lo
	v_cmp_nlt_f32_e32 vcc_lo, 0x42b17218, v13
	v_cndmask_b32_e32 v13, 0x7f800000, v14, vcc_lo
	v_mul_f32_e32 v14, 0xb9ec45af, v34
	v_mul_f32_e32 v15, 0x3fb8aa3b, v14
	v_cmp_ngt_f32_e32 vcc_lo, 0xc2ce8ed0, v14
	v_fma_f32 v16, 0x3fb8aa3b, v14, -v15
	v_rndne_f32_e32 v17, v15
	v_fmac_f32_e32 v16, 0x32a5705f, v14
	v_sub_f32_e32 v15, v15, v17
	v_add_f32_e32 v15, v15, v16
	v_cvt_i32_f32_e32 v16, v17
	v_exp_f32_e32 v15, v15
	v_ldexp_f32 v15, v15, v16
	v_cndmask_b32_e32 v15, 0, v15, vcc_lo
	v_cmp_nlt_f32_e32 vcc_lo, 0x42b17218, v14
	v_cndmask_b32_e32 v14, 0x7f800000, v15, vcc_lo
	v_mul_f32_e32 v14, 0x3f579a6b, v14
	v_fmamk_f32 v13, v13, 0x3e219653, v14
	v_mul_f32_e32 v14, 0xc5d71000, v19
	v_mul_f32_e32 v15, 0x3fb8aa3b, v14
	v_cmp_ngt_f32_e32 vcc_lo, 0xc2ce8ed0, v14
	v_fma_f32 v16, 0x3fb8aa3b, v14, -v15
	v_rndne_f32_e32 v17, v15
	v_fmac_f32_e32 v16, 0x32a5705f, v14
	v_sub_f32_e32 v15, v15, v17
	v_add_f32_e32 v15, v15, v16
	v_cvt_i32_f32_e32 v16, v17
	v_exp_f32_e32 v15, v15
	v_ldexp_f32 v15, v15, v16
	v_cndmask_b32_e32 v15, 0, v15, vcc_lo
	v_cmp_nlt_f32_e32 vcc_lo, 0x42b17218, v14
	v_cndmask_b32_e32 v14, 0x7f800000, v15, vcc_lo
	v_add_f32_e32 v13, v14, v13
	v_max_f32_e32 v13, 0x800000, v13
	v_cmp_gt_f32_e32 vcc_lo, 0x800000, v13
	v_cndmask_b32_e64 v14, 0, 32, vcc_lo
	v_ldexp_f32 v13, v13, v14
	v_log_f32_e32 v13, v13
	v_mul_f32_e32 v14, 0x3e9a209a, v13
	v_cmp_gt_f32_e64 s0, 0x7f800000, |v13|
	v_fma_f32 v14, 0x3e9a209a, v13, -v14
	v_fmac_f32_e32 v14, 0x3284fbcf, v13
	v_fmac_f32_e32 v14, 0x3e9a209a, v13
	v_cndmask_b32_e64 v13, v13, v14, s0
	v_cndmask_b32_e64 v14, 0, 0x411a209b, vcc_lo
	v_sub_f32_e32 v13, v13, v14
	v_fmaak_f32 v15, s5, v13, 0x3ecccccd
	v_fmaak_f32 v14, s4, v13, 0x3f400000
	v_sub_f32_e32 v12, v12, v15
	v_fmac_f32_e32 v14, 0xbe0f5c29, v12
	v_div_scale_f32 v15, null, v14, v14, 1.0
	v_rcp_f32_e32 v16, v15
	v_fma_f32 v17, -v15, v16, 1.0
	v_fmac_f32_e32 v16, v17, v16
	v_div_scale_f32 v17, vcc_lo, 1.0, v14, 1.0
	v_mul_f32_e32 v18, v17, v16
	v_fma_f32 v20, -v15, v18, v17
	v_fmac_f32_e32 v18, v20, v16
	v_fma_f32 v15, -v15, v18, v17
	v_div_fmas_f32 v15, v15, v16, v18
	v_div_fixup_f32 v14, v15, v14, 1.0
	v_mul_f32_e32 v12, v12, v14
	v_fma_f32 v12, v12, v12, 1.0
	v_div_scale_f32 v14, null, v12, v12, 1.0
	v_rcp_f32_e32 v15, v14
	v_fma_f32 v16, -v14, v15, 1.0
	v_fmac_f32_e32 v15, v16, v15
	v_div_scale_f32 v16, vcc_lo, 1.0, v12, 1.0
	v_mul_f32_e32 v17, v16, v15
	v_fma_f32 v18, -v14, v17, v16
	v_fmac_f32_e32 v17, v18, v15
	v_fma_f32 v14, -v14, v17, v16
	v_div_fmas_f32 v14, v14, v15, v17
	v_div_fixup_f32 v12, v14, v12, 1.0
	v_mul_f32_e32 v12, v13, v12
	v_mul_f32_e32 v13, 0x40549a78, v12
	v_cmp_ngt_f32_e32 vcc_lo, 0xc23369f4, v12
	v_fma_f32 v14, 0x40549a78, v12, -v13
	v_rndne_f32_e32 v15, v13
	v_fmac_f32_e32 v14, 0x33979a37, v12
	v_sub_f32_e32 v13, v13, v15
	v_add_f32_e32 v13, v13, v14
	v_cvt_i32_f32_e32 v14, v15
	v_exp_f32_e32 v13, v13
	v_ldexp_f32 v13, v13, v14
	v_cndmask_b32_e32 v13, 0, v13, vcc_lo
	v_cmp_nlt_f32_e32 vcc_lo, 0x421a209b, v12
	v_cndmask_b32_e32 v12, 0x7f800000, v13, vcc_lo
	v_add_co_u32 v7, vcc_lo, s14, v7
	v_add_co_ci_u32_e64 v8, null, s15, v8, vcc_lo
	v_mul_f32_e32 v11, v11, v12
	v_add_co_u32 v4, vcc_lo, s2, v4
	v_add_co_ci_u32_e64 v5, null, s3, v5, vcc_lo
	v_mul_f32_e32 v0, v0, v11
	global_store_dword v[9:10], v0, off
	global_load_dword v0, v[7:8], off
	global_load_dword v9, v[4:5], off
	v_mad_u64_u32 v[4:5], null, s1, 15, v[6:7]
	v_mov_b32_e32 v5, v1
	v_lshlrev_b64 v[5:6], 2, v[4:5]
	s_waitcnt vmcnt(1)
	v_mul_f32_e32 v0, v0, v11
	global_store_dword v[7:8], v0, off
	v_add_co_u32 v7, vcc_lo, s12, v5
	v_add_co_ci_u32_e64 v8, null, s13, v6, vcc_lo
	global_load_dword v0, v[7:8], off
	s_waitcnt vmcnt(0)
	v_div_scale_f32 v10, null, v0, v0, 1.0
	v_rcp_f32_e32 v11, v10
	v_fma_f32 v12, -v10, v11, 1.0
	v_fmac_f32_e32 v11, v12, v11
	v_div_scale_f32 v12, vcc_lo, 1.0, v0, 1.0
	v_mul_f32_e32 v13, v12, v11
	v_fma_f32 v14, -v10, v13, v12
	v_fmac_f32_e32 v13, v14, v11
	v_fma_f32 v10, -v10, v13, v12
	v_div_fmas_f32 v10, v10, v11, v13
	v_div_fixup_f32 v10, v10, v0, 1.0
	v_mul_f32_e32 v10, v36, v10
	v_mul_f32_e32 v11, v9, v10
	v_fma_f32 v9, v9, v10, 1.0
	v_div_scale_f32 v10, null, v9, v9, 1.0
	v_rcp_f32_e32 v12, v10
	v_fma_f32 v13, -v10, v12, 1.0
	v_fmac_f32_e32 v12, v13, v12
	v_div_scale_f32 v13, vcc_lo, 1.0, v9, 1.0
	v_mul_f32_e32 v14, v13, v12
	v_fma_f32 v15, -v10, v14, v13
	v_fmac_f32_e32 v14, v15, v12
	v_fma_f32 v10, -v10, v14, v13
	v_div_fmas_f32 v10, v10, v12, v14
	v_div_fixup_f32 v9, v10, v9, 1.0
	v_max_f32_e32 v10, 0x800000, v11
	v_mul_f32_e32 v9, v11, v9
	v_cmp_gt_f32_e32 vcc_lo, 0x800000, v10
	v_cndmask_b32_e64 v11, 0, 32, vcc_lo
	v_ldexp_f32 v10, v10, v11
	v_log_f32_e32 v10, v10
	v_mul_f32_e32 v11, 0x3e9a209a, v10
	v_cmp_gt_f32_e64 s0, 0x7f800000, |v10|
	v_fma_f32 v11, 0x3e9a209a, v10, -v11
	v_fmac_f32_e32 v11, 0x3284fbcf, v10
	v_fmac_f32_e32 v11, 0x3e9a209a, v10
	v_cndmask_b32_e64 v10, v10, v11, s0
	v_cndmask_b32_e64 v11, 0, 0x411a209b, vcc_lo
	v_sub_f32_e32 v10, v10, v11
	v_mul_f32_e32 v11, 0xba6f0d37, v34
	v_mul_f32_e32 v12, 0x3fb8aa3b, v11
	v_cmp_ngt_f32_e32 vcc_lo, 0xc2ce8ed0, v11
	v_fma_f32 v13, 0x3fb8aa3b, v11, -v12
	v_rndne_f32_e32 v14, v12
	v_fmac_f32_e32 v13, 0x32a5705f, v11
	v_sub_f32_e32 v12, v12, v14
	v_add_f32_e32 v12, v12, v13
	v_cvt_i32_f32_e32 v13, v14
	v_exp_f32_e32 v12, v12
	v_ldexp_f32 v12, v12, v13
	v_cndmask_b32_e32 v12, 0, v12, vcc_lo
	v_cmp_nlt_f32_e32 vcc_lo, 0x42b17218, v11
	v_cndmask_b32_e32 v11, 0x7f800000, v12, vcc_lo
	v_mul_f32_e32 v12, 0x3ca3d70a, v11
	v_fmamk_f32 v11, v11, 0x3f7ae148, v12
	v_mul_f32_e32 v12, 0xc5d65c00, v19
	v_mul_f32_e32 v13, 0x3fb8aa3b, v12
	v_cmp_ngt_f32_e32 vcc_lo, 0xc2ce8ed0, v12
	v_fma_f32 v14, 0x3fb8aa3b, v12, -v13
	v_rndne_f32_e32 v15, v13
	v_fmac_f32_e32 v14, 0x32a5705f, v12
	v_sub_f32_e32 v13, v13, v15
	v_add_f32_e32 v13, v13, v14
	v_cvt_i32_f32_e32 v14, v15
	v_exp_f32_e32 v13, v13
	v_ldexp_f32 v13, v13, v14
	v_cndmask_b32_e32 v13, 0, v13, vcc_lo
	v_cmp_nlt_f32_e32 vcc_lo, 0x42b17218, v12
	v_cndmask_b32_e32 v12, 0x7f800000, v13, vcc_lo
	v_add_f32_e32 v11, v12, v11
	v_max_f32_e32 v11, 0x800000, v11
	v_cmp_gt_f32_e32 vcc_lo, 0x800000, v11
	v_cndmask_b32_e64 v12, 0, 32, vcc_lo
	v_ldexp_f32 v11, v11, v12
	v_log_f32_e32 v11, v11
	v_mul_f32_e32 v12, 0x3e9a209a, v11
	v_cmp_gt_f32_e64 s0, 0x7f800000, |v11|
	v_fma_f32 v12, 0x3e9a209a, v11, -v12
	v_fmac_f32_e32 v12, 0x3284fbcf, v11
	v_fmac_f32_e32 v12, 0x3e9a209a, v11
	v_cndmask_b32_e64 v11, v11, v12, s0
	v_cndmask_b32_e64 v12, 0, 0x411a209b, vcc_lo
	v_sub_f32_e32 v11, v11, v12
	v_fmaak_f32 v13, s5, v11, 0x3ecccccd
	v_fmaak_f32 v12, s4, v11, 0x3f400000
	v_sub_f32_e32 v10, v10, v13
	v_fmac_f32_e32 v12, 0xbe0f5c29, v10
	v_div_scale_f32 v13, null, v12, v12, 1.0
	v_rcp_f32_e32 v14, v13
	v_fma_f32 v15, -v13, v14, 1.0
	v_fmac_f32_e32 v14, v15, v14
	v_div_scale_f32 v15, vcc_lo, 1.0, v12, 1.0
	v_mul_f32_e32 v16, v15, v14
	v_fma_f32 v17, -v13, v16, v15
	v_fmac_f32_e32 v16, v17, v14
	v_fma_f32 v13, -v13, v16, v15
	v_div_fmas_f32 v13, v13, v14, v16
	v_div_fixup_f32 v12, v13, v12, 1.0
	v_mul_f32_e32 v10, v10, v12
	v_fma_f32 v10, v10, v10, 1.0
	v_div_scale_f32 v12, null, v10, v10, 1.0
	v_rcp_f32_e32 v13, v12
	v_fma_f32 v14, -v12, v13, 1.0
	v_fmac_f32_e32 v13, v14, v13
	v_div_scale_f32 v14, vcc_lo, 1.0, v10, 1.0
	v_mul_f32_e32 v15, v14, v13
	v_fma_f32 v16, -v12, v15, v14
	v_fmac_f32_e32 v15, v16, v13
	v_fma_f32 v12, -v12, v15, v14
	v_div_fmas_f32 v12, v12, v13, v15
	v_div_fixup_f32 v10, v12, v10, 1.0
	v_mul_f32_e32 v10, v11, v10
	v_mul_f32_e32 v11, 0x40549a78, v10
	v_cmp_ngt_f32_e32 vcc_lo, 0xc23369f4, v10
	v_fma_f32 v12, 0x40549a78, v10, -v11
	v_rndne_f32_e32 v13, v11
	v_fmac_f32_e32 v12, 0x33979a37, v10
	v_sub_f32_e32 v11, v11, v13
	v_add_f32_e32 v11, v11, v12
	v_cvt_i32_f32_e32 v12, v13
	v_exp_f32_e32 v11, v11
	v_ldexp_f32 v11, v11, v12
	v_cndmask_b32_e32 v11, 0, v11, vcc_lo
	v_cmp_nlt_f32_e32 vcc_lo, 0x421a209b, v10
	v_cndmask_b32_e32 v10, 0x7f800000, v11, vcc_lo
	v_add_co_u32 v5, vcc_lo, s14, v5
	v_add_co_ci_u32_e64 v6, null, s15, v6, vcc_lo
	v_mul_f32_e32 v9, v9, v10
	v_add_co_u32 v2, vcc_lo, s2, v2
	v_add_co_ci_u32_e64 v3, null, s3, v3, vcc_lo
	v_mul_f32_e32 v0, v0, v9
	global_store_dword v[7:8], v0, off
	global_load_dword v0, v[5:6], off
	s_waitcnt vmcnt(0)
	v_mul_f32_e32 v0, v0, v9
	global_store_dword v[5:6], v0, off
	v_add_nc_u32_e32 v0, s6, v4
	global_load_dword v5, v[2:3], off
	v_lshlrev_b64 v[0:1], 2, v[0:1]
	v_add_co_u32 v2, vcc_lo, s12, v0
	v_add_co_ci_u32_e64 v3, null, s13, v1, vcc_lo
	global_load_dword v4, v[2:3], off
	s_waitcnt vmcnt(0)
	v_div_scale_f32 v6, null, v4, v4, 1.0
	v_rcp_f32_e32 v7, v6
	v_fma_f32 v8, -v6, v7, 1.0
	v_fmac_f32_e32 v7, v8, v7
	v_div_scale_f32 v8, vcc_lo, 1.0, v4, 1.0
	v_mul_f32_e32 v9, v8, v7
	v_fma_f32 v10, -v6, v9, v8
	v_fmac_f32_e32 v9, v10, v7
	v_fma_f32 v6, -v6, v9, v8
	v_div_fmas_f32 v6, v6, v7, v9
	v_div_fixup_f32 v6, v6, v4, 1.0
	v_mul_f32_e32 v6, v35, v6
	v_mul_f32_e32 v7, v5, v6
	v_fma_f32 v5, v5, v6, 1.0
	v_div_scale_f32 v6, null, v5, v5, 1.0
	v_rcp_f32_e32 v8, v6
	v_fma_f32 v9, -v6, v8, 1.0
	v_fmac_f32_e32 v8, v9, v8
	v_div_scale_f32 v9, vcc_lo, 1.0, v5, 1.0
	v_mul_f32_e32 v10, v9, v8
	v_fma_f32 v11, -v6, v10, v9
	v_fmac_f32_e32 v10, v11, v8
	v_fma_f32 v6, -v6, v10, v9
	v_div_fmas_f32 v6, v6, v8, v10
	v_div_fixup_f32 v5, v6, v5, 1.0
	v_max_f32_e32 v6, 0x800000, v7
	v_mul_f32_e32 v5, v7, v5
	v_cmp_gt_f32_e32 vcc_lo, 0x800000, v6
	v_cndmask_b32_e64 v7, 0, 32, vcc_lo
	v_ldexp_f32 v6, v6, v7
	v_log_f32_e32 v6, v6
	v_mul_f32_e32 v7, 0x3e9a209a, v6
	v_cmp_gt_f32_e64 s0, 0x7f800000, |v6|
	v_fma_f32 v7, 0x3e9a209a, v6, -v7
	v_fmac_f32_e32 v7, 0x3284fbcf, v6
	v_fmac_f32_e32 v7, 0x3e9a209a, v6
	v_cndmask_b32_e64 v6, v6, v7, s0
	v_cndmask_b32_e64 v7, 0, 0x411a209b, vcc_lo
	v_sub_f32_e32 v6, v6, v7
	v_mul_f32_e32 v7, 0xba83126f, v34
	v_mul_f32_e32 v8, 0x3fb8aa3b, v7
	v_cmp_ngt_f32_e32 vcc_lo, 0xc2ce8ed0, v7
	v_fma_f32 v9, 0x3fb8aa3b, v7, -v8
	v_rndne_f32_e32 v10, v8
	v_fmac_f32_e32 v9, 0x32a5705f, v7
	v_sub_f32_e32 v8, v8, v10
	v_add_f32_e32 v8, v8, v9
	v_cvt_i32_f32_e32 v9, v10
	v_exp_f32_e32 v8, v8
	v_ldexp_f32 v8, v8, v9
	v_cndmask_b32_e32 v8, 0, v8, vcc_lo
	v_cmp_nlt_f32_e32 vcc_lo, 0x42b17218, v7
	v_cndmask_b32_e32 v7, 0x7f800000, v8, vcc_lo
	v_mul_f32_e32 v8, 0xba481c24, v34
	v_mul_f32_e32 v9, 0x3fb8aa3b, v8
	v_cmp_ngt_f32_e32 vcc_lo, 0xc2ce8ed0, v8
	v_fma_f32 v10, 0x3fb8aa3b, v8, -v9
	v_rndne_f32_e32 v11, v9
	v_fmac_f32_e32 v10, 0x32a5705f, v8
	v_sub_f32_e32 v9, v9, v11
	v_add_f32_e32 v9, v9, v10
	v_cvt_i32_f32_e32 v10, v11
	v_exp_f32_e32 v9, v9
	v_ldexp_f32 v9, v9, v10
	v_cndmask_b32_e32 v9, 0, v9, vcc_lo
	v_cmp_nlt_f32_e32 vcc_lo, 0x42b17218, v8
	v_cndmask_b32_e32 v8, 0x7f800000, v9, vcc_lo
	v_fmac_f32_e32 v8, 0, v7
	v_mul_f32_e32 v7, 0xc73be100, v19
	v_mul_f32_e32 v9, 0x3fb8aa3b, v7
	v_cmp_ngt_f32_e32 vcc_lo, 0xc2ce8ed0, v7
	v_fma_f32 v10, 0x3fb8aa3b, v7, -v9
	v_rndne_f32_e32 v11, v9
	v_fmac_f32_e32 v10, 0x32a5705f, v7
	v_sub_f32_e32 v9, v9, v11
	v_add_f32_e32 v9, v9, v10
	v_cvt_i32_f32_e32 v10, v11
	v_exp_f32_e32 v9, v9
	v_ldexp_f32 v9, v9, v10
	v_cndmask_b32_e32 v9, 0, v9, vcc_lo
	v_cmp_nlt_f32_e32 vcc_lo, 0x42b17218, v7
	v_cndmask_b32_e32 v7, 0x7f800000, v9, vcc_lo
	v_add_f32_e32 v7, v7, v8
	v_max_f32_e32 v7, 0x800000, v7
	v_cmp_gt_f32_e32 vcc_lo, 0x800000, v7
	v_cndmask_b32_e64 v8, 0, 32, vcc_lo
	v_ldexp_f32 v7, v7, v8
	v_log_f32_e32 v7, v7
	v_mul_f32_e32 v8, 0x3e9a209a, v7
	v_cmp_gt_f32_e64 s0, 0x7f800000, |v7|
	v_fma_f32 v8, 0x3e9a209a, v7, -v8
	v_fmac_f32_e32 v8, 0x3284fbcf, v7
	v_fmac_f32_e32 v8, 0x3e9a209a, v7
	v_cndmask_b32_e64 v7, v7, v8, s0
	v_cndmask_b32_e64 v8, 0, 0x411a209b, vcc_lo
	v_sub_f32_e32 v7, v7, v8
	v_fmaak_f32 v9, s5, v7, 0x3ecccccd
	v_fmaak_f32 v8, s4, v7, 0x3f400000
	v_sub_f32_e32 v6, v6, v9
	v_fmac_f32_e32 v8, 0xbe0f5c29, v6
	v_div_scale_f32 v9, null, v8, v8, 1.0
	v_rcp_f32_e32 v10, v9
	v_fma_f32 v11, -v9, v10, 1.0
	v_fmac_f32_e32 v10, v11, v10
	v_div_scale_f32 v11, vcc_lo, 1.0, v8, 1.0
	v_mul_f32_e32 v12, v11, v10
	v_fma_f32 v13, -v9, v12, v11
	v_fmac_f32_e32 v12, v13, v10
	v_fma_f32 v9, -v9, v12, v11
	v_div_fmas_f32 v9, v9, v10, v12
	v_div_fixup_f32 v8, v9, v8, 1.0
	v_mul_f32_e32 v6, v6, v8
	v_fma_f32 v6, v6, v6, 1.0
	v_div_scale_f32 v8, null, v6, v6, 1.0
	v_rcp_f32_e32 v9, v8
	v_fma_f32 v10, -v8, v9, 1.0
	v_fmac_f32_e32 v9, v10, v9
	v_div_scale_f32 v10, vcc_lo, 1.0, v6, 1.0
	v_mul_f32_e32 v11, v10, v9
	v_fma_f32 v12, -v8, v11, v10
	v_fmac_f32_e32 v11, v12, v9
	v_fma_f32 v8, -v8, v11, v10
	v_div_fmas_f32 v8, v8, v9, v11
	v_div_fixup_f32 v6, v8, v6, 1.0
	v_mul_f32_e32 v6, v7, v6
	v_mul_f32_e32 v7, 0x40549a78, v6
	v_cmp_ngt_f32_e32 vcc_lo, 0xc23369f4, v6
	v_fma_f32 v8, 0x40549a78, v6, -v7
	v_rndne_f32_e32 v9, v7
	v_fmac_f32_e32 v8, 0x33979a37, v6
	v_sub_f32_e32 v7, v7, v9
	v_add_f32_e32 v7, v7, v8
	v_cvt_i32_f32_e32 v8, v9
	v_exp_f32_e32 v7, v7
	v_ldexp_f32 v7, v7, v8
	v_cndmask_b32_e32 v7, 0, v7, vcc_lo
	v_cmp_nlt_f32_e32 vcc_lo, 0x421a209b, v6
	v_cndmask_b32_e32 v6, 0x7f800000, v7, vcc_lo
	v_add_co_u32 v0, vcc_lo, s14, v0
	v_add_co_ci_u32_e64 v1, null, s15, v1, vcc_lo
	v_mul_f32_e32 v5, v5, v6
	v_mul_f32_e32 v4, v4, v5
	global_store_dword v[2:3], v4, off
	global_load_dword v2, v[0:1], off
	s_waitcnt vmcnt(0)
	v_mul_f32_e32 v2, v2, v5
	global_store_dword v[0:1], v2, off
	s_endpgm
	.section	.rodata,"a",@progbits
	.p2align	6, 0x0
	.amdhsa_kernel _Z12ratxb_kernelIfEvPKT_S2_PS0_S3_S2_S0_
		.amdhsa_group_segment_fixed_size 0
		.amdhsa_private_segment_fixed_size 0
		.amdhsa_kernarg_size 304
		.amdhsa_user_sgpr_count 6
		.amdhsa_user_sgpr_private_segment_buffer 1
		.amdhsa_user_sgpr_dispatch_ptr 0
		.amdhsa_user_sgpr_queue_ptr 0
		.amdhsa_user_sgpr_kernarg_segment_ptr 1
		.amdhsa_user_sgpr_dispatch_id 0
		.amdhsa_user_sgpr_flat_scratch_init 0
		.amdhsa_user_sgpr_private_segment_size 0
		.amdhsa_wavefront_size32 1
		.amdhsa_uses_dynamic_stack 0
		.amdhsa_system_sgpr_private_segment_wavefront_offset 0
		.amdhsa_system_sgpr_workgroup_id_x 1
		.amdhsa_system_sgpr_workgroup_id_y 0
		.amdhsa_system_sgpr_workgroup_id_z 0
		.amdhsa_system_sgpr_workgroup_info 0
		.amdhsa_system_vgpr_workitem_id 0
		.amdhsa_next_free_vgpr 54
		.amdhsa_next_free_sgpr 16
		.amdhsa_reserve_vcc 1
		.amdhsa_reserve_flat_scratch 0
		.amdhsa_float_round_mode_32 0
		.amdhsa_float_round_mode_16_64 0
		.amdhsa_float_denorm_mode_32 3
		.amdhsa_float_denorm_mode_16_64 3
		.amdhsa_dx10_clamp 1
		.amdhsa_ieee_mode 1
		.amdhsa_fp16_overflow 0
		.amdhsa_workgroup_processor_mode 1
		.amdhsa_memory_ordered 1
		.amdhsa_forward_progress 1
		.amdhsa_shared_vgpr_count 0
		.amdhsa_exception_fp_ieee_invalid_op 0
		.amdhsa_exception_fp_denorm_src 0
		.amdhsa_exception_fp_ieee_div_zero 0
		.amdhsa_exception_fp_ieee_overflow 0
		.amdhsa_exception_fp_ieee_underflow 0
		.amdhsa_exception_fp_ieee_inexact 0
		.amdhsa_exception_int_div_zero 0
	.end_amdhsa_kernel
	.section	.text._Z12ratxb_kernelIfEvPKT_S2_PS0_S3_S2_S0_,"axG",@progbits,_Z12ratxb_kernelIfEvPKT_S2_PS0_S3_S2_S0_,comdat
.Lfunc_end13:
	.size	_Z12ratxb_kernelIfEvPKT_S2_PS0_S3_S2_S0_, .Lfunc_end13-_Z12ratxb_kernelIfEvPKT_S2_PS0_S3_S2_S0_
                                        ; -- End function
	.set _Z12ratxb_kernelIfEvPKT_S2_PS0_S3_S2_S0_.num_vgpr, 54
	.set _Z12ratxb_kernelIfEvPKT_S2_PS0_S3_S2_S0_.num_agpr, 0
	.set _Z12ratxb_kernelIfEvPKT_S2_PS0_S3_S2_S0_.numbered_sgpr, 16
	.set _Z12ratxb_kernelIfEvPKT_S2_PS0_S3_S2_S0_.num_named_barrier, 0
	.set _Z12ratxb_kernelIfEvPKT_S2_PS0_S3_S2_S0_.private_seg_size, 0
	.set _Z12ratxb_kernelIfEvPKT_S2_PS0_S3_S2_S0_.uses_vcc, 1
	.set _Z12ratxb_kernelIfEvPKT_S2_PS0_S3_S2_S0_.uses_flat_scratch, 0
	.set _Z12ratxb_kernelIfEvPKT_S2_PS0_S3_S2_S0_.has_dyn_sized_stack, 0
	.set _Z12ratxb_kernelIfEvPKT_S2_PS0_S3_S2_S0_.has_recursion, 0
	.set _Z12ratxb_kernelIfEvPKT_S2_PS0_S3_S2_S0_.has_indirect_call, 0
	.section	.AMDGPU.csdata,"",@progbits
; Kernel info:
; codeLenInByte = 11956
; TotalNumSgprs: 18
; NumVgprs: 54
; ScratchSize: 0
; MemoryBound: 0
; FloatMode: 240
; IeeeMode: 1
; LDSByteSize: 0 bytes/workgroup (compile time only)
; SGPRBlocks: 0
; VGPRBlocks: 6
; NumSGPRsForWavesPerEU: 18
; NumVGPRsForWavesPerEU: 54
; Occupancy: 16
; WaveLimiterHint : 0
; COMPUTE_PGM_RSRC2:SCRATCH_EN: 0
; COMPUTE_PGM_RSRC2:USER_SGPR: 6
; COMPUTE_PGM_RSRC2:TRAP_HANDLER: 0
; COMPUTE_PGM_RSRC2:TGID_X_EN: 1
; COMPUTE_PGM_RSRC2:TGID_Y_EN: 0
; COMPUTE_PGM_RSRC2:TGID_Z_EN: 0
; COMPUTE_PGM_RSRC2:TIDIG_COMP_CNT: 0
	.section	.text._Z12ratx2_kernelIfEvPKT_PS0_S3_,"axG",@progbits,_Z12ratx2_kernelIfEvPKT_PS0_S3_,comdat
	.protected	_Z12ratx2_kernelIfEvPKT_PS0_S3_ ; -- Begin function _Z12ratx2_kernelIfEvPKT_PS0_S3_
	.globl	_Z12ratx2_kernelIfEvPKT_PS0_S3_
	.p2align	8
	.type	_Z12ratx2_kernelIfEvPKT_PS0_S3_,@function
_Z12ratx2_kernelIfEvPKT_PS0_S3_:        ; @_Z12ratx2_kernelIfEvPKT_PS0_S3_
; %bb.0:
	s_clause 0x1
	s_load_dword s0, s[4:5], 0x24
	s_load_dword s7, s[4:5], 0x18
	s_waitcnt lgkmcnt(0)
	s_and_b32 s8, s0, 0xffff
	s_load_dwordx4 s[0:3], s[4:5], 0x0
	v_mad_u64_u32 v[0:1], null, s6, s8, v[0:1]
	v_mov_b32_e32 v1, 0
	s_mul_i32 s4, s7, s8
	s_lshl_b32 s5, s4, 1
	v_mov_b32_e32 v3, v1
	v_add_nc_u32_e32 v2, s4, v0
	v_lshlrev_b64 v[8:9], 2, v[0:1]
	v_mov_b32_e32 v5, v1
	v_add_nc_u32_e32 v0, s5, v0
	v_add_nc_u32_e32 v4, s5, v2
	v_lshlrev_b64 v[6:7], 2, v[2:3]
	v_lshlrev_b64 v[12:13], 2, v[4:5]
	s_waitcnt lgkmcnt(0)
	v_add_co_u32 v10, vcc_lo, s2, v8
	v_add_co_ci_u32_e64 v11, null, s3, v9, vcc_lo
	v_add_co_u32 v4, vcc_lo, s0, v6
	v_add_co_ci_u32_e64 v5, null, s1, v7, vcc_lo
	;; [unrolled: 2-line block ×3, first 2 shown]
	global_load_dword v14, v[10:11], off
	global_load_dword v42, v[4:5], off
	v_add_co_u32 v34, vcc_lo, s0, v8
	global_load_dword v15, v[2:3], off
	v_add_co_ci_u32_e64 v35, null, s1, v9, vcc_lo
	v_add_co_u32 v6, vcc_lo, s2, v6
	v_add_co_ci_u32_e64 v7, null, s3, v7, vcc_lo
	s_waitcnt vmcnt(1)
	v_mul_f32_e32 v14, v14, v42
	s_waitcnt vmcnt(0)
	v_mul_f32_e32 v14, v14, v15
	global_store_dword v[10:11], v14, off
	v_lshlrev_b64 v[10:11], 2, v[0:1]
	v_add_nc_u32_e32 v0, s5, v0
	v_add_co_u32 v8, vcc_lo, s0, v10
	v_add_co_ci_u32_e64 v9, null, s1, v11, vcc_lo
	global_load_dword v43, v[8:9], off
	global_load_dword v14, v[6:7], off
	;; [unrolled: 1-line block ×3, first 2 shown]
	s_waitcnt vmcnt(1)
	v_mul_f32_e32 v14, v14, v43
	s_waitcnt vmcnt(0)
	v_mul_f32_e32 v14, v14, v16
	global_store_dword v[6:7], v14, off
	v_lshlrev_b64 v[6:7], 2, v[0:1]
	v_add_nc_u32_e32 v0, s4, v0
	v_add_co_u32 v6, vcc_lo, s0, v6
	v_add_co_ci_u32_e64 v7, null, s1, v7, vcc_lo
	v_add_co_u32 v10, vcc_lo, s2, v10
	v_add_co_ci_u32_e64 v11, null, s3, v11, vcc_lo
	global_load_dword v44, v[6:7], off
	global_load_dword v14, v[10:11], off
	s_waitcnt vmcnt(0)
	v_mul_f32_e32 v14, v14, v44
	v_mul_f32_e32 v14, v16, v14
	global_store_dword v[10:11], v14, off
	v_add_co_u32 v10, vcc_lo, s2, v12
	v_add_co_ci_u32_e64 v11, null, s3, v13, vcc_lo
	global_load_dword v12, v[10:11], off
	s_waitcnt vmcnt(0)
	v_mul_f32_e32 v12, v44, v12
	v_mul_f32_e32 v12, v44, v12
	global_store_dword v[10:11], v12, off
	v_lshlrev_b64 v[10:11], 2, v[0:1]
	v_add_nc_u32_e32 v0, s4, v0
	v_add_co_u32 v12, vcc_lo, s2, v10
	v_add_co_ci_u32_e64 v13, null, s3, v11, vcc_lo
	v_add_co_u32 v30, vcc_lo, s0, v10
	v_add_co_ci_u32_e64 v31, null, s1, v11, vcc_lo
	global_load_dword v14, v[12:13], off
	v_lshlrev_b64 v[10:11], 2, v[0:1]
	v_add_nc_u32_e32 v0, s4, v0
	v_lshlrev_b64 v[18:19], 2, v[0:1]
	v_lshl_add_u32 v0, s4, 2, v0
	s_waitcnt vmcnt(0)
	v_mul_f32_e32 v14, v42, v14
	v_mul_f32_e32 v14, v42, v14
	;; [unrolled: 1-line block ×3, first 2 shown]
	global_load_dword v16, v[30:31], off
	global_store_dword v[12:13], v14, off
	v_add_co_u32 v12, vcc_lo, s2, v10
	v_add_co_ci_u32_e64 v13, null, s3, v11, vcc_lo
	global_load_dword v14, v[12:13], off
	s_waitcnt vmcnt(0)
	v_mul_f32_e32 v14, v42, v14
	v_mul_f32_e32 v14, v42, v14
	;; [unrolled: 1-line block ×3, first 2 shown]
	global_store_dword v[12:13], v14, off
	v_lshlrev_b64 v[12:13], 2, v[0:1]
	v_add_nc_u32_e32 v0, s4, v0
	v_add_co_u32 v32, vcc_lo, s0, v12
	v_add_co_ci_u32_e64 v33, null, s1, v13, vcc_lo
	v_add_co_u32 v12, vcc_lo, s2, v18
	v_add_co_ci_u32_e64 v13, null, s3, v19, vcc_lo
	global_load_dword v17, v[32:33], off
	v_lshlrev_b64 v[22:23], 2, v[0:1]
	v_add_nc_u32_e32 v0, s4, v0
	global_load_dword v14, v[12:13], off
	v_lshlrev_b64 v[26:27], 2, v[0:1]
	v_add_nc_u32_e32 v0, s4, v0
	v_lshlrev_b64 v[20:21], 2, v[0:1]
	s_waitcnt vmcnt(0)
	v_mul_f32_e32 v14, v42, v14
	v_mul_f32_e32 v14, v42, v14
	v_mul_f32_e32 v14, v17, v14
	global_store_dword v[12:13], v14, off
	v_add_co_u32 v12, vcc_lo, s2, v22
	v_add_co_ci_u32_e64 v13, null, s3, v23, vcc_lo
	global_load_dword v14, v[12:13], off
	s_waitcnt vmcnt(0)
	v_mul_f32_e32 v14, v42, v14
	v_mul_f32_e32 v14, v15, v14
	v_mul_f32_e32 v14, v15, v14
	global_store_dword v[12:13], v14, off
	v_add_co_u32 v12, vcc_lo, s2, v26
	v_add_co_ci_u32_e64 v13, null, s3, v27, vcc_lo
	global_load_dword v14, v[12:13], off
	;; [unrolled: 8-line block ×3, first 2 shown]
	s_waitcnt vmcnt(0)
	v_mul_f32_e32 v14, v42, v14
	v_mul_f32_e32 v16, v15, v14
	v_mad_u64_u32 v[14:15], null, s4, 7, v[0:1]
	v_mov_b32_e32 v15, v1
	v_lshlrev_b64 v[38:39], 2, v[14:15]
	v_add_co_u32 v36, vcc_lo, s0, v38
	v_add_co_ci_u32_e64 v37, null, s1, v39, vcc_lo
	global_load_dword v0, v[36:37], off
	s_waitcnt vmcnt(0)
	v_mul_f32_e32 v0, v0, v16
	global_store_dword v[12:13], v0, off
	v_mad_u64_u32 v[12:13], null, s4, -6, v[14:15]
	v_mov_b32_e32 v13, v1
	v_lshlrev_b64 v[16:17], 2, v[12:13]
	v_add_co_u32 v13, vcc_lo, s2, v16
	v_add_co_ci_u32_e64 v14, null, s3, v17, vcc_lo
	v_add_co_u32 v10, vcc_lo, s0, v10
	v_add_co_ci_u32_e64 v11, null, s1, v11, vcc_lo
	global_load_dword v0, v[13:14], off
	s_waitcnt vmcnt(0)
	v_mul_f32_e32 v0, v44, v0
	v_mul_f32_e32 v0, v44, v0
	global_store_dword v[13:14], v0, off
	v_add_nc_u32_e32 v0, s4, v12
	v_lshlrev_b64 v[28:29], 2, v[0:1]
	v_add_nc_u32_e32 v0, s4, v0
	v_add_co_u32 v12, vcc_lo, s2, v28
	v_add_co_ci_u32_e64 v13, null, s3, v29, vcc_lo
	global_load_dword v45, v[10:11], off
	global_load_dword v14, v[12:13], off
	v_lshlrev_b64 v[24:25], 2, v[0:1]
	v_add_nc_u32_e32 v0, s4, v0
	s_waitcnt vmcnt(0)
	v_mul_f32_e32 v14, v14, v45
	v_mul_f32_e32 v14, v42, v14
	global_store_dword v[12:13], v14, off
	v_add_co_u32 v12, vcc_lo, s2, v24
	v_add_co_ci_u32_e64 v13, null, s3, v25, vcc_lo
	global_load_dword v14, v[12:13], off
	s_waitcnt vmcnt(0)
	v_mul_f32_e32 v14, v45, v14
	v_mul_f32_e32 v14, v42, v14
	global_store_dword v[12:13], v14, off
	v_lshlrev_b64 v[12:13], 2, v[0:1]
	v_add_nc_u32_e32 v0, s4, v0
	v_add_co_u32 v12, vcc_lo, s2, v12
	v_add_co_ci_u32_e64 v13, null, s3, v13, vcc_lo
	global_load_dword v14, v[12:13], off
	s_waitcnt vmcnt(0)
	v_mul_f32_e32 v14, v45, v14
	v_mul_f32_e32 v14, v42, v14
	global_store_dword v[12:13], v14, off
	v_lshlrev_b64 v[14:15], 2, v[0:1]
	v_add_nc_u32_e32 v0, s4, v0
	;; [unrolled: 9-line block ×3, first 2 shown]
	v_add_co_u32 v40, vcc_lo, s2, v12
	v_add_co_ci_u32_e64 v41, null, s3, v13, vcc_lo
	v_add_co_u32 v38, vcc_lo, s2, v38
	v_add_co_ci_u32_e64 v39, null, s3, v39, vcc_lo
	global_load_dword v46, v[40:41], off
	s_waitcnt vmcnt(0)
	v_mul_f32_e32 v46, v45, v46
	v_mul_f32_e32 v46, v44, v46
	global_store_dword v[40:41], v46, off
	global_load_dword v40, v[38:39], off
	s_waitcnt vmcnt(0)
	v_mul_f32_e32 v40, v45, v40
	v_mul_f32_e32 v40, v45, v40
	global_store_dword v[38:39], v40, off
	v_lshlrev_b64 v[38:39], 2, v[0:1]
	v_add_nc_u32_e32 v0, s4, v0
	v_add_co_u32 v38, vcc_lo, s2, v38
	v_add_co_ci_u32_e64 v39, null, s3, v39, vcc_lo
	v_add_co_u32 v18, vcc_lo, s0, v18
	v_add_co_ci_u32_e64 v19, null, s1, v19, vcc_lo
	global_load_dword v40, v[38:39], off
	s_waitcnt vmcnt(0)
	v_mul_f32_e32 v40, v45, v40
	v_mul_f32_e32 v40, v45, v40
	global_store_dword v[38:39], v40, off
	v_lshlrev_b64 v[38:39], 2, v[0:1]
	v_add_nc_u32_e32 v0, s4, v0
	v_add_co_u32 v38, vcc_lo, s2, v38
	v_add_co_ci_u32_e64 v39, null, s3, v39, vcc_lo
	global_load_dword v40, v[18:19], off
	global_load_dword v41, v[38:39], off
	s_waitcnt vmcnt(0)
	v_mul_f32_e32 v41, v41, v40
	v_mul_f32_e32 v41, v42, v41
	global_store_dword v[38:39], v41, off
	v_lshlrev_b64 v[38:39], 2, v[0:1]
	v_add_nc_u32_e32 v0, s4, v0
	v_add_co_u32 v38, vcc_lo, s2, v38
	v_add_co_ci_u32_e64 v39, null, s3, v39, vcc_lo
	global_load_dword v41, v[38:39], off
	s_waitcnt vmcnt(0)
	v_mul_f32_e32 v41, v40, v41
	v_mul_f32_e32 v41, v42, v41
	global_store_dword v[38:39], v41, off
	v_lshlrev_b64 v[38:39], 2, v[0:1]
	v_add_nc_u32_e32 v0, s4, v0
	v_add_co_u32 v38, vcc_lo, s2, v38
	v_add_co_ci_u32_e64 v39, null, s3, v39, vcc_lo
	;; [unrolled: 9-line block ×3, first 2 shown]
	global_load_dword v41, v[38:39], off
	s_waitcnt vmcnt(0)
	v_mul_f32_e32 v41, v40, v41
	v_mul_f32_e32 v41, v44, v41
	global_load_dword v44, v[6:7], off
	global_store_dword v[38:39], v41, off
	v_lshlrev_b64 v[38:39], 2, v[0:1]
	v_add_nc_u32_e32 v0, s5, v0
	v_add_co_u32 v38, vcc_lo, s2, v38
	v_add_co_ci_u32_e64 v39, null, s3, v39, vcc_lo
	global_load_dword v41, v[38:39], off
	s_waitcnt vmcnt(0)
	v_mul_f32_e32 v40, v41, v40
	v_mul_f32_e32 v40, v40, v44
	global_store_dword v[38:39], v40, off
	v_mad_u64_u32 v[40:41], null, 0xffffffed, s4, v[0:1]
	v_mov_b32_e32 v41, v1
	v_lshlrev_b64 v[38:39], 2, v[40:41]
	v_lshlrev_b64 v[41:42], 2, v[0:1]
	v_add_co_u32 v38, vcc_lo, s0, v38
	v_add_co_ci_u32_e64 v39, null, s1, v39, vcc_lo
	v_add_co_u32 v41, vcc_lo, s2, v41
	v_add_co_ci_u32_e64 v42, null, s3, v42, vcc_lo
	global_load_dword v45, v[38:39], off
	global_load_dword v0, v[41:42], off
	s_clause 0x2
	global_load_dword v46, v[34:35], off
	global_load_dword v43, v[2:3], off
	;; [unrolled: 1-line block ×3, first 2 shown]
	s_waitcnt vmcnt(3)
	v_mul_f32_e32 v0, v0, v45
	v_mul_f32_e32 v0, v0, v44
	global_store_dword v[41:42], v0, off
	v_mad_u64_u32 v[40:41], null, s4, 20, v[40:41]
	v_mov_b32_e32 v41, v1
	v_lshlrev_b64 v[41:42], 2, v[40:41]
	v_add_co_u32 v41, vcc_lo, s2, v41
	v_add_co_ci_u32_e64 v42, null, s3, v42, vcc_lo
	global_load_dword v0, v[41:42], off
	s_waitcnt vmcnt(0)
	v_mul_f32_e32 v0, v0, v45
	v_mul_f32_e32 v0, v0, v46
	global_store_dword v[41:42], v0, off
	v_add_nc_u32_e32 v0, s4, v40
	v_lshlrev_b64 v[40:41], 2, v[0:1]
	v_add_nc_u32_e32 v0, s4, v0
	v_add_co_u32 v40, vcc_lo, s2, v40
	v_add_co_ci_u32_e64 v41, null, s3, v41, vcc_lo
	global_load_dword v42, v[40:41], off
	s_waitcnt vmcnt(0)
	v_mul_f32_e32 v42, v42, v45
	v_mul_f32_e32 v42, v42, v43
	global_store_dword v[40:41], v42, off
	v_lshlrev_b64 v[40:41], 2, v[0:1]
	v_add_nc_u32_e32 v0, s4, v0
	v_add_co_u32 v40, vcc_lo, s2, v40
	v_add_co_ci_u32_e64 v41, null, s3, v41, vcc_lo
	global_load_dword v42, v[40:41], off
	s_waitcnt vmcnt(0)
	v_mul_f32_e32 v42, v42, v45
	v_mul_f32_e32 v42, v42, v47
	global_store_dword v[40:41], v42, off
	v_lshlrev_b64 v[40:41], 2, v[0:1]
	v_add_nc_u32_e32 v0, s4, v0
	v_add_co_u32 v40, vcc_lo, s2, v40
	v_add_co_ci_u32_e64 v41, null, s3, v41, vcc_lo
	global_load_dword v42, v[8:9], off
	global_load_dword v47, v[40:41], off
	s_waitcnt vmcnt(0)
	v_mul_f32_e32 v47, v47, v42
	global_store_dword v[40:41], v47, off
	v_lshlrev_b64 v[40:41], 2, v[0:1]
	v_add_nc_u32_e32 v0, s4, v0
	v_add_co_u32 v40, vcc_lo, s2, v40
	v_add_co_ci_u32_e64 v41, null, s3, v41, vcc_lo
	global_load_dword v47, v[40:41], off
	s_waitcnt vmcnt(0)
	v_mul_f32_e32 v44, v47, v44
	global_store_dword v[40:41], v44, off
	v_lshlrev_b64 v[40:41], 2, v[0:1]
	v_add_nc_u32_e32 v0, s4, v0
	v_add_co_u32 v40, vcc_lo, s2, v40
	v_add_co_ci_u32_e64 v41, null, s3, v41, vcc_lo
	;; [unrolled: 8-line block ×3, first 2 shown]
	global_load_dword v44, v[30:31], off
	global_load_dword v46, v[40:41], off
	s_waitcnt vmcnt(0)
	v_mul_f32_e32 v44, v46, v44
	global_store_dword v[40:41], v44, off
	v_lshlrev_b64 v[40:41], 2, v[0:1]
	v_add_nc_u32_e32 v0, s4, v0
	v_add_co_u32 v40, vcc_lo, s2, v40
	v_add_co_ci_u32_e64 v41, null, s3, v41, vcc_lo
	global_load_dword v44, v[40:41], off
	s_waitcnt vmcnt(0)
	v_mul_f32_e32 v44, v44, v43
	global_store_dword v[40:41], v44, off
	v_lshlrev_b64 v[40:41], 2, v[0:1]
	v_add_nc_u32_e32 v0, s4, v0
	v_add_co_u32 v40, vcc_lo, s2, v40
	v_add_co_ci_u32_e64 v41, null, s3, v41, vcc_lo
	;; [unrolled: 8-line block ×3, first 2 shown]
	global_load_dword v44, v[32:33], off
	global_load_dword v45, v[40:41], off
	s_waitcnt vmcnt(0)
	v_mul_f32_e32 v44, v45, v44
	global_store_dword v[40:41], v44, off
	v_lshlrev_b64 v[40:41], 2, v[0:1]
	v_add_nc_u32_e32 v0, s4, v0
	v_add_co_u32 v40, vcc_lo, s2, v40
	v_add_co_ci_u32_e64 v41, null, s3, v41, vcc_lo
	global_load_dword v46, v[4:5], off
	global_load_dword v44, v[40:41], off
	s_waitcnt vmcnt(0)
	v_mul_f32_e32 v44, v44, v46
	global_store_dword v[40:41], v44, off
	v_lshlrev_b64 v[40:41], 2, v[0:1]
	v_add_nc_u32_e32 v0, s4, v0
	v_add_co_u32 v40, vcc_lo, s2, v40
	v_add_co_ci_u32_e64 v41, null, s3, v41, vcc_lo
	global_load_dword v44, v[40:41], off
	s_waitcnt vmcnt(0)
	v_mul_f32_e32 v44, v44, v46
	global_store_dword v[40:41], v44, off
	v_lshlrev_b64 v[40:41], 2, v[0:1]
	v_add_nc_u32_e32 v0, s4, v0
	v_add_co_u32 v40, vcc_lo, s2, v40
	v_add_co_ci_u32_e64 v41, null, s3, v41, vcc_lo
	;; [unrolled: 8-line block ×4, first 2 shown]
	global_load_dword v40, v[6:7], off
	global_load_dword v41, v[44:45], off
	s_waitcnt vmcnt(0)
	v_mul_f32_e32 v41, v41, v40
	global_store_dword v[44:45], v41, off
	v_lshlrev_b64 v[44:45], 2, v[0:1]
	v_add_nc_u32_e32 v0, s4, v0
	v_add_co_u32 v44, vcc_lo, s2, v44
	v_add_co_ci_u32_e64 v45, null, s3, v45, vcc_lo
	global_load_dword v41, v[44:45], off
	s_waitcnt vmcnt(0)
	v_mul_f32_e32 v41, v41, v43
	global_store_dword v[44:45], v41, off
	v_lshlrev_b64 v[44:45], 2, v[0:1]
	v_add_nc_u32_e32 v0, s4, v0
	v_add_co_u32 v44, vcc_lo, s2, v44
	v_add_co_ci_u32_e64 v45, null, s3, v45, vcc_lo
	;; [unrolled: 8-line block ×3, first 2 shown]
	global_load_dword v34, v[34:35], off
	global_load_dword v35, v[44:45], off
	s_waitcnt vmcnt(0)
	v_mul_f32_e32 v35, v35, v34
	global_store_dword v[44:45], v35, off
	v_lshlrev_b64 v[44:45], 2, v[0:1]
	v_add_nc_u32_e32 v0, s4, v0
	v_add_co_u32 v44, vcc_lo, s2, v44
	v_add_co_ci_u32_e64 v45, null, s3, v45, vcc_lo
	global_load_dword v35, v[44:45], off
	s_waitcnt vmcnt(0)
	v_mul_f32_e32 v35, v35, v42
	global_store_dword v[44:45], v35, off
	v_lshlrev_b64 v[44:45], 2, v[0:1]
	v_add_nc_u32_e32 v0, s4, v0
	v_add_co_u32 v44, vcc_lo, s2, v44
	v_add_co_ci_u32_e64 v45, null, s3, v45, vcc_lo
	global_load_dword v35, v[44:45], off
	s_waitcnt vmcnt(0)
	v_mul_f32_e32 v35, v35, v43
	global_store_dword v[44:45], v35, off
	v_lshlrev_b64 v[44:45], 2, v[0:1]
	v_add_nc_u32_e32 v0, s4, v0
	v_add_co_u32 v44, vcc_lo, s2, v44
	v_add_co_ci_u32_e64 v45, null, s3, v45, vcc_lo
	global_load_dword v35, v[44:45], off
	s_waitcnt vmcnt(0)
	v_mul_f32_e32 v35, v35, v43
	global_store_dword v[44:45], v35, off
	v_lshlrev_b64 v[43:44], 2, v[0:1]
	v_add_nc_u32_e32 v0, s4, v0
	v_add_co_u32 v43, vcc_lo, s2, v43
	v_add_co_ci_u32_e64 v44, null, s3, v44, vcc_lo
	global_load_dword v35, v[43:44], off
	s_waitcnt vmcnt(0)
	v_mul_f32_e32 v35, v35, v40
	global_store_dword v[43:44], v35, off
	v_lshlrev_b64 v[43:44], 2, v[0:1]
	v_add_nc_u32_e32 v0, s4, v0
	v_add_co_u32 v43, vcc_lo, s2, v43
	v_add_co_ci_u32_e64 v44, null, s3, v44, vcc_lo
	global_load_dword v35, v[43:44], off
	s_waitcnt vmcnt(0)
	v_mul_f32_e32 v35, v35, v40
	global_store_dword v[43:44], v35, off
	v_lshlrev_b64 v[43:44], 2, v[0:1]
	v_add_nc_u32_e32 v0, s4, v0
	v_add_co_u32 v43, vcc_lo, s2, v43
	v_add_co_ci_u32_e64 v44, null, s3, v44, vcc_lo
	global_load_dword v35, v[10:11], off
	global_load_dword v41, v[43:44], off
	s_waitcnt vmcnt(0)
	v_mul_f32_e32 v35, v41, v35
	global_store_dword v[43:44], v35, off
	v_lshlrev_b64 v[43:44], 2, v[0:1]
	v_add_co_u32 v43, vcc_lo, s2, v43
	v_add_co_ci_u32_e64 v44, null, s3, v44, vcc_lo
	global_load_dword v35, v[38:39], off
	global_load_dword v38, v[43:44], off
	s_waitcnt vmcnt(0)
	v_mul_f32_e32 v38, v38, v35
	global_store_dword v[43:44], v38, off
	v_mad_u64_u32 v[38:39], null, s4, 3, v[0:1]
	v_mov_b32_e32 v39, v1
	v_lshlrev_b64 v[43:44], 2, v[38:39]
	v_add_co_u32 v43, vcc_lo, s2, v43
	v_add_co_ci_u32_e64 v44, null, s3, v44, vcc_lo
	global_load_dword v0, v[36:37], off
	global_load_dword v36, v[43:44], off
	s_waitcnt vmcnt(0)
	v_mul_f32_e32 v0, v36, v0
	global_store_dword v[43:44], v0, off
	v_add_nc_u32_e32 v0, s4, v38
	v_lshlrev_b64 v[36:37], 2, v[0:1]
	v_add_nc_u32_e32 v0, s4, v0
	v_add_co_u32 v36, vcc_lo, s2, v36
	v_add_co_ci_u32_e64 v37, null, s3, v37, vcc_lo
	global_load_dword v38, v[4:5], off
	global_load_dword v39, v[36:37], off
	s_waitcnt vmcnt(0)
	v_mul_f32_e32 v39, v39, v38
	global_store_dword v[36:37], v39, off
	v_lshlrev_b64 v[36:37], 2, v[0:1]
	v_add_nc_u32_e32 v0, s4, v0
	v_add_co_u32 v36, vcc_lo, s2, v36
	v_add_co_ci_u32_e64 v37, null, s3, v37, vcc_lo
	global_load_dword v39, v[36:37], off
	s_waitcnt vmcnt(0)
	v_mul_f32_e32 v39, v39, v42
	global_store_dword v[36:37], v39, off
	v_lshlrev_b64 v[36:37], 2, v[0:1]
	v_add_nc_u32_e32 v0, s4, v0
	v_add_co_u32 v36, vcc_lo, s2, v36
	v_add_co_ci_u32_e64 v37, null, s3, v37, vcc_lo
	;; [unrolled: 8-line block ×5, first 2 shown]
	global_load_dword v39, v[2:3], off
	global_load_dword v34, v[36:37], off
	s_waitcnt vmcnt(0)
	v_mul_f32_e32 v34, v34, v39
	global_store_dword v[36:37], v34, off
	v_lshlrev_b64 v[36:37], 2, v[0:1]
	v_add_nc_u32_e32 v0, s4, v0
	v_add_co_u32 v36, vcc_lo, s2, v36
	v_add_co_ci_u32_e64 v37, null, s3, v37, vcc_lo
	global_load_dword v34, v[36:37], off
	s_waitcnt vmcnt(0)
	v_mul_f32_e32 v34, v34, v39
	global_store_dword v[36:37], v34, off
	v_lshlrev_b64 v[36:37], 2, v[0:1]
	v_add_nc_u32_e32 v0, s4, v0
	v_add_co_u32 v36, vcc_lo, s2, v36
	v_add_co_ci_u32_e64 v37, null, s3, v37, vcc_lo
	global_load_dword v30, v[30:31], off
	global_load_dword v31, v[36:37], off
	s_waitcnt vmcnt(0)
	v_mul_f32_e32 v30, v31, v30
	global_store_dword v[36:37], v30, off
	v_lshlrev_b64 v[30:31], 2, v[0:1]
	v_add_nc_u32_e32 v0, s4, v0
	v_add_co_u32 v30, vcc_lo, s2, v30
	v_add_co_ci_u32_e64 v31, null, s3, v31, vcc_lo
	global_load_dword v34, v[30:31], off
	s_waitcnt vmcnt(0)
	v_mul_f32_e32 v34, v34, v35
	global_store_dword v[30:31], v34, off
	v_lshlrev_b64 v[30:31], 2, v[0:1]
	v_add_nc_u32_e32 v0, s4, v0
	v_add_co_u32 v30, vcc_lo, s2, v30
	v_add_co_ci_u32_e64 v31, null, s3, v31, vcc_lo
	global_load_dword v32, v[32:33], off
	global_load_dword v33, v[30:31], off
	s_waitcnt vmcnt(0)
	v_mul_f32_e32 v33, v33, v32
	global_store_dword v[30:31], v33, off
	v_lshlrev_b64 v[30:31], 2, v[0:1]
	v_add_nc_u32_e32 v0, s4, v0
	v_add_co_u32 v30, vcc_lo, s2, v30
	v_add_co_ci_u32_e64 v31, null, s3, v31, vcc_lo
	global_load_dword v33, v[30:31], off
	s_waitcnt vmcnt(0)
	v_mul_f32_e32 v32, v33, v32
	global_store_dword v[30:31], v32, off
	v_add_co_u32 v30, vcc_lo, s0, v22
	v_add_co_ci_u32_e64 v31, null, s1, v23, vcc_lo
	v_lshlrev_b64 v[22:23], 2, v[0:1]
	v_add_nc_u32_e32 v0, s4, v0
	v_add_co_u32 v22, vcc_lo, s2, v22
	v_add_co_ci_u32_e64 v23, null, s3, v23, vcc_lo
	global_load_dword v32, v[30:31], off
	global_load_dword v33, v[22:23], off
	;; [unrolled: 1-line block ×3, first 2 shown]
	s_waitcnt vmcnt(1)
	v_mul_f32_e32 v33, v33, v32
	v_mul_f32_e32 v33, v33, v38
	global_store_dword v[22:23], v33, off
	v_lshlrev_b64 v[22:23], 2, v[0:1]
	v_add_nc_u32_e32 v0, s4, v0
	v_add_co_u32 v22, vcc_lo, s2, v22
	v_add_co_ci_u32_e64 v23, null, s3, v23, vcc_lo
	global_load_dword v33, v[22:23], off
	s_waitcnt vmcnt(0)
	v_mul_f32_e32 v33, v33, v32
	v_mul_f32_e32 v33, v33, v38
	global_store_dword v[22:23], v33, off
	v_lshlrev_b64 v[22:23], 2, v[0:1]
	v_add_nc_u32_e32 v0, s4, v0
	v_add_co_u32 v22, vcc_lo, s2, v22
	v_add_co_ci_u32_e64 v23, null, s3, v23, vcc_lo
	global_load_dword v33, v[22:23], off
	;; [unrolled: 9-line block ×5, first 2 shown]
	s_waitcnt vmcnt(0)
	v_mul_f32_e32 v35, v33, v32
	global_load_dword v33, v[10:11], off
	s_waitcnt vmcnt(0)
	v_mul_f32_e32 v35, v35, v33
	global_store_dword v[22:23], v35, off
	v_lshlrev_b64 v[22:23], 2, v[0:1]
	v_add_nc_u32_e32 v0, s4, v0
	v_add_co_u32 v22, vcc_lo, s2, v22
	v_add_co_ci_u32_e64 v23, null, s3, v23, vcc_lo
	global_load_dword v35, v[22:23], off
	s_waitcnt vmcnt(0)
	v_mul_f32_e32 v32, v35, v32
	v_mad_u64_u32 v[35:36], null, 0xffffffbb, s4, v[0:1]
	v_mov_b32_e32 v36, v1
	global_store_dword v[22:23], v32, off
	v_lshlrev_b64 v[22:23], 2, v[35:36]
	v_lshlrev_b64 v[36:37], 2, v[0:1]
	v_add_co_u32 v22, vcc_lo, s0, v22
	v_add_co_ci_u32_e64 v23, null, s1, v23, vcc_lo
	v_add_co_u32 v36, vcc_lo, s2, v36
	v_add_co_ci_u32_e64 v37, null, s3, v37, vcc_lo
	global_load_dword v32, v[22:23], off
	global_load_dword v0, v[36:37], off
	;; [unrolled: 1-line block ×3, first 2 shown]
	s_waitcnt vmcnt(1)
	v_mul_f32_e32 v0, v0, v32
	s_waitcnt vmcnt(0)
	v_mul_f32_e32 v0, v0, v38
	global_store_dword v[36:37], v0, off
	v_mad_u64_u32 v[35:36], null, 0x46, s4, v[35:36]
	v_mov_b32_e32 v36, v1
	v_lshlrev_b64 v[36:37], 2, v[35:36]
	v_add_co_u32 v36, vcc_lo, s2, v36
	v_add_co_ci_u32_e64 v37, null, s3, v37, vcc_lo
	global_load_dword v0, v[36:37], off
	s_waitcnt vmcnt(0)
	v_mul_f32_e32 v0, v0, v32
	v_mul_f32_e32 v0, v0, v34
	global_store_dword v[36:37], v0, off
	v_add_nc_u32_e32 v0, s4, v35
	global_load_dword v37, v[6:7], off
	v_lshlrev_b64 v[34:35], 2, v[0:1]
	v_add_nc_u32_e32 v0, s4, v0
	v_add_co_u32 v34, vcc_lo, s2, v34
	v_add_co_ci_u32_e64 v35, null, s3, v35, vcc_lo
	global_load_dword v36, v[34:35], off
	s_waitcnt vmcnt(0)
	v_mul_f32_e32 v36, v36, v32
	v_mul_f32_e32 v36, v36, v37
	global_store_dword v[34:35], v36, off
	v_lshlrev_b64 v[34:35], 2, v[0:1]
	v_add_nc_u32_e32 v0, s4, v0
	v_add_co_u32 v34, vcc_lo, s2, v34
	v_add_co_ci_u32_e64 v35, null, s3, v35, vcc_lo
	global_load_dword v36, v[34:35], off
	s_waitcnt vmcnt(0)
	v_mul_f32_e32 v36, v36, v32
	v_mul_f32_e32 v36, v36, v37
	global_load_dword v37, v[2:3], off
	global_store_dword v[34:35], v36, off
	v_lshlrev_b64 v[34:35], 2, v[0:1]
	v_add_nc_u32_e32 v0, s4, v0
	v_add_co_u32 v34, vcc_lo, s2, v34
	v_add_co_ci_u32_e64 v35, null, s3, v35, vcc_lo
	global_load_dword v36, v[34:35], off
	s_waitcnt vmcnt(0)
	v_mul_f32_e32 v36, v36, v32
	v_mul_f32_e32 v36, v36, v37
	global_store_dword v[34:35], v36, off
	v_lshlrev_b64 v[34:35], 2, v[0:1]
	v_add_nc_u32_e32 v0, s4, v0
	v_add_co_u32 v34, vcc_lo, s2, v34
	v_add_co_ci_u32_e64 v35, null, s3, v35, vcc_lo
	global_load_dword v36, v[34:35], off
	s_waitcnt vmcnt(0)
	v_mul_f32_e32 v36, v36, v32
	v_mul_f32_e32 v36, v36, v37
	;; [unrolled: 9-line block ×4, first 2 shown]
	global_load_dword v36, v[18:19], off
	global_store_dword v[34:35], v33, off
	v_lshlrev_b64 v[33:34], 2, v[0:1]
	v_add_nc_u32_e32 v0, s4, v0
	v_add_co_u32 v33, vcc_lo, s2, v33
	v_add_co_ci_u32_e64 v34, null, s3, v34, vcc_lo
	global_load_dword v35, v[33:34], off
	s_waitcnt vmcnt(0)
	v_mul_f32_e32 v35, v35, v32
	v_mul_f32_e32 v35, v35, v36
	global_store_dword v[33:34], v35, off
	v_lshlrev_b64 v[33:34], 2, v[0:1]
	v_add_nc_u32_e32 v0, s4, v0
	v_add_co_u32 v33, vcc_lo, s2, v33
	v_add_co_ci_u32_e64 v34, null, s3, v34, vcc_lo
	global_load_dword v35, v[33:34], off
	s_waitcnt vmcnt(0)
	v_mul_f32_e32 v35, v35, v32
	global_store_dword v[33:34], v35, off
	v_lshlrev_b64 v[33:34], 2, v[0:1]
	v_add_nc_u32_e32 v0, s4, v0
	v_add_co_u32 v33, vcc_lo, s2, v33
	v_add_co_ci_u32_e64 v34, null, s3, v34, vcc_lo
	global_load_dword v35, v[33:34], off
	s_waitcnt vmcnt(0)
	;; [unrolled: 8-line block ×3, first 2 shown]
	v_mul_f32_e32 v35, v35, v32
	global_store_dword v[33:34], v35, off
	v_lshlrev_b64 v[33:34], 2, v[0:1]
	v_add_nc_u32_e32 v0, s4, v0
	v_add_co_u32 v33, vcc_lo, s2, v33
	v_add_co_ci_u32_e64 v34, null, s3, v34, vcc_lo
	global_load_dword v30, v[30:31], off
	global_load_dword v31, v[33:34], off
	s_waitcnt vmcnt(0)
	v_mul_f32_e32 v31, v31, v32
	v_mul_f32_e32 v30, v31, v30
	global_store_dword v[33:34], v30, off
	v_lshlrev_b64 v[30:31], 2, v[0:1]
	v_add_nc_u32_e32 v0, s4, v0
	v_add_co_u32 v30, vcc_lo, s2, v30
	v_add_co_ci_u32_e64 v31, null, s3, v31, vcc_lo
	global_load_dword v33, v[30:31], off
	s_waitcnt vmcnt(0)
	v_mul_f32_e32 v33, v33, v32
	global_store_dword v[30:31], v33, off
	v_lshlrev_b64 v[30:31], 2, v[0:1]
	v_add_nc_u32_e32 v0, s4, v0
	v_add_co_u32 v30, vcc_lo, s2, v30
	v_add_co_ci_u32_e64 v31, null, s3, v31, vcc_lo
	global_load_dword v33, v[30:31], off
	s_waitcnt vmcnt(0)
	;; [unrolled: 8-line block ×3, first 2 shown]
	v_mul_f32_e32 v33, v33, v32
	v_mul_f32_e32 v33, v32, v33
	global_store_dword v[30:31], v33, off
	v_lshlrev_b64 v[30:31], 2, v[0:1]
	v_add_nc_u32_e32 v0, s4, v0
	v_add_co_u32 v30, vcc_lo, s2, v30
	v_add_co_ci_u32_e64 v31, null, s3, v31, vcc_lo
	v_add_co_u32 v28, vcc_lo, s0, v28
	v_add_co_ci_u32_e64 v29, null, s1, v29, vcc_lo
	global_load_dword v33, v[30:31], off
	s_waitcnt vmcnt(0)
	v_mul_f32_e32 v33, v33, v32
	v_mul_f32_e32 v33, v32, v33
	global_store_dword v[30:31], v33, off
	v_lshlrev_b64 v[30:31], 2, v[0:1]
	v_add_nc_u32_e32 v0, s4, v0
	v_add_co_u32 v30, vcc_lo, s2, v30
	v_add_co_ci_u32_e64 v31, null, s3, v31, vcc_lo
	global_load_dword v28, v[28:29], off
	global_load_dword v29, v[30:31], off
	s_waitcnt vmcnt(0)
	v_mul_f32_e32 v29, v29, v32
	v_mul_f32_e32 v29, v29, v28
	global_store_dword v[30:31], v29, off
	v_lshlrev_b64 v[29:30], 2, v[0:1]
	v_add_nc_u32_e32 v0, s4, v0
	v_add_co_u32 v29, vcc_lo, s2, v29
	v_add_co_ci_u32_e64 v30, null, s3, v30, vcc_lo
	global_load_dword v34, v[4:5], off
	global_load_dword v31, v[29:30], off
	s_waitcnt vmcnt(0)
	v_mul_f32_e32 v31, v31, v34
	global_store_dword v[29:30], v31, off
	v_lshlrev_b64 v[29:30], 2, v[0:1]
	v_add_nc_u32_e32 v0, s4, v0
	v_add_co_u32 v29, vcc_lo, s2, v29
	v_add_co_ci_u32_e64 v30, null, s3, v30, vcc_lo
	global_load_dword v31, v[29:30], off
	s_waitcnt vmcnt(0)
	v_mul_f32_e32 v31, v31, v34
	global_store_dword v[29:30], v31, off
	v_lshlrev_b64 v[29:30], 2, v[0:1]
	v_add_nc_u32_e32 v0, s4, v0
	v_add_co_u32 v29, vcc_lo, s2, v29
	v_add_co_ci_u32_e64 v30, null, s3, v30, vcc_lo
	;; [unrolled: 8-line block ×3, first 2 shown]
	global_load_dword v35, v[8:9], off
	global_load_dword v31, v[29:30], off
	s_waitcnt vmcnt(0)
	v_mul_f32_e32 v31, v31, v35
	global_store_dword v[29:30], v31, off
	v_lshlrev_b64 v[29:30], 2, v[0:1]
	v_add_nc_u32_e32 v0, s4, v0
	v_add_co_u32 v29, vcc_lo, s2, v29
	v_add_co_ci_u32_e64 v30, null, s3, v30, vcc_lo
	global_load_dword v36, v[6:7], off
	global_load_dword v31, v[29:30], off
	s_waitcnt vmcnt(0)
	v_mul_f32_e32 v31, v31, v36
	global_store_dword v[29:30], v31, off
	v_lshlrev_b64 v[29:30], 2, v[0:1]
	v_add_nc_u32_e32 v0, s4, v0
	v_add_co_u32 v29, vcc_lo, s2, v29
	v_add_co_ci_u32_e64 v30, null, s3, v30, vcc_lo
	global_load_dword v37, v[2:3], off
	global_load_dword v31, v[29:30], off
	v_lshlrev_b64 v[32:33], 2, v[0:1]
	s_waitcnt vmcnt(0)
	v_mul_f32_e32 v31, v31, v37
	global_store_dword v[29:30], v31, off
	v_mad_u64_u32 v[29:30], null, 0xffffffa4, s4, v[0:1]
	v_mov_b32_e32 v30, v1
	v_lshlrev_b64 v[30:31], 2, v[29:30]
	v_add_co_u32 v30, vcc_lo, s0, v30
	v_add_co_ci_u32_e64 v31, null, s1, v31, vcc_lo
	v_add_co_u32 v32, vcc_lo, s2, v32
	v_add_co_ci_u32_e64 v33, null, s3, v33, vcc_lo
	global_load_dword v38, v[30:31], off
	global_load_dword v0, v[32:33], off
	v_mad_u64_u32 v[29:30], null, 0x5d, s4, v[29:30]
	v_mov_b32_e32 v30, v1
	v_lshlrev_b64 v[30:31], 2, v[29:30]
	v_add_co_u32 v30, vcc_lo, s2, v30
	v_add_co_ci_u32_e64 v31, null, s3, v31, vcc_lo
	s_waitcnt vmcnt(0)
	v_mul_f32_e32 v0, v0, v38
	v_mul_f32_e32 v0, v0, v34
	global_store_dword v[32:33], v0, off
	global_load_dword v0, v[30:31], off
	s_waitcnt vmcnt(0)
	v_mul_f32_e32 v0, v0, v38
	v_mul_f32_e32 v0, v0, v35
	global_store_dword v[30:31], v0, off
	v_add_nc_u32_e32 v0, s4, v29
	v_lshlrev_b64 v[29:30], 2, v[0:1]
	v_add_nc_u32_e32 v0, s4, v0
	v_add_co_u32 v29, vcc_lo, s2, v29
	v_add_co_ci_u32_e64 v30, null, s3, v30, vcc_lo
	global_load_dword v31, v[29:30], off
	s_waitcnt vmcnt(0)
	v_mul_f32_e32 v31, v31, v38
	v_mul_f32_e32 v31, v31, v36
	global_store_dword v[29:30], v31, off
	v_lshlrev_b64 v[29:30], 2, v[0:1]
	v_add_nc_u32_e32 v0, s4, v0
	v_add_co_u32 v29, vcc_lo, s2, v29
	v_add_co_ci_u32_e64 v30, null, s3, v30, vcc_lo
	global_load_dword v31, v[29:30], off
	s_waitcnt vmcnt(0)
	v_mul_f32_e32 v31, v31, v38
	global_store_dword v[29:30], v31, off
	v_lshlrev_b64 v[29:30], 2, v[0:1]
	v_add_nc_u32_e32 v0, s4, v0
	v_add_co_u32 v29, vcc_lo, s2, v29
	v_add_co_ci_u32_e64 v30, null, s3, v30, vcc_lo
	global_load_dword v31, v[29:30], off
	s_waitcnt vmcnt(0)
	;; [unrolled: 8-line block ×4, first 2 shown]
	v_mul_f32_e32 v31, v31, v28
	v_mul_f32_e32 v31, v31, v34
	global_store_dword v[29:30], v31, off
	v_lshlrev_b64 v[29:30], 2, v[0:1]
	v_add_nc_u32_e32 v0, s4, v0
	v_add_co_u32 v29, vcc_lo, s2, v29
	v_add_co_ci_u32_e64 v30, null, s3, v30, vcc_lo
	global_load_dword v31, v[29:30], off
	s_waitcnt vmcnt(0)
	v_mul_f32_e32 v31, v31, v28
	v_mul_f32_e32 v31, v31, v35
	global_store_dword v[29:30], v31, off
	v_lshlrev_b64 v[29:30], 2, v[0:1]
	v_add_nc_u32_e32 v0, s4, v0
	v_add_co_u32 v29, vcc_lo, s2, v29
	v_add_co_ci_u32_e64 v30, null, s3, v30, vcc_lo
	global_load_dword v31, v[29:30], off
	s_waitcnt vmcnt(0)
	;; [unrolled: 9-line block ×3, first 2 shown]
	v_mul_f32_e32 v31, v31, v28
	global_store_dword v[29:30], v31, off
	v_lshlrev_b64 v[29:30], 2, v[0:1]
	v_add_nc_u32_e32 v0, s4, v0
	v_add_co_u32 v29, vcc_lo, s2, v29
	v_add_co_ci_u32_e64 v30, null, s3, v30, vcc_lo
	global_load_dword v31, v[29:30], off
	s_waitcnt vmcnt(0)
	v_mul_f32_e32 v31, v31, v28
	global_store_dword v[29:30], v31, off
	v_lshlrev_b64 v[29:30], 2, v[0:1]
	v_add_nc_u32_e32 v0, s4, v0
	v_add_co_u32 v29, vcc_lo, s2, v29
	v_add_co_ci_u32_e64 v30, null, s3, v30, vcc_lo
	v_add_co_u32 v26, vcc_lo, s0, v26
	v_add_co_ci_u32_e64 v27, null, s1, v27, vcc_lo
	global_load_dword v31, v[29:30], off
	s_waitcnt vmcnt(0)
	v_mul_f32_e32 v31, v31, v28
	v_mul_f32_e32 v28, v28, v31
	global_store_dword v[29:30], v28, off
	v_lshlrev_b64 v[28:29], 2, v[0:1]
	v_add_nc_u32_e32 v0, s5, v0
	v_add_co_u32 v28, vcc_lo, s2, v28
	v_add_co_ci_u32_e64 v29, null, s3, v29, vcc_lo
	global_load_dword v30, v[26:27], off
	global_load_dword v26, v[28:29], off
	s_waitcnt vmcnt(0)
	v_mul_f32_e32 v26, v26, v30
	global_store_dword v[28:29], v26, off
	v_lshlrev_b64 v[26:27], 2, v[0:1]
	v_add_nc_u32_e32 v0, s4, v0
	v_add_co_u32 v26, vcc_lo, s2, v26
	v_add_co_ci_u32_e64 v27, null, s3, v27, vcc_lo
	global_load_dword v28, v[26:27], off
	s_waitcnt vmcnt(0)
	v_mul_f32_e32 v29, v28, v30
	global_load_dword v28, v[8:9], off
	s_waitcnt vmcnt(0)
	v_mul_f32_e32 v29, v29, v28
	global_store_dword v[26:27], v29, off
	v_lshlrev_b64 v[26:27], 2, v[0:1]
	v_add_nc_u32_e32 v0, s4, v0
	v_add_co_u32 v26, vcc_lo, s2, v26
	v_add_co_ci_u32_e64 v27, null, s3, v27, vcc_lo
	global_load_dword v29, v[26:27], off
	s_waitcnt vmcnt(0)
	v_mul_f32_e32 v29, v29, v30
	v_mul_f32_e32 v29, v29, v28
	global_store_dword v[26:27], v29, off
	v_lshlrev_b64 v[26:27], 2, v[0:1]
	v_add_nc_u32_e32 v0, s4, v0
	v_add_co_u32 v26, vcc_lo, s2, v26
	v_add_co_ci_u32_e64 v27, null, s3, v27, vcc_lo
	global_load_dword v29, v[26:27], off
	s_waitcnt vmcnt(0)
	v_mul_f32_e32 v31, v29, v30
	global_load_dword v29, v[6:7], off
	s_waitcnt vmcnt(0)
	v_mul_f32_e32 v31, v31, v29
	global_store_dword v[26:27], v31, off
	v_lshlrev_b64 v[26:27], 2, v[0:1]
	v_add_nc_u32_e32 v0, s4, v0
	v_add_co_u32 v26, vcc_lo, s2, v26
	v_add_co_ci_u32_e64 v27, null, s3, v27, vcc_lo
	global_load_dword v31, v[26:27], off
	s_waitcnt vmcnt(0)
	v_mul_f32_e32 v31, v31, v30
	v_mul_f32_e32 v31, v31, v29
	global_store_dword v[26:27], v31, off
	v_lshlrev_b64 v[26:27], 2, v[0:1]
	v_add_nc_u32_e32 v0, s5, v0
	v_add_co_u32 v26, vcc_lo, s2, v26
	v_add_co_ci_u32_e64 v27, null, s3, v27, vcc_lo
	global_load_dword v31, v[26:27], off
	s_waitcnt vmcnt(0)
	v_mul_f32_e32 v30, v31, v30
	global_store_dword v[26:27], v30, off
	v_lshlrev_b64 v[26:27], 2, v[0:1]
	v_add_nc_u32_e32 v0, s4, v0
	v_add_co_u32 v26, vcc_lo, s2, v26
	v_add_co_ci_u32_e64 v27, null, s3, v27, vcc_lo
	global_load_dword v32, v[4:5], off
	global_load_dword v30, v[26:27], off
	s_waitcnt vmcnt(0)
	v_mul_f32_e32 v30, v30, v32
	global_store_dword v[26:27], v30, off
	v_lshlrev_b64 v[26:27], 2, v[0:1]
	v_add_nc_u32_e32 v0, s4, v0
	v_add_co_u32 v26, vcc_lo, s2, v26
	v_add_co_ci_u32_e64 v27, null, s3, v27, vcc_lo
	global_load_dword v30, v[26:27], off
	s_waitcnt vmcnt(0)
	v_mul_f32_e32 v30, v30, v28
	global_store_dword v[26:27], v30, off
	v_lshlrev_b64 v[26:27], 2, v[0:1]
	v_add_nc_u32_e32 v0, s4, v0
	v_add_co_u32 v26, vcc_lo, s2, v26
	v_add_co_ci_u32_e64 v27, null, s3, v27, vcc_lo
	;; [unrolled: 8-line block ×3, first 2 shown]
	global_load_dword v26, v[2:3], off
	global_load_dword v27, v[30:31], off
	v_add_co_u32 v24, vcc_lo, s0, v24
	v_add_co_ci_u32_e64 v25, null, s1, v25, vcc_lo
	s_waitcnt vmcnt(0)
	v_mul_f32_e32 v27, v27, v26
	global_store_dword v[30:31], v27, off
	v_lshlrev_b64 v[30:31], 2, v[0:1]
	v_add_nc_u32_e32 v0, s4, v0
	v_add_co_u32 v30, vcc_lo, s2, v30
	v_add_co_ci_u32_e64 v31, null, s3, v31, vcc_lo
	global_load_dword v27, v[24:25], off
	global_load_dword v24, v[30:31], off
	s_waitcnt vmcnt(0)
	v_mul_f32_e32 v24, v24, v27
	v_mul_f32_e32 v24, v24, v32
	global_store_dword v[30:31], v24, off
	v_lshlrev_b64 v[24:25], 2, v[0:1]
	v_add_nc_u32_e32 v0, s4, v0
	v_add_co_u32 v24, vcc_lo, s2, v24
	v_add_co_ci_u32_e64 v25, null, s3, v25, vcc_lo
	global_load_dword v30, v[24:25], off
	s_waitcnt vmcnt(0)
	v_mul_f32_e32 v30, v30, v27
	v_mul_f32_e32 v30, v30, v32
	global_store_dword v[24:25], v30, off
	v_lshlrev_b64 v[24:25], 2, v[0:1]
	v_add_nc_u32_e32 v0, s4, v0
	v_add_co_u32 v24, vcc_lo, s2, v24
	v_add_co_ci_u32_e64 v25, null, s3, v25, vcc_lo
	;; [unrolled: 9-line block ×6, first 2 shown]
	global_load_dword v27, v[24:25], off
	s_waitcnt vmcnt(0)
	v_mul_f32_e32 v27, v27, v32
	global_store_dword v[24:25], v27, off
	v_lshlrev_b64 v[24:25], 2, v[0:1]
	v_add_nc_u32_e32 v0, s4, v0
	v_add_co_u32 v24, vcc_lo, s2, v24
	v_add_co_ci_u32_e64 v25, null, s3, v25, vcc_lo
	global_load_dword v27, v[24:25], off
	s_waitcnt vmcnt(0)
	v_mul_f32_e32 v27, v27, v32
	global_store_dword v[24:25], v27, off
	v_lshlrev_b64 v[24:25], 2, v[0:1]
	v_add_nc_u32_e32 v0, s4, v0
	v_add_co_u32 v24, vcc_lo, s2, v24
	v_add_co_ci_u32_e64 v25, null, s3, v25, vcc_lo
	;; [unrolled: 8-line block ×5, first 2 shown]
	global_load_dword v27, v[6:7], off
	global_load_dword v28, v[24:25], off
	s_waitcnt vmcnt(0)
	v_mul_f32_e32 v28, v28, v27
	global_store_dword v[24:25], v28, off
	v_lshlrev_b64 v[24:25], 2, v[0:1]
	v_add_nc_u32_e32 v0, s4, v0
	v_add_co_u32 v24, vcc_lo, s2, v24
	v_add_co_ci_u32_e64 v25, null, s3, v25, vcc_lo
	global_load_dword v28, v[24:25], off
	s_waitcnt vmcnt(0)
	v_mul_f32_e32 v28, v28, v26
	global_store_dword v[24:25], v28, off
	v_lshlrev_b64 v[24:25], 2, v[0:1]
	v_add_nc_u32_e32 v0, s4, v0
	v_add_co_u32 v24, vcc_lo, s2, v24
	v_add_co_ci_u32_e64 v25, null, s3, v25, vcc_lo
	;; [unrolled: 8-line block ×4, first 2 shown]
	global_load_dword v28, v[10:11], off
	global_load_dword v29, v[24:25], off
	s_waitcnt vmcnt(0)
	v_mul_f32_e32 v28, v29, v28
	global_store_dword v[24:25], v28, off
	v_lshlrev_b64 v[24:25], 2, v[0:1]
	v_add_nc_u32_e32 v0, s5, v0
	v_add_co_u32 v24, vcc_lo, s2, v24
	v_add_co_ci_u32_e64 v25, null, s3, v25, vcc_lo
	global_load_dword v28, v[18:19], off
	global_load_dword v29, v[24:25], off
	s_waitcnt vmcnt(0)
	v_mul_f32_e32 v28, v29, v28
	global_store_dword v[24:25], v28, off
	v_lshlrev_b64 v[24:25], 2, v[0:1]
	v_add_nc_u32_e32 v0, s4, v0
	v_add_co_u32 v24, vcc_lo, s2, v24
	v_add_co_ci_u32_e64 v25, null, s3, v25, vcc_lo
	;; [unrolled: 9-line block ×3, first 2 shown]
	global_load_dword v29, v[24:25], off
	s_waitcnt vmcnt(0)
	v_mul_f32_e32 v29, v29, v28
	global_store_dword v[24:25], v29, off
	v_lshlrev_b64 v[24:25], 2, v[0:1]
	v_add_nc_u32_e32 v0, s5, v0
	v_add_co_u32 v24, vcc_lo, s2, v24
	v_add_co_ci_u32_e64 v25, null, s3, v25, vcc_lo
	global_load_dword v29, v[24:25], off
	s_waitcnt vmcnt(0)
	v_mul_f32_e32 v28, v29, v28
	global_store_dword v[24:25], v28, off
	v_lshlrev_b64 v[24:25], 2, v[0:1]
	v_add_nc_u32_e32 v0, s4, v0
	v_add_co_u32 v24, vcc_lo, s2, v24
	v_add_co_ci_u32_e64 v25, null, s3, v25, vcc_lo
	global_load_dword v28, v[4:5], off
	global_load_dword v29, v[24:25], off
	s_waitcnt vmcnt(0)
	v_mul_f32_e32 v29, v29, v28
	global_store_dword v[24:25], v29, off
	v_lshlrev_b64 v[24:25], 2, v[0:1]
	v_add_nc_u32_e32 v0, s4, v0
	v_add_co_u32 v24, vcc_lo, s2, v24
	v_add_co_ci_u32_e64 v25, null, s3, v25, vcc_lo
	global_load_dword v29, v[24:25], off
	s_waitcnt vmcnt(0)
	v_mul_f32_e32 v29, v29, v28
	global_store_dword v[24:25], v29, off
	v_lshlrev_b64 v[24:25], 2, v[0:1]
	v_add_nc_u32_e32 v0, s4, v0
	v_add_co_u32 v24, vcc_lo, s2, v24
	v_add_co_ci_u32_e64 v25, null, s3, v25, vcc_lo
	global_load_dword v29, v[24:25], off
	s_waitcnt vmcnt(0)
	v_mul_f32_e32 v29, v29, v28
	global_store_dword v[24:25], v29, off
	v_lshlrev_b64 v[24:25], 2, v[0:1]
	v_add_nc_u32_e32 v0, s4, v0
	v_add_co_u32 v24, vcc_lo, s2, v24
	v_add_co_ci_u32_e64 v25, null, s3, v25, vcc_lo
	global_load_dword v29, v[8:9], off
	global_load_dword v30, v[24:25], off
	s_waitcnt vmcnt(0)
	v_mul_f32_e32 v30, v30, v29
	global_store_dword v[24:25], v30, off
	v_lshlrev_b64 v[24:25], 2, v[0:1]
	v_add_nc_u32_e32 v0, s4, v0
	v_add_co_u32 v24, vcc_lo, s2, v24
	v_add_co_ci_u32_e64 v25, null, s3, v25, vcc_lo
	global_load_dword v30, v[24:25], off
	s_waitcnt vmcnt(0)
	v_mul_f32_e32 v27, v30, v27
	global_store_dword v[24:25], v27, off
	v_lshlrev_b64 v[24:25], 2, v[0:1]
	v_add_nc_u32_e32 v0, s4, v0
	v_add_co_u32 v24, vcc_lo, s2, v24
	v_add_co_ci_u32_e64 v25, null, s3, v25, vcc_lo
	global_load_dword v27, v[24:25], off
	s_waitcnt vmcnt(0)
	v_mul_f32_e32 v26, v27, v26
	global_store_dword v[24:25], v26, off
	v_lshlrev_b64 v[24:25], 2, v[0:1]
	v_add_nc_u32_e32 v0, s4, v0
	v_add_co_u32 v24, vcc_lo, s2, v24
	v_add_co_ci_u32_e64 v25, null, s3, v25, vcc_lo
	global_load_dword v26, v[2:3], off
	global_load_dword v27, v[24:25], off
	v_add_co_u32 v20, vcc_lo, s0, v20
	v_add_co_ci_u32_e64 v21, null, s1, v21, vcc_lo
	s_waitcnt vmcnt(0)
	v_mul_f32_e32 v27, v27, v26
	global_store_dword v[24:25], v27, off
	v_lshlrev_b64 v[24:25], 2, v[0:1]
	v_add_nc_u32_e32 v0, s4, v0
	v_add_co_u32 v24, vcc_lo, s2, v24
	v_add_co_ci_u32_e64 v25, null, s3, v25, vcc_lo
	global_load_dword v27, v[20:21], off
	global_load_dword v20, v[24:25], off
	s_waitcnt vmcnt(0)
	v_mul_f32_e32 v20, v20, v27
	global_store_dword v[24:25], v20, off
	v_lshlrev_b64 v[20:21], 2, v[0:1]
	v_add_nc_u32_e32 v0, s4, v0
	global_load_dword v25, v[6:7], off
	v_add_co_u32 v20, vcc_lo, s2, v20
	v_add_co_ci_u32_e64 v21, null, s3, v21, vcc_lo
	global_load_dword v24, v[20:21], off
	s_waitcnt vmcnt(0)
	v_mul_f32_e32 v24, v24, v27
	v_mul_f32_e32 v24, v24, v28
	global_store_dword v[20:21], v24, off
	v_lshlrev_b64 v[20:21], 2, v[0:1]
	v_add_nc_u32_e32 v0, s4, v0
	v_add_co_u32 v20, vcc_lo, s2, v20
	v_add_co_ci_u32_e64 v21, null, s3, v21, vcc_lo
	global_load_dword v24, v[20:21], off
	s_waitcnt vmcnt(0)
	v_mul_f32_e32 v24, v24, v27
	v_mul_f32_e32 v24, v24, v28
	global_store_dword v[20:21], v24, off
	v_lshlrev_b64 v[20:21], 2, v[0:1]
	v_add_nc_u32_e32 v0, s4, v0
	;; [unrolled: 9-line block ×6, first 2 shown]
	v_add_co_u32 v20, vcc_lo, s2, v20
	v_add_co_ci_u32_e64 v21, null, s3, v21, vcc_lo
	global_load_dword v24, v[20:21], off
	s_waitcnt vmcnt(0)
	v_mul_f32_e32 v24, v24, v27
	v_mul_f32_e32 v24, v24, v26
	global_load_dword v26, v[22:23], off
	global_store_dword v[20:21], v24, off
	v_lshlrev_b64 v[20:21], 2, v[0:1]
	v_add_nc_u32_e32 v0, s4, v0
	v_add_co_u32 v20, vcc_lo, s2, v20
	v_add_co_ci_u32_e64 v21, null, s3, v21, vcc_lo
	global_load_dword v24, v[20:21], off
	s_waitcnt vmcnt(0)
	v_mul_f32_e32 v25, v24, v27
	global_load_dword v24, v[10:11], off
	s_waitcnt vmcnt(0)
	v_mul_f32_e32 v25, v25, v24
	global_store_dword v[20:21], v25, off
	v_lshlrev_b64 v[20:21], 2, v[0:1]
	v_add_nc_u32_e32 v0, s4, v0
	v_add_co_u32 v20, vcc_lo, s2, v20
	v_add_co_ci_u32_e64 v21, null, s3, v21, vcc_lo
	global_load_dword v25, v[20:21], off
	s_waitcnt vmcnt(0)
	v_mul_f32_e32 v25, v25, v27
	global_store_dword v[20:21], v25, off
	v_lshlrev_b64 v[20:21], 2, v[0:1]
	v_add_nc_u32_e32 v0, s4, v0
	v_add_co_u32 v20, vcc_lo, s2, v20
	v_add_co_ci_u32_e64 v21, null, s3, v21, vcc_lo
	;; [unrolled: 8-line block ×5, first 2 shown]
	global_load_dword v25, v[20:21], off
	s_waitcnt vmcnt(0)
	v_mul_f32_e32 v25, v25, v27
	v_mul_f32_e32 v25, v25, v26
	global_store_dword v[20:21], v25, off
	v_lshlrev_b64 v[20:21], 2, v[0:1]
	v_add_nc_u32_e32 v0, s4, v0
	v_add_co_u32 v20, vcc_lo, s2, v20
	v_add_co_ci_u32_e64 v21, null, s3, v21, vcc_lo
	global_load_dword v25, v[20:21], off
	s_waitcnt vmcnt(0)
	v_mul_f32_e32 v25, v25, v27
	v_mul_f32_e32 v25, v25, v26
	global_store_dword v[20:21], v25, off
	v_lshlrev_b64 v[20:21], 2, v[0:1]
	v_add_nc_u32_e32 v0, s4, v0
	v_add_co_u32 v20, vcc_lo, s2, v20
	v_add_co_ci_u32_e64 v21, null, s3, v21, vcc_lo
	global_load_dword v25, v[4:5], off
	global_load_dword v26, v[20:21], off
	s_waitcnt vmcnt(0)
	v_mul_f32_e32 v26, v26, v25
	global_store_dword v[20:21], v26, off
	v_lshlrev_b64 v[20:21], 2, v[0:1]
	v_add_nc_u32_e32 v0, s4, v0
	v_add_co_u32 v20, vcc_lo, s2, v20
	v_add_co_ci_u32_e64 v21, null, s3, v21, vcc_lo
	global_load_dword v26, v[20:21], off
	s_waitcnt vmcnt(0)
	v_mul_f32_e32 v26, v26, v25
	global_store_dword v[20:21], v26, off
	v_lshlrev_b64 v[20:21], 2, v[0:1]
	v_add_nc_u32_e32 v0, s4, v0
	v_add_co_u32 v20, vcc_lo, s2, v20
	v_add_co_ci_u32_e64 v21, null, s3, v21, vcc_lo
	global_load_dword v26, v[8:9], off
	global_load_dword v27, v[20:21], off
	s_waitcnt vmcnt(0)
	v_mul_f32_e32 v27, v27, v26
	global_store_dword v[20:21], v27, off
	v_lshlrev_b64 v[20:21], 2, v[0:1]
	v_add_nc_u32_e32 v0, s4, v0
	v_add_co_u32 v20, vcc_lo, s2, v20
	v_add_co_ci_u32_e64 v21, null, s3, v21, vcc_lo
	global_load_dword v27, v[20:21], off
	s_waitcnt vmcnt(0)
	v_mul_f32_e32 v27, v27, v26
	global_store_dword v[20:21], v27, off
	v_lshlrev_b64 v[20:21], 2, v[0:1]
	v_add_nc_u32_e32 v0, s4, v0
	v_add_co_u32 v20, vcc_lo, s2, v20
	v_add_co_ci_u32_e64 v21, null, s3, v21, vcc_lo
	global_load_dword v27, v[2:3], off
	global_load_dword v28, v[20:21], off
	s_waitcnt vmcnt(0)
	v_mul_f32_e32 v27, v28, v27
	global_store_dword v[20:21], v27, off
	v_lshlrev_b64 v[20:21], 2, v[0:1]
	v_add_nc_u32_e32 v0, s4, v0
	v_add_co_u32 v20, vcc_lo, s2, v20
	v_add_co_ci_u32_e64 v21, null, s3, v21, vcc_lo
	global_load_dword v27, v[20:21], off
	s_waitcnt vmcnt(0)
	v_mul_f32_e32 v27, v27, v24
	global_store_dword v[20:21], v27, off
	v_lshlrev_b64 v[20:21], 2, v[0:1]
	v_add_nc_u32_e32 v0, s4, v0
	v_add_co_u32 v20, vcc_lo, s2, v20
	v_add_co_ci_u32_e64 v21, null, s3, v21, vcc_lo
	global_load_dword v27, v[20:21], off
	s_waitcnt vmcnt(0)
	v_mul_f32_e32 v27, v27, v24
	global_store_dword v[20:21], v27, off
	v_lshlrev_b64 v[20:21], 2, v[0:1]
	v_add_nc_u32_e32 v0, s4, v0
	v_add_co_u32 v20, vcc_lo, s2, v20
	v_add_co_ci_u32_e64 v21, null, s3, v21, vcc_lo
	global_load_dword v27, v[20:21], off
	s_waitcnt vmcnt(0)
	v_mul_f32_e32 v27, v27, v24
	global_store_dword v[20:21], v27, off
	v_lshlrev_b64 v[20:21], 2, v[0:1]
	v_add_nc_u32_e32 v0, s5, v0
	v_add_co_u32 v20, vcc_lo, s2, v20
	v_add_co_ci_u32_e64 v21, null, s3, v21, vcc_lo
	global_load_dword v18, v[18:19], off
	global_load_dword v19, v[20:21], off
	v_add_co_u32 v16, vcc_lo, s0, v16
	v_add_co_ci_u32_e64 v17, null, s1, v17, vcc_lo
	s_waitcnt vmcnt(0)
	v_mul_f32_e32 v18, v19, v18
	global_store_dword v[20:21], v18, off
	v_lshlrev_b64 v[18:19], 2, v[0:1]
	v_add_nc_u32_e32 v0, s4, v0
	v_add_co_u32 v18, vcc_lo, s2, v18
	v_add_co_ci_u32_e64 v19, null, s3, v19, vcc_lo
	global_load_dword v20, v[16:17], off
	global_load_dword v16, v[18:19], off
	s_waitcnt vmcnt(0)
	v_mul_f32_e32 v16, v16, v20
	v_mul_f32_e32 v16, v16, v25
	global_store_dword v[18:19], v16, off
	v_lshlrev_b64 v[16:17], 2, v[0:1]
	v_add_nc_u32_e32 v0, s4, v0
	global_load_dword v19, v[6:7], off
	v_add_co_u32 v16, vcc_lo, s2, v16
	v_add_co_ci_u32_e64 v17, null, s3, v17, vcc_lo
	global_load_dword v18, v[16:17], off
	s_waitcnt vmcnt(0)
	v_mul_f32_e32 v18, v18, v20
	v_mul_f32_e32 v18, v18, v26
	global_store_dword v[16:17], v18, off
	v_lshlrev_b64 v[16:17], 2, v[0:1]
	v_add_nc_u32_e32 v0, s4, v0
	v_add_co_u32 v16, vcc_lo, s2, v16
	v_add_co_ci_u32_e64 v17, null, s3, v17, vcc_lo
	global_load_dword v18, v[16:17], off
	s_waitcnt vmcnt(0)
	v_mul_f32_e32 v18, v18, v20
	v_mul_f32_e32 v18, v18, v19
	global_load_dword v19, v[22:23], off
	global_store_dword v[16:17], v18, off
	v_lshlrev_b64 v[16:17], 2, v[0:1]
	v_add_nc_u32_e32 v0, s4, v0
	v_add_co_u32 v16, vcc_lo, s2, v16
	v_add_co_ci_u32_e64 v17, null, s3, v17, vcc_lo
	global_load_dword v18, v[16:17], off
	s_waitcnt vmcnt(0)
	v_mul_f32_e32 v18, v18, v20
	global_store_dword v[16:17], v18, off
	v_lshlrev_b64 v[16:17], 2, v[0:1]
	v_add_nc_u32_e32 v0, s4, v0
	v_add_co_u32 v16, vcc_lo, s2, v16
	v_add_co_ci_u32_e64 v17, null, s3, v17, vcc_lo
	v_add_co_u32 v14, vcc_lo, s0, v14
	v_add_co_ci_u32_e64 v15, null, s1, v15, vcc_lo
	global_load_dword v18, v[16:17], off
	s_waitcnt vmcnt(0)
	v_mul_f32_e32 v18, v18, v20
	v_mul_f32_e32 v18, v18, v19
	global_store_dword v[16:17], v18, off
	v_lshlrev_b64 v[16:17], 2, v[0:1]
	v_add_nc_u32_e32 v0, s4, v0
	v_add_co_u32 v16, vcc_lo, s2, v16
	v_add_co_ci_u32_e64 v17, null, s3, v17, vcc_lo
	global_load_dword v18, v[14:15], off
	global_load_dword v14, v[16:17], off
	s_waitcnt vmcnt(0)
	v_mul_f32_e32 v14, v14, v18
	v_mul_f32_e32 v14, v14, v25
	global_store_dword v[16:17], v14, off
	v_lshlrev_b64 v[14:15], 2, v[0:1]
	v_add_nc_u32_e32 v0, s4, v0
	v_add_co_u32 v14, vcc_lo, s2, v14
	v_add_co_ci_u32_e64 v15, null, s3, v15, vcc_lo
	global_load_dword v16, v[14:15], off
	s_waitcnt vmcnt(0)
	v_mul_f32_e32 v16, v16, v18
	v_mul_f32_e32 v16, v16, v25
	global_store_dword v[14:15], v16, off
	v_lshlrev_b64 v[14:15], 2, v[0:1]
	v_add_nc_u32_e32 v0, s4, v0
	v_add_co_u32 v14, vcc_lo, s2, v14
	v_add_co_ci_u32_e64 v15, null, s3, v15, vcc_lo
	global_load_dword v16, v[14:15], off
	s_waitcnt vmcnt(0)
	v_mul_f32_e32 v16, v16, v18
	v_mul_f32_e32 v16, v16, v24
	global_store_dword v[14:15], v16, off
	v_lshlrev_b64 v[14:15], 2, v[0:1]
	v_add_nc_u32_e32 v0, s4, v0
	v_add_co_u32 v14, vcc_lo, s2, v14
	v_add_co_ci_u32_e64 v15, null, s3, v15, vcc_lo
	global_load_dword v16, v[14:15], off
	s_waitcnt vmcnt(0)
	v_mul_f32_e32 v16, v16, v18
	v_mul_f32_e32 v16, v16, v24
	global_store_dword v[14:15], v16, off
	v_lshlrev_b64 v[14:15], 2, v[0:1]
	v_add_nc_u32_e32 v0, s4, v0
	v_add_co_u32 v14, vcc_lo, s2, v14
	v_add_co_ci_u32_e64 v15, null, s3, v15, vcc_lo
	v_add_co_u32 v12, vcc_lo, s0, v12
	v_add_co_ci_u32_e64 v13, null, s1, v13, vcc_lo
	global_load_dword v16, v[14:15], off
	s_waitcnt vmcnt(0)
	v_mul_f32_e32 v16, v16, v18
	global_store_dword v[14:15], v16, off
	v_lshlrev_b64 v[14:15], 2, v[0:1]
	v_add_nc_u32_e32 v0, s4, v0
	v_add_co_u32 v14, vcc_lo, s2, v14
	v_add_co_ci_u32_e64 v15, null, s3, v15, vcc_lo
	global_load_dword v16, v[12:13], off
	global_load_dword v12, v[14:15], off
	s_waitcnt vmcnt(0)
	v_mul_f32_e32 v12, v12, v16
	v_mul_f32_e32 v12, v12, v25
	global_store_dword v[14:15], v12, off
	v_lshlrev_b64 v[12:13], 2, v[0:1]
	v_add_nc_u32_e32 v0, s4, v0
	v_add_co_u32 v12, vcc_lo, s2, v12
	v_add_co_ci_u32_e64 v13, null, s3, v13, vcc_lo
	global_load_dword v14, v[12:13], off
	s_waitcnt vmcnt(0)
	v_mul_f32_e32 v14, v14, v16
	v_mul_f32_e32 v14, v14, v25
	global_store_dword v[12:13], v14, off
	v_lshlrev_b64 v[12:13], 2, v[0:1]
	v_add_nc_u32_e32 v0, s4, v0
	v_add_co_u32 v12, vcc_lo, s2, v12
	v_add_co_ci_u32_e64 v13, null, s3, v13, vcc_lo
	;; [unrolled: 9-line block ×3, first 2 shown]
	global_load_dword v12, v[8:9], off
	global_load_dword v8, v[14:15], off
	s_waitcnt vmcnt(0)
	v_mul_f32_e32 v8, v8, v16
	v_mul_f32_e32 v8, v8, v12
	global_store_dword v[14:15], v8, off
	v_lshlrev_b64 v[8:9], 2, v[0:1]
	v_add_nc_u32_e32 v0, s4, v0
	v_add_co_u32 v8, vcc_lo, s2, v8
	v_add_co_ci_u32_e64 v9, null, s3, v9, vcc_lo
	global_load_dword v13, v[8:9], off
	s_waitcnt vmcnt(0)
	v_mul_f32_e32 v13, v13, v16
	v_mul_f32_e32 v13, v13, v12
	global_store_dword v[8:9], v13, off
	v_lshlrev_b64 v[8:9], 2, v[0:1]
	v_add_nc_u32_e32 v0, s4, v0
	v_add_co_u32 v8, vcc_lo, s2, v8
	v_add_co_ci_u32_e64 v9, null, s3, v9, vcc_lo
	;; [unrolled: 9-line block ×3, first 2 shown]
	global_load_dword v13, v[6:7], off
	global_load_dword v6, v[8:9], off
	s_waitcnt vmcnt(0)
	v_mul_f32_e32 v6, v6, v16
	v_mul_f32_e32 v6, v6, v13
	global_store_dword v[8:9], v6, off
	v_lshlrev_b64 v[6:7], 2, v[0:1]
	v_add_nc_u32_e32 v0, s4, v0
	v_add_co_u32 v6, vcc_lo, s2, v6
	v_add_co_ci_u32_e64 v7, null, s3, v7, vcc_lo
	global_load_dword v9, v[10:11], off
	global_load_dword v8, v[6:7], off
	s_waitcnt vmcnt(0)
	v_mul_f32_e32 v8, v8, v16
	v_mul_f32_e32 v8, v8, v9
	global_store_dword v[6:7], v8, off
	v_lshlrev_b64 v[6:7], 2, v[0:1]
	v_add_nc_u32_e32 v0, s4, v0
	v_add_co_u32 v6, vcc_lo, s2, v6
	v_add_co_ci_u32_e64 v7, null, s3, v7, vcc_lo
	;; [unrolled: 10-line block ×3, first 2 shown]
	global_load_dword v10, v[4:5], off
	global_load_dword v4, v[6:7], off
	s_waitcnt vmcnt(0)
	v_mul_f32_e32 v4, v4, v10
	global_store_dword v[6:7], v4, off
	v_lshlrev_b64 v[4:5], 2, v[0:1]
	v_add_nc_u32_e32 v0, s4, v0
	v_add_co_u32 v4, vcc_lo, s2, v4
	v_add_co_ci_u32_e64 v5, null, s3, v5, vcc_lo
	global_load_dword v6, v[4:5], off
	s_waitcnt vmcnt(0)
	v_mul_f32_e32 v6, v6, v10
	global_store_dword v[4:5], v6, off
	v_lshlrev_b64 v[4:5], 2, v[0:1]
	v_add_nc_u32_e32 v0, s4, v0
	v_add_co_u32 v4, vcc_lo, s2, v4
	v_add_co_ci_u32_e64 v5, null, s3, v5, vcc_lo
	;; [unrolled: 8-line block ×4, first 2 shown]
	global_load_dword v2, v[2:3], off
	global_load_dword v3, v[4:5], off
	s_waitcnt vmcnt(0)
	v_mul_f32_e32 v2, v3, v2
	global_store_dword v[4:5], v2, off
	v_lshlrev_b64 v[2:3], 2, v[0:1]
	v_add_nc_u32_e32 v0, s4, v0
	v_add_co_u32 v2, vcc_lo, s2, v2
	v_add_co_ci_u32_e64 v3, null, s3, v3, vcc_lo
	v_lshlrev_b64 v[0:1], 2, v[0:1]
	global_load_dword v4, v[2:3], off
	v_add_co_u32 v0, vcc_lo, s2, v0
	v_add_co_ci_u32_e64 v1, null, s3, v1, vcc_lo
	s_waitcnt vmcnt(0)
	v_mul_f32_e32 v4, v4, v9
	global_store_dword v[2:3], v4, off
	global_load_dword v2, v[0:1], off
	s_waitcnt vmcnt(0)
	v_mul_f32_e32 v2, v2, v8
	global_store_dword v[0:1], v2, off
	s_endpgm
	.section	.rodata,"a",@progbits
	.p2align	6, 0x0
	.amdhsa_kernel _Z12ratx2_kernelIfEvPKT_PS0_S3_
		.amdhsa_group_segment_fixed_size 0
		.amdhsa_private_segment_fixed_size 0
		.amdhsa_kernarg_size 280
		.amdhsa_user_sgpr_count 6
		.amdhsa_user_sgpr_private_segment_buffer 1
		.amdhsa_user_sgpr_dispatch_ptr 0
		.amdhsa_user_sgpr_queue_ptr 0
		.amdhsa_user_sgpr_kernarg_segment_ptr 1
		.amdhsa_user_sgpr_dispatch_id 0
		.amdhsa_user_sgpr_flat_scratch_init 0
		.amdhsa_user_sgpr_private_segment_size 0
		.amdhsa_wavefront_size32 1
		.amdhsa_uses_dynamic_stack 0
		.amdhsa_system_sgpr_private_segment_wavefront_offset 0
		.amdhsa_system_sgpr_workgroup_id_x 1
		.amdhsa_system_sgpr_workgroup_id_y 0
		.amdhsa_system_sgpr_workgroup_id_z 0
		.amdhsa_system_sgpr_workgroup_info 0
		.amdhsa_system_vgpr_workitem_id 0
		.amdhsa_next_free_vgpr 48
		.amdhsa_next_free_sgpr 9
		.amdhsa_reserve_vcc 1
		.amdhsa_reserve_flat_scratch 0
		.amdhsa_float_round_mode_32 0
		.amdhsa_float_round_mode_16_64 0
		.amdhsa_float_denorm_mode_32 3
		.amdhsa_float_denorm_mode_16_64 3
		.amdhsa_dx10_clamp 1
		.amdhsa_ieee_mode 1
		.amdhsa_fp16_overflow 0
		.amdhsa_workgroup_processor_mode 1
		.amdhsa_memory_ordered 1
		.amdhsa_forward_progress 1
		.amdhsa_shared_vgpr_count 0
		.amdhsa_exception_fp_ieee_invalid_op 0
		.amdhsa_exception_fp_denorm_src 0
		.amdhsa_exception_fp_ieee_div_zero 0
		.amdhsa_exception_fp_ieee_overflow 0
		.amdhsa_exception_fp_ieee_underflow 0
		.amdhsa_exception_fp_ieee_inexact 0
		.amdhsa_exception_int_div_zero 0
	.end_amdhsa_kernel
	.section	.text._Z12ratx2_kernelIfEvPKT_PS0_S3_,"axG",@progbits,_Z12ratx2_kernelIfEvPKT_PS0_S3_,comdat
.Lfunc_end14:
	.size	_Z12ratx2_kernelIfEvPKT_PS0_S3_, .Lfunc_end14-_Z12ratx2_kernelIfEvPKT_PS0_S3_
                                        ; -- End function
	.set _Z12ratx2_kernelIfEvPKT_PS0_S3_.num_vgpr, 48
	.set _Z12ratx2_kernelIfEvPKT_PS0_S3_.num_agpr, 0
	.set _Z12ratx2_kernelIfEvPKT_PS0_S3_.numbered_sgpr, 9
	.set _Z12ratx2_kernelIfEvPKT_PS0_S3_.num_named_barrier, 0
	.set _Z12ratx2_kernelIfEvPKT_PS0_S3_.private_seg_size, 0
	.set _Z12ratx2_kernelIfEvPKT_PS0_S3_.uses_vcc, 1
	.set _Z12ratx2_kernelIfEvPKT_PS0_S3_.uses_flat_scratch, 0
	.set _Z12ratx2_kernelIfEvPKT_PS0_S3_.has_dyn_sized_stack, 0
	.set _Z12ratx2_kernelIfEvPKT_PS0_S3_.has_recursion, 0
	.set _Z12ratx2_kernelIfEvPKT_PS0_S3_.has_indirect_call, 0
	.section	.AMDGPU.csdata,"",@progbits
; Kernel info:
; codeLenInByte = 11516
; TotalNumSgprs: 11
; NumVgprs: 48
; ScratchSize: 0
; MemoryBound: 0
; FloatMode: 240
; IeeeMode: 1
; LDSByteSize: 0 bytes/workgroup (compile time only)
; SGPRBlocks: 0
; VGPRBlocks: 5
; NumSGPRsForWavesPerEU: 11
; NumVGPRsForWavesPerEU: 48
; Occupancy: 16
; WaveLimiterHint : 0
; COMPUTE_PGM_RSRC2:SCRATCH_EN: 0
; COMPUTE_PGM_RSRC2:USER_SGPR: 6
; COMPUTE_PGM_RSRC2:TRAP_HANDLER: 0
; COMPUTE_PGM_RSRC2:TGID_X_EN: 1
; COMPUTE_PGM_RSRC2:TGID_Y_EN: 0
; COMPUTE_PGM_RSRC2:TGID_Z_EN: 0
; COMPUTE_PGM_RSRC2:TIDIG_COMP_CNT: 0
	.section	.text._Z12ratx4_kernelIfEvPKT_PS0_S3_,"axG",@progbits,_Z12ratx4_kernelIfEvPKT_PS0_S3_,comdat
	.protected	_Z12ratx4_kernelIfEvPKT_PS0_S3_ ; -- Begin function _Z12ratx4_kernelIfEvPKT_PS0_S3_
	.globl	_Z12ratx4_kernelIfEvPKT_PS0_S3_
	.p2align	8
	.type	_Z12ratx4_kernelIfEvPKT_PS0_S3_,@function
_Z12ratx4_kernelIfEvPKT_PS0_S3_:        ; @_Z12ratx4_kernelIfEvPKT_PS0_S3_
; %bb.0:
	s_clause 0x3
	s_load_dwordx2 s[2:3], s[4:5], 0x0
	s_load_dwordx2 s[0:1], s[4:5], 0x10
	s_load_dword s7, s[4:5], 0x18
	s_load_dword s4, s[4:5], 0x24
	s_waitcnt lgkmcnt(0)
	s_and_b32 s4, s4, 0xffff
	v_mad_u64_u32 v[0:1], null, s6, s4, v[0:1]
	v_mov_b32_e32 v1, 0
	s_mul_i32 s4, s7, s4
	s_lshl_b32 s5, s4, 1
	s_lshl_b32 s6, s4, 2
	v_mov_b32_e32 v7, v1
	v_add_nc_u32_e32 v6, s5, v0
	v_lshlrev_b64 v[2:3], 2, v[0:1]
	v_add_nc_u32_e32 v0, s4, v0
	v_lshlrev_b64 v[12:13], 2, v[6:7]
	v_add_nc_u32_e32 v6, s5, v6
	v_add_co_u32 v4, vcc_lo, s0, v2
	v_add_co_ci_u32_e64 v5, null, s1, v3, vcc_lo
	v_add_co_u32 v24, vcc_lo, s2, v12
	v_add_co_ci_u32_e64 v25, null, s3, v13, vcc_lo
	global_load_dword v8, v[4:5], off
	v_lshlrev_b64 v[6:7], 2, v[6:7]
	global_load_dword v28, v[24:25], off
	s_waitcnt vmcnt(0)
	v_mul_f32_e32 v10, v8, v28
	v_add_co_u32 v8, vcc_lo, s2, v6
	v_add_co_ci_u32_e64 v9, null, s3, v7, vcc_lo
	global_load_dword v44, v[8:9], off
	s_waitcnt vmcnt(0)
	v_mul_f32_e32 v6, v10, v44
	global_store_dword v[4:5], v6, off
	v_lshlrev_b64 v[4:5], 2, v[0:1]
	v_add_nc_u32_e32 v0, s6, v0
	v_add_co_u32 v6, vcc_lo, s0, v4
	v_add_co_ci_u32_e64 v7, null, s1, v5, vcc_lo
	v_add_co_u32 v10, vcc_lo, s2, v4
	v_add_co_ci_u32_e64 v11, null, s3, v5, vcc_lo
	global_load_dword v14, v[6:7], off
	global_load_dword v45, v[10:11], off
	s_waitcnt vmcnt(0)
	v_mul_f32_e32 v4, v14, v45
	v_mul_f32_e32 v4, v44, v4
	global_store_dword v[6:7], v4, off
	v_add_co_u32 v4, vcc_lo, s0, v12
	v_add_co_ci_u32_e64 v5, null, s1, v13, vcc_lo
	global_load_dword v6, v[4:5], off
	s_waitcnt vmcnt(0)
	v_mul_f32_e32 v12, v45, v6
	v_lshlrev_b64 v[6:7], 2, v[0:1]
	v_subrev_nc_u32_e32 v0, s5, v0
	v_add_co_u32 v16, vcc_lo, s2, v6
	v_add_co_ci_u32_e64 v17, null, s3, v7, vcc_lo
	global_load_dword v46, v[16:17], off
	s_waitcnt vmcnt(0)
	v_mul_f32_e32 v12, v12, v46
	global_store_dword v[4:5], v12, off
	v_lshlrev_b64 v[4:5], 2, v[0:1]
	v_add_co_u32 v12, vcc_lo, s0, v4
	v_add_co_ci_u32_e64 v13, null, s1, v5, vcc_lo
	v_add_co_u32 v6, vcc_lo, s0, v6
	v_add_co_ci_u32_e64 v7, null, s1, v7, vcc_lo
	global_load_dword v14, v[12:13], off
	s_waitcnt vmcnt(0)
	v_mul_f32_e32 v14, v28, v14
	v_mul_f32_e32 v14, v46, v14
	global_store_dword v[12:13], v14, off
	v_add_co_u32 v12, vcc_lo, s2, v2
	v_add_co_ci_u32_e64 v13, null, s3, v3, vcc_lo
	global_load_dword v14, v[6:7], off
	global_load_dword v47, v[12:13], off
	s_waitcnt vmcnt(0)
	v_mul_f32_e32 v2, v14, v47
	v_mul_f32_e32 v2, v47, v2
	global_store_dword v[6:7], v2, off
	v_mad_u64_u32 v[2:3], null, s4, 3, v[0:1]
	v_mov_b32_e32 v3, v1
	v_lshlrev_b64 v[6:7], 2, v[2:3]
	v_add_co_u32 v14, vcc_lo, s0, v6
	v_add_co_ci_u32_e64 v15, null, s1, v7, vcc_lo
	global_load_dword v0, v[14:15], off
	s_waitcnt vmcnt(0)
	v_mul_f32_e32 v0, v47, v0
	v_mul_f32_e32 v0, v46, v0
	global_store_dword v[14:15], v0, off
	v_add_nc_u32_e32 v0, s4, v2
	v_lshlrev_b64 v[14:15], 2, v[0:1]
	v_add_nc_u32_e32 v0, s6, v0
	v_add_co_u32 v2, vcc_lo, s0, v14
	v_add_co_ci_u32_e64 v3, null, s1, v15, vcc_lo
	global_load_dword v18, v[2:3], off
	s_waitcnt vmcnt(0)
	v_mul_f32_e32 v20, v47, v18
	v_lshlrev_b64 v[18:19], 2, v[0:1]
	v_add_nc_u32_e32 v0, s4, v0
	v_add_co_u32 v34, vcc_lo, s2, v18
	v_add_co_ci_u32_e64 v35, null, s3, v19, vcc_lo
	v_lshlrev_b64 v[22:23], 2, v[0:1]
	v_add_nc_u32_e32 v0, s4, v0
	global_load_dword v48, v[34:35], off
	v_lshlrev_b64 v[42:43], 2, v[0:1]
	v_add_nc_u32_e32 v0, s4, v0
	v_lshlrev_b64 v[32:33], 2, v[0:1]
	s_waitcnt vmcnt(0)
	v_mul_f32_e32 v18, v20, v48
	v_add_co_u32 v20, vcc_lo, s0, v22
	v_add_co_ci_u32_e64 v21, null, s1, v23, vcc_lo
	global_store_dword v[2:3], v18, off
	v_add_co_u32 v2, vcc_lo, s2, v6
	v_add_co_ci_u32_e64 v3, null, s3, v7, vcc_lo
	global_load_dword v18, v[20:21], off
	global_load_dword v49, v[2:3], off
	s_waitcnt vmcnt(0)
	v_mul_f32_e32 v6, v18, v49
	v_add_co_u32 v18, vcc_lo, s2, v4
	v_add_co_ci_u32_e64 v19, null, s3, v5, vcc_lo
	global_load_dword v50, v[18:19], off
	s_waitcnt vmcnt(0)
	v_mul_f32_e32 v4, v6, v50
	global_store_dword v[20:21], v4, off
	v_add_co_u32 v4, vcc_lo, s0, v42
	v_add_co_ci_u32_e64 v5, null, s1, v43, vcc_lo
	global_load_dword v6, v[4:5], off
	s_waitcnt vmcnt(0)
	v_mul_f32_e32 v6, v49, v6
	v_mul_f32_e32 v6, v46, v6
	global_store_dword v[4:5], v6, off
	v_add_co_u32 v4, vcc_lo, s0, v32
	v_add_co_ci_u32_e64 v5, null, s1, v33, vcc_lo
	global_load_dword v6, v[4:5], off
	s_waitcnt vmcnt(0)
	v_mul_f32_e32 v20, v49, v6
	v_mad_u64_u32 v[6:7], null, s4, 7, v[0:1]
	v_mov_b32_e32 v7, v1
	v_lshlrev_b64 v[40:41], 2, v[6:7]
	v_add_co_u32 v26, vcc_lo, s2, v40
	v_add_co_ci_u32_e64 v27, null, s3, v41, vcc_lo
	global_load_dword v0, v[26:27], off
	s_waitcnt vmcnt(0)
	v_mul_f32_e32 v0, v20, v0
	global_store_dword v[4:5], v0, off
	v_mad_u64_u32 v[4:5], null, s4, -6, v[6:7]
	v_mov_b32_e32 v5, v1
	v_lshlrev_b64 v[36:37], 2, v[4:5]
	v_add_co_u32 v5, vcc_lo, s0, v36
	v_add_co_ci_u32_e64 v6, null, s1, v37, vcc_lo
	v_add_co_u32 v14, vcc_lo, s2, v14
	v_add_co_ci_u32_e64 v15, null, s3, v15, vcc_lo
	global_load_dword v0, v[5:6], off
	global_load_dword v51, v[14:15], off
	s_waitcnt vmcnt(0)
	v_mul_f32_e32 v0, v0, v51
	global_store_dword v[5:6], v0, off
	v_add_nc_u32_e32 v0, s4, v4
	v_lshlrev_b64 v[6:7], 2, v[0:1]
	v_add_nc_u32_e32 v0, s4, v0
	v_add_co_u32 v4, vcc_lo, s0, v6
	v_add_co_ci_u32_e64 v5, null, s1, v7, vcc_lo
	global_load_dword v20, v[4:5], off
	s_waitcnt vmcnt(0)
	v_mul_f32_e32 v20, v28, v20
	v_mul_f32_e32 v20, v46, v20
	global_store_dword v[4:5], v20, off
	v_lshlrev_b64 v[20:21], 2, v[0:1]
	v_add_nc_u32_e32 v0, s4, v0
	v_add_co_u32 v4, vcc_lo, s0, v20
	v_add_co_ci_u32_e64 v5, null, s1, v21, vcc_lo
	v_lshlrev_b64 v[38:39], 2, v[0:1]
	v_add_nc_u32_e32 v0, s4, v0
	global_load_dword v28, v[4:5], off
	s_waitcnt vmcnt(0)
	v_mul_f32_e32 v28, v50, v28
	v_mul_f32_e32 v28, v47, v28
	global_store_dword v[4:5], v28, off
	v_add_co_u32 v4, vcc_lo, s0, v38
	v_add_co_ci_u32_e64 v5, null, s1, v39, vcc_lo
	global_load_dword v28, v[4:5], off
	s_waitcnt vmcnt(0)
	v_mul_f32_e32 v28, v44, v28
	v_mul_f32_e32 v28, v44, v28
	global_store_dword v[4:5], v28, off
	v_lshlrev_b64 v[28:29], 2, v[0:1]
	v_add_nc_u32_e32 v0, s4, v0
	v_add_co_u32 v4, vcc_lo, s0, v28
	v_add_co_ci_u32_e64 v5, null, s1, v29, vcc_lo
	global_load_dword v30, v[4:5], off
	s_waitcnt vmcnt(0)
	v_mul_f32_e32 v30, v44, v30
	v_mul_f32_e32 v30, v50, v30
	global_store_dword v[4:5], v30, off
	v_lshlrev_b64 v[30:31], 2, v[0:1]
	v_add_nc_u32_e32 v0, s5, v0
	v_add_co_u32 v4, vcc_lo, s0, v30
	v_add_co_ci_u32_e64 v5, null, s1, v31, vcc_lo
	global_load_dword v52, v[4:5], off
	s_waitcnt vmcnt(0)
	v_mul_f32_e32 v52, v50, v52
	v_mul_f32_e32 v52, v46, v52
	global_store_dword v[4:5], v52, off
	v_add_co_u32 v4, vcc_lo, s0, v40
	v_add_co_ci_u32_e64 v5, null, s1, v41, vcc_lo
	global_load_dword v40, v[4:5], off
	s_waitcnt vmcnt(0)
	v_mul_f32_e32 v40, v50, v40
	v_mul_f32_e32 v40, v51, v40
	global_store_dword v[4:5], v40, off
	v_lshlrev_b64 v[4:5], 2, v[0:1]
	v_add_nc_u32_e32 v0, s4, v0
	v_add_co_u32 v4, vcc_lo, s0, v4
	v_add_co_ci_u32_e64 v5, null, s1, v5, vcc_lo
	global_load_dword v40, v[4:5], off
	s_waitcnt vmcnt(0)
	v_mul_f32_e32 v40, v50, v40
	v_mul_f32_e32 v40, v51, v40
	global_store_dword v[4:5], v40, off
	v_lshlrev_b64 v[4:5], 2, v[0:1]
	v_add_nc_u32_e32 v0, s4, v0
	;; [unrolled: 9-line block ×8, first 2 shown]
	v_add_co_u32 v40, vcc_lo, s0, v4
	v_add_co_ci_u32_e64 v41, null, s1, v5, vcc_lo
	v_add_co_u32 v4, vcc_lo, s2, v22
	v_add_co_ci_u32_e64 v5, null, s3, v23, vcc_lo
	global_load_dword v44, v[40:41], off
	global_load_dword v45, v[4:5], off
	s_waitcnt vmcnt(0)
	v_mul_f32_e32 v22, v44, v45
	global_store_dword v[40:41], v22, off
	v_lshlrev_b64 v[22:23], 2, v[0:1]
	v_add_nc_u32_e32 v0, s4, v0
	v_add_co_u32 v22, vcc_lo, s0, v22
	v_add_co_ci_u32_e64 v23, null, s1, v23, vcc_lo
	global_load_dword v40, v[22:23], off
	s_clause 0x2
	global_load_dword v44, v[34:35], off
	global_load_dword v48, v[24:25], off
	;; [unrolled: 1-line block ×3, first 2 shown]
	s_waitcnt vmcnt(2)
	v_mul_f32_e32 v40, v40, v44
	s_waitcnt vmcnt(1)
	v_mul_f32_e32 v40, v40, v48
	global_store_dword v[22:23], v40, off
	v_lshlrev_b64 v[22:23], 2, v[0:1]
	v_add_nc_u32_e32 v0, s4, v0
	v_add_co_u32 v22, vcc_lo, s0, v22
	v_add_co_ci_u32_e64 v23, null, s1, v23, vcc_lo
	v_mad_u64_u32 v[46:47], null, 0xffffffe9, s4, v[0:1]
	v_mov_b32_e32 v47, v1
	global_load_dword v40, v[22:23], off
	s_waitcnt vmcnt(0)
	v_mul_f32_e32 v40, v40, v44
	v_mul_f32_e32 v40, v40, v49
	global_store_dword v[22:23], v40, off
	v_lshlrev_b64 v[22:23], 2, v[0:1]
	v_add_co_u32 v40, vcc_lo, s0, v22
	v_add_co_ci_u32_e64 v41, null, s1, v23, vcc_lo
	v_lshlrev_b64 v[22:23], 2, v[46:47]
	global_load_dword v50, v[40:41], off
	v_add_co_u32 v22, vcc_lo, s2, v22
	v_add_co_ci_u32_e64 v23, null, s3, v23, vcc_lo
	global_load_dword v51, v[22:23], off
	s_waitcnt vmcnt(0)
	v_mul_f32_e32 v0, v50, v51
	global_load_dword v50, v[10:11], off
	s_waitcnt vmcnt(0)
	v_mul_f32_e32 v0, v0, v50
	global_store_dword v[40:41], v0, off
	v_mad_u64_u32 v[40:41], null, s4, 24, v[46:47]
	v_mov_b32_e32 v41, v1
	v_lshlrev_b64 v[46:47], 2, v[40:41]
	v_add_co_u32 v46, vcc_lo, s0, v46
	v_add_co_ci_u32_e64 v47, null, s1, v47, vcc_lo
	global_load_dword v0, v[46:47], off
	s_waitcnt vmcnt(0)
	v_mul_f32_e32 v0, v0, v50
	global_store_dword v[46:47], v0, off
	v_add_nc_u32_e32 v0, s4, v40
	v_lshlrev_b64 v[40:41], 2, v[0:1]
	v_add_nc_u32_e32 v0, s4, v0
	v_add_co_u32 v40, vcc_lo, s0, v40
	v_add_co_ci_u32_e64 v41, null, s1, v41, vcc_lo
	global_load_dword v46, v[40:41], off
	s_waitcnt vmcnt(0)
	v_mul_f32_e32 v46, v46, v50
	global_store_dword v[40:41], v46, off
	v_lshlrev_b64 v[40:41], 2, v[0:1]
	v_add_nc_u32_e32 v0, s4, v0
	v_add_co_u32 v40, vcc_lo, s0, v40
	v_add_co_ci_u32_e64 v41, null, s1, v41, vcc_lo
	global_load_dword v46, v[40:41], off
	s_waitcnt vmcnt(0)
	v_mul_f32_e32 v46, v46, v45
	v_mul_f32_e32 v46, v46, v50
	global_store_dword v[40:41], v46, off
	v_lshlrev_b64 v[40:41], 2, v[0:1]
	v_add_nc_u32_e32 v0, s4, v0
	v_add_co_u32 v40, vcc_lo, s0, v40
	v_add_co_ci_u32_e64 v41, null, s1, v41, vcc_lo
	global_load_dword v46, v[40:41], off
	s_waitcnt vmcnt(0)
	v_mul_f32_e32 v46, v46, v48
	global_store_dword v[40:41], v46, off
	v_lshlrev_b64 v[40:41], 2, v[0:1]
	v_add_nc_u32_e32 v0, s4, v0
	v_add_co_u32 v46, vcc_lo, s0, v40
	v_add_co_ci_u32_e64 v47, null, s1, v41, vcc_lo
	v_add_co_u32 v40, vcc_lo, s2, v6
	v_add_co_ci_u32_e64 v41, null, s3, v7, vcc_lo
	global_load_dword v48, v[46:47], off
	global_load_dword v6, v[40:41], off
	s_waitcnt vmcnt(0)
	v_mul_f32_e32 v6, v48, v6
	global_store_dword v[46:47], v6, off
	v_lshlrev_b64 v[6:7], 2, v[0:1]
	v_add_nc_u32_e32 v0, s4, v0
	v_add_co_u32 v6, vcc_lo, s0, v6
	v_add_co_ci_u32_e64 v7, null, s1, v7, vcc_lo
	global_load_dword v46, v[6:7], off
	s_waitcnt vmcnt(0)
	v_mul_f32_e32 v46, v46, v51
	global_store_dword v[6:7], v46, off
	v_lshlrev_b64 v[6:7], 2, v[0:1]
	v_add_nc_u32_e32 v0, s4, v0
	v_add_co_u32 v6, vcc_lo, s0, v6
	v_add_co_ci_u32_e64 v7, null, s1, v7, vcc_lo
	global_load_dword v46, v[6:7], off
	s_waitcnt vmcnt(0)
	v_mul_f32_e32 v45, v46, v45
	global_load_dword v46, v[12:13], off
	global_store_dword v[6:7], v45, off
	v_lshlrev_b64 v[6:7], 2, v[0:1]
	v_add_nc_u32_e32 v0, s4, v0
	v_add_co_u32 v6, vcc_lo, s0, v6
	v_add_co_ci_u32_e64 v7, null, s1, v7, vcc_lo
	global_load_dword v45, v[6:7], off
	s_waitcnt vmcnt(0)
	v_mul_f32_e32 v45, v45, v51
	v_mul_f32_e32 v45, v45, v46
	global_load_dword v46, v[2:3], off
	global_store_dword v[6:7], v45, off
	v_lshlrev_b64 v[6:7], 2, v[0:1]
	v_add_nc_u32_e32 v0, s4, v0
	v_add_co_u32 v6, vcc_lo, s0, v6
	v_add_co_ci_u32_e64 v7, null, s1, v7, vcc_lo
	global_load_dword v45, v[6:7], off
	s_waitcnt vmcnt(0)
	v_mul_f32_e32 v45, v45, v51
	v_mul_f32_e32 v45, v45, v49
	global_load_dword v49, v[16:17], off
	global_store_dword v[6:7], v45, off
	v_lshlrev_b64 v[6:7], 2, v[0:1]
	v_add_nc_u32_e32 v0, s4, v0
	v_add_co_u32 v6, vcc_lo, s0, v6
	v_add_co_ci_u32_e64 v7, null, s1, v7, vcc_lo
	global_load_dword v45, v[6:7], off
	s_waitcnt vmcnt(0)
	v_mul_f32_e32 v45, v45, v44
	v_mul_f32_e32 v45, v45, v50
	global_store_dword v[6:7], v45, off
	v_lshlrev_b64 v[6:7], 2, v[0:1]
	v_add_nc_u32_e32 v0, s5, v0
	v_add_co_u32 v6, vcc_lo, s0, v6
	v_add_co_ci_u32_e64 v7, null, s1, v7, vcc_lo
	global_load_dword v45, v[6:7], off
	s_waitcnt vmcnt(0)
	v_mul_f32_e32 v45, v45, v51
	v_mul_f32_e32 v45, v45, v49
	global_store_dword v[6:7], v45, off
	v_lshlrev_b64 v[6:7], 2, v[0:1]
	v_add_nc_u32_e32 v0, s4, v0
	v_add_co_u32 v6, vcc_lo, s0, v6
	v_add_co_ci_u32_e64 v7, null, s1, v7, vcc_lo
	v_mad_u64_u32 v[47:48], null, 0xffffffd9, s4, v[0:1]
	v_mov_b32_e32 v48, v1
	global_load_dword v45, v[6:7], off
	s_waitcnt vmcnt(0)
	v_mul_f32_e32 v45, v45, v51
	v_mul_f32_e32 v45, v45, v46
	global_store_dword v[6:7], v45, off
	v_lshlrev_b64 v[6:7], 2, v[0:1]
	v_add_co_u32 v45, vcc_lo, s0, v6
	v_add_co_ci_u32_e64 v46, null, s1, v7, vcc_lo
	v_lshlrev_b64 v[6:7], 2, v[47:48]
	global_load_dword v50, v[45:46], off
	v_add_co_u32 v6, vcc_lo, s2, v6
	v_add_co_ci_u32_e64 v7, null, s3, v7, vcc_lo
	global_load_dword v0, v[6:7], off
	s_waitcnt vmcnt(0)
	v_mul_f32_e32 v48, v50, v0
	global_store_dword v[45:46], v48, off
	v_mad_u64_u32 v[45:46], null, s4, 40, v[47:48]
	v_mov_b32_e32 v46, v1
	v_lshlrev_b64 v[46:47], 2, v[45:46]
	v_add_co_u32 v46, vcc_lo, s0, v46
	v_add_co_ci_u32_e64 v47, null, s1, v47, vcc_lo
	global_load_dword v48, v[46:47], off
	global_load_dword v50, v[10:11], off
	s_waitcnt vmcnt(0)
	v_mul_f32_e32 v48, v48, v50
	v_mul_f32_e32 v0, v48, v0
	global_store_dword v[46:47], v0, off
	v_add_nc_u32_e32 v0, s4, v45
	v_lshlrev_b64 v[45:46], 2, v[0:1]
	v_add_nc_u32_e32 v0, s4, v0
	v_add_co_u32 v45, vcc_lo, s0, v45
	v_add_co_ci_u32_e64 v46, null, s1, v46, vcc_lo
	global_load_dword v47, v[45:46], off
	s_waitcnt vmcnt(0)
	v_mul_f32_e32 v47, v47, v50
	global_store_dword v[45:46], v47, off
	v_lshlrev_b64 v[45:46], 2, v[0:1]
	v_add_nc_u32_e32 v0, s4, v0
	v_add_co_u32 v45, vcc_lo, s0, v45
	v_add_co_ci_u32_e64 v46, null, s1, v46, vcc_lo
	global_load_dword v47, v[45:46], off
	global_load_dword v48, v[8:9], off
	s_waitcnt vmcnt(0)
	v_mul_f32_e32 v47, v47, v48
	global_store_dword v[45:46], v47, off
	v_lshlrev_b64 v[45:46], 2, v[0:1]
	v_add_nc_u32_e32 v0, s4, v0
	v_add_co_u32 v45, vcc_lo, s0, v45
	v_add_co_ci_u32_e64 v46, null, s1, v46, vcc_lo
	global_load_dword v47, v[45:46], off
	s_waitcnt vmcnt(0)
	v_mul_f32_e32 v44, v47, v44
	v_mul_f32_e32 v44, v44, v50
	;; [unrolled: 1-line block ×3, first 2 shown]
	global_store_dword v[45:46], v44, off
	v_lshlrev_b64 v[44:45], 2, v[0:1]
	v_add_nc_u32_e32 v0, s4, v0
	v_add_co_u32 v44, vcc_lo, s0, v44
	v_add_co_ci_u32_e64 v45, null, s1, v45, vcc_lo
	global_load_dword v46, v[44:45], off
	global_load_dword v47, v[4:5], off
	s_waitcnt vmcnt(0)
	v_mul_f32_e32 v46, v46, v47
	v_mul_f32_e32 v46, v46, v50
	global_store_dword v[44:45], v46, off
	v_lshlrev_b64 v[44:45], 2, v[0:1]
	v_add_nc_u32_e32 v0, s4, v0
	v_add_co_u32 v44, vcc_lo, s0, v44
	v_add_co_ci_u32_e64 v45, null, s1, v45, vcc_lo
	global_load_dword v46, v[44:45], off
	s_waitcnt vmcnt(0)
	v_mul_f32_e32 v46, v46, v49
	global_store_dword v[44:45], v46, off
	v_lshlrev_b64 v[44:45], 2, v[0:1]
	v_add_nc_u32_e32 v0, s4, v0
	v_add_co_u32 v44, vcc_lo, s0, v44
	v_add_co_ci_u32_e64 v45, null, s1, v45, vcc_lo
	global_load_dword v46, v[44:45], off
	s_waitcnt vmcnt(0)
	v_mul_f32_e32 v46, v46, v47
	v_mul_f32_e32 v46, v46, v48
	global_store_dword v[44:45], v46, off
	v_lshlrev_b64 v[44:45], 2, v[0:1]
	v_add_nc_u32_e32 v0, s4, v0
	v_add_co_u32 v44, vcc_lo, s0, v44
	v_add_co_ci_u32_e64 v45, null, s1, v45, vcc_lo
	v_add_co_u32 v20, vcc_lo, s2, v20
	v_add_co_ci_u32_e64 v21, null, s3, v21, vcc_lo
	global_load_dword v46, v[44:45], off
	global_load_dword v48, v[20:21], off
	s_waitcnt vmcnt(0)
	v_mul_f32_e32 v46, v46, v48
	global_store_dword v[44:45], v46, off
	v_lshlrev_b64 v[44:45], 2, v[0:1]
	v_add_nc_u32_e32 v0, s4, v0
	v_add_co_u32 v44, vcc_lo, s0, v44
	v_add_co_ci_u32_e64 v45, null, s1, v45, vcc_lo
	v_add_co_u32 v42, vcc_lo, s2, v42
	v_add_co_ci_u32_e64 v43, null, s3, v43, vcc_lo
	global_load_dword v46, v[44:45], off
	global_load_dword v48, v[42:43], off
	s_waitcnt vmcnt(0)
	v_mul_f32_e32 v46, v46, v48
	v_mul_f32_e32 v46, v46, v50
	global_store_dword v[44:45], v46, off
	v_lshlrev_b64 v[44:45], 2, v[0:1]
	v_add_nc_u32_e32 v0, s4, v0
	v_add_co_u32 v44, vcc_lo, s0, v44
	v_add_co_ci_u32_e64 v45, null, s1, v45, vcc_lo
	global_load_dword v46, v[44:45], off
	s_waitcnt vmcnt(0)
	v_mul_f32_e32 v46, v46, v48
	global_load_dword v48, v[12:13], off
	s_waitcnt vmcnt(0)
	v_mul_f32_e32 v46, v46, v48
	global_store_dword v[44:45], v46, off
	v_lshlrev_b64 v[44:45], 2, v[0:1]
	v_add_nc_u32_e32 v0, s4, v0
	v_add_co_u32 v44, vcc_lo, s0, v44
	v_add_co_ci_u32_e64 v45, null, s1, v45, vcc_lo
	global_load_dword v46, v[44:45], off
	global_load_dword v26, v[26:27], off
	s_waitcnt vmcnt(0)
	v_mul_f32_e32 v26, v46, v26
	global_store_dword v[44:45], v26, off
	v_lshlrev_b64 v[26:27], 2, v[0:1]
	v_add_nc_u32_e32 v0, s4, v0
	v_add_co_u32 v26, vcc_lo, s0, v26
	v_add_co_ci_u32_e64 v27, null, s1, v27, vcc_lo
	global_load_dword v44, v[26:27], off
	s_waitcnt vmcnt(0)
	v_mul_f32_e32 v44, v44, v48
	global_store_dword v[26:27], v44, off
	v_lshlrev_b64 v[26:27], 2, v[0:1]
	v_add_nc_u32_e32 v0, s4, v0
	v_add_co_u32 v26, vcc_lo, s0, v26
	v_add_co_ci_u32_e64 v27, null, s1, v27, vcc_lo
	global_load_dword v44, v[26:27], off
	global_load_dword v45, v[22:23], off
	s_waitcnt vmcnt(0)
	v_mul_f32_e32 v44, v44, v45
	v_mul_f32_e32 v44, v44, v48
	global_store_dword v[26:27], v44, off
	v_lshlrev_b64 v[26:27], 2, v[0:1]
	v_add_nc_u32_e32 v0, s4, v0
	v_add_co_u32 v26, vcc_lo, s0, v26
	v_add_co_ci_u32_e64 v27, null, s1, v27, vcc_lo
	global_load_dword v44, v[26:27], off
	s_waitcnt vmcnt(0)
	v_mul_f32_e32 v44, v44, v50
	global_store_dword v[26:27], v44, off
	v_lshlrev_b64 v[26:27], 2, v[0:1]
	v_add_nc_u32_e32 v0, s4, v0
	v_add_co_u32 v26, vcc_lo, s0, v26
	v_add_co_ci_u32_e64 v27, null, s1, v27, vcc_lo
	global_load_dword v44, v[26:27], off
	s_waitcnt vmcnt(0)
	v_mul_f32_e32 v44, v44, v47
	v_mul_f32_e32 v44, v44, v50
	global_store_dword v[26:27], v44, off
	v_lshlrev_b64 v[26:27], 2, v[0:1]
	v_add_nc_u32_e32 v0, s4, v0
	v_add_co_u32 v26, vcc_lo, s0, v26
	v_add_co_ci_u32_e64 v27, null, s1, v27, vcc_lo
	global_load_dword v44, v[26:27], off
	s_clause 0x2
	global_load_dword v46, v[6:7], off
	global_load_dword v47, v[8:9], off
	global_load_dword v52, v[16:17], off
	s_waitcnt vmcnt(2)
	v_mul_f32_e32 v44, v44, v46
	v_mul_f32_e32 v44, v44, v50
	global_store_dword v[26:27], v44, off
	v_lshlrev_b64 v[26:27], 2, v[0:1]
	v_add_nc_u32_e32 v0, s4, v0
	v_add_co_u32 v26, vcc_lo, s0, v26
	v_add_co_ci_u32_e64 v27, null, s1, v27, vcc_lo
	global_load_dword v44, v[26:27], off
	s_waitcnt vmcnt(0)
	v_mul_f32_e32 v44, v44, v50
	v_mul_f32_e32 v44, v44, v47
	;; [unrolled: 1-line block ×3, first 2 shown]
	global_store_dword v[26:27], v44, off
	v_lshlrev_b64 v[26:27], 2, v[0:1]
	v_add_nc_u32_e32 v0, s4, v0
	v_add_co_u32 v26, vcc_lo, s0, v26
	v_add_co_ci_u32_e64 v27, null, s1, v27, vcc_lo
	global_load_dword v44, v[26:27], off
	s_waitcnt vmcnt(0)
	v_mul_f32_e32 v44, v44, v45
	v_mul_f32_e32 v44, v44, v52
	global_store_dword v[26:27], v44, off
	v_lshlrev_b64 v[26:27], 2, v[0:1]
	v_add_nc_u32_e32 v0, s4, v0
	v_add_co_u32 v26, vcc_lo, s0, v26
	v_add_co_ci_u32_e64 v27, null, s1, v27, vcc_lo
	global_load_dword v44, v[26:27], off
	s_waitcnt vmcnt(0)
	v_mul_f32_e32 v44, v44, v52
	global_store_dword v[26:27], v44, off
	v_lshlrev_b64 v[26:27], 2, v[0:1]
	v_add_nc_u32_e32 v0, s4, v0
	v_add_co_u32 v26, vcc_lo, s0, v26
	v_add_co_ci_u32_e64 v27, null, s1, v27, vcc_lo
	global_load_dword v44, v[26:27], off
	s_waitcnt vmcnt(0)
	v_mul_f32_e32 v44, v44, v45
	global_store_dword v[26:27], v44, off
	v_lshlrev_b64 v[26:27], 2, v[0:1]
	v_add_nc_u32_e32 v0, s4, v0
	v_add_co_u32 v26, vcc_lo, s0, v26
	v_add_co_ci_u32_e64 v27, null, s1, v27, vcc_lo
	global_load_dword v44, v[26:27], off
	global_load_dword v46, v[34:35], off
	s_waitcnt vmcnt(0)
	v_mul_f32_e32 v44, v44, v46
	global_store_dword v[26:27], v44, off
	v_lshlrev_b64 v[26:27], 2, v[0:1]
	v_add_nc_u32_e32 v0, s5, v0
	v_add_co_u32 v26, vcc_lo, s0, v26
	v_add_co_ci_u32_e64 v27, null, s1, v27, vcc_lo
	global_load_dword v44, v[26:27], off
	global_load_dword v46, v[4:5], off
	s_waitcnt vmcnt(0)
	v_mul_f32_e32 v44, v44, v46
	v_mul_f32_e32 v44, v44, v45
	global_store_dword v[26:27], v44, off
	v_lshlrev_b64 v[26:27], 2, v[0:1]
	v_add_nc_u32_e32 v0, s4, v0
	v_add_co_u32 v26, vcc_lo, s0, v26
	v_add_co_ci_u32_e64 v27, null, s1, v27, vcc_lo
	global_load_dword v44, v[26:27], off
	s_waitcnt vmcnt(0)
	v_mul_f32_e32 v44, v44, v48
	global_store_dword v[26:27], v44, off
	v_lshlrev_b64 v[26:27], 2, v[0:1]
	v_add_nc_u32_e32 v0, s4, v0
	v_add_co_u32 v26, vcc_lo, s0, v26
	v_add_co_ci_u32_e64 v27, null, s1, v27, vcc_lo
	global_load_dword v44, v[26:27], off
	s_waitcnt vmcnt(0)
	;; [unrolled: 8-line block ×3, first 2 shown]
	v_mul_f32_e32 v44, v44, v52
	global_store_dword v[26:27], v44, off
	v_lshlrev_b64 v[26:27], 2, v[0:1]
	v_add_nc_u32_e32 v0, s4, v0
	v_add_co_u32 v26, vcc_lo, s0, v26
	v_add_co_ci_u32_e64 v27, null, s1, v27, vcc_lo
	global_load_dword v44, v[26:27], off
	global_load_dword v48, v[2:3], off
	s_waitcnt vmcnt(0)
	v_mul_f32_e32 v44, v44, v48
	global_store_dword v[26:27], v44, off
	v_lshlrev_b64 v[26:27], 2, v[0:1]
	v_add_nc_u32_e32 v0, s4, v0
	v_add_co_u32 v26, vcc_lo, s0, v26
	v_add_co_ci_u32_e64 v27, null, s1, v27, vcc_lo
	global_load_dword v44, v[26:27], off
	global_load_dword v45, v[14:15], off
	s_waitcnt vmcnt(0)
	v_mul_f32_e32 v44, v44, v45
	global_store_dword v[26:27], v44, off
	v_lshlrev_b64 v[26:27], 2, v[0:1]
	v_add_nc_u32_e32 v0, s4, v0
	v_add_co_u32 v26, vcc_lo, s0, v26
	v_add_co_ci_u32_e64 v27, null, s1, v27, vcc_lo
	global_load_dword v44, v[26:27], off
	s_clause 0x1
	global_load_dword v45, v[20:21], off
	global_load_dword v49, v[10:11], off
	v_mad_u64_u32 v[50:51], null, 0xffffffbc, s4, v[0:1]
	v_mov_b32_e32 v51, v1
	s_waitcnt vmcnt(1)
	v_mul_f32_e32 v44, v44, v45
	s_waitcnt vmcnt(0)
	v_mul_f32_e32 v44, v44, v49
	global_store_dword v[26:27], v44, off
	v_lshlrev_b64 v[26:27], 2, v[0:1]
	v_add_co_u32 v44, vcc_lo, s0, v26
	v_add_co_ci_u32_e64 v45, null, s1, v27, vcc_lo
	v_lshlrev_b64 v[26:27], 2, v[50:51]
	global_load_dword v53, v[44:45], off
	v_add_co_u32 v26, vcc_lo, s2, v26
	v_add_co_ci_u32_e64 v27, null, s3, v27, vcc_lo
	global_load_dword v47, v[26:27], off
	s_waitcnt vmcnt(0)
	v_mul_f32_e32 v0, v53, v47
	global_store_dword v[44:45], v0, off
	v_mad_u64_u32 v[44:45], null, 0x45, s4, v[50:51]
	v_mov_b32_e32 v45, v1
	v_lshlrev_b64 v[50:51], 2, v[44:45]
	v_add_co_u32 v50, vcc_lo, s0, v50
	v_add_co_ci_u32_e64 v51, null, s1, v51, vcc_lo
	global_load_dword v0, v[50:51], off
	s_waitcnt vmcnt(0)
	v_mul_f32_e32 v0, v0, v46
	v_mul_f32_e32 v0, v0, v49
	global_store_dword v[50:51], v0, off
	v_add_nc_u32_e32 v0, s4, v44
	v_lshlrev_b64 v[44:45], 2, v[0:1]
	v_add_nc_u32_e32 v0, s4, v0
	v_add_co_u32 v44, vcc_lo, s0, v44
	v_add_co_ci_u32_e64 v45, null, s1, v45, vcc_lo
	global_load_dword v50, v[44:45], off
	s_waitcnt vmcnt(0)
	v_mul_f32_e32 v50, v50, v52
	global_store_dword v[44:45], v50, off
	v_lshlrev_b64 v[44:45], 2, v[0:1]
	v_add_nc_u32_e32 v0, s4, v0
	v_add_co_u32 v44, vcc_lo, s0, v44
	v_add_co_ci_u32_e64 v45, null, s1, v45, vcc_lo
	global_load_dword v50, v[44:45], off
	s_waitcnt vmcnt(0)
	v_mul_f32_e32 v50, v50, v52
	global_store_dword v[44:45], v50, off
	v_lshlrev_b64 v[44:45], 2, v[0:1]
	v_add_nc_u32_e32 v0, s4, v0
	v_add_co_u32 v44, vcc_lo, s0, v44
	v_add_co_ci_u32_e64 v45, null, s1, v45, vcc_lo
	global_load_dword v50, v[44:45], off
	global_load_dword v51, v[24:25], off
	s_waitcnt vmcnt(0)
	v_mul_f32_e32 v50, v50, v51
	global_store_dword v[44:45], v50, off
	v_lshlrev_b64 v[44:45], 2, v[0:1]
	v_add_nc_u32_e32 v0, s4, v0
	v_add_co_u32 v44, vcc_lo, s0, v44
	v_add_co_ci_u32_e64 v45, null, s1, v45, vcc_lo
	global_load_dword v50, v[44:45], off
	global_load_dword v51, v[8:9], off
	s_waitcnt vmcnt(0)
	v_mul_f32_e32 v50, v50, v51
	v_mul_f32_e32 v46, v50, v46
	global_load_dword v50, v[18:19], off
	global_store_dword v[44:45], v46, off
	v_lshlrev_b64 v[44:45], 2, v[0:1]
	v_add_nc_u32_e32 v0, s4, v0
	v_add_co_u32 v44, vcc_lo, s0, v44
	v_add_co_ci_u32_e64 v45, null, s1, v45, vcc_lo
	global_load_dword v46, v[44:45], off
	s_waitcnt vmcnt(0)
	v_mul_f32_e32 v46, v46, v47
	v_mul_f32_e32 v46, v46, v50
	global_store_dword v[44:45], v46, off
	v_lshlrev_b64 v[44:45], 2, v[0:1]
	v_add_nc_u32_e32 v0, s4, v0
	v_add_co_u32 v44, vcc_lo, s0, v44
	v_add_co_ci_u32_e64 v45, null, s1, v45, vcc_lo
	global_load_dword v46, v[44:45], off
	s_waitcnt vmcnt(0)
	v_mul_f32_e32 v46, v46, v51
	global_store_dword v[44:45], v46, off
	v_lshlrev_b64 v[44:45], 2, v[0:1]
	v_add_nc_u32_e32 v0, s4, v0
	v_add_co_u32 v44, vcc_lo, s0, v44
	v_add_co_ci_u32_e64 v45, null, s1, v45, vcc_lo
	global_load_dword v46, v[44:45], off
	s_waitcnt vmcnt(0)
	v_mul_f32_e32 v46, v46, v47
	v_mul_f32_e32 v46, v46, v48
	global_load_dword v48, v[22:23], off
	global_store_dword v[44:45], v46, off
	v_lshlrev_b64 v[44:45], 2, v[0:1]
	v_add_nc_u32_e32 v0, s4, v0
	v_add_co_u32 v44, vcc_lo, s0, v44
	v_add_co_ci_u32_e64 v45, null, s1, v45, vcc_lo
	global_load_dword v46, v[44:45], off
	s_waitcnt vmcnt(0)
	v_mul_f32_e32 v46, v46, v49
	global_store_dword v[44:45], v46, off
	v_lshlrev_b64 v[44:45], 2, v[0:1]
	v_add_nc_u32_e32 v0, s4, v0
	v_add_co_u32 v44, vcc_lo, s0, v44
	v_add_co_ci_u32_e64 v45, null, s1, v45, vcc_lo
	global_load_dword v46, v[44:45], off
	s_waitcnt vmcnt(0)
	v_mul_f32_e32 v46, v46, v47
	v_mul_f32_e32 v46, v46, v48
	global_store_dword v[44:45], v46, off
	v_lshlrev_b64 v[44:45], 2, v[0:1]
	v_add_nc_u32_e32 v0, s4, v0
	v_add_co_u32 v44, vcc_lo, s0, v44
	v_add_co_ci_u32_e64 v45, null, s1, v45, vcc_lo
	v_add_co_u32 v38, vcc_lo, s2, v38
	v_add_co_ci_u32_e64 v39, null, s3, v39, vcc_lo
	global_load_dword v46, v[44:45], off
	global_load_dword v49, v[38:39], off
	s_waitcnt vmcnt(0)
	v_mul_f32_e32 v46, v46, v49
	global_load_dword v49, v[10:11], off
	global_store_dword v[44:45], v46, off
	v_lshlrev_b64 v[44:45], 2, v[0:1]
	v_add_nc_u32_e32 v0, s4, v0
	v_add_co_u32 v44, vcc_lo, s0, v44
	v_add_co_ci_u32_e64 v45, null, s1, v45, vcc_lo
	global_load_dword v46, v[44:45], off
	s_waitcnt vmcnt(0)
	v_mul_f32_e32 v46, v46, v47
	global_store_dword v[44:45], v46, off
	v_lshlrev_b64 v[44:45], 2, v[0:1]
	v_add_nc_u32_e32 v0, s4, v0
	v_add_co_u32 v44, vcc_lo, s0, v44
	v_add_co_ci_u32_e64 v45, null, s1, v45, vcc_lo
	v_add_co_u32 v32, vcc_lo, s2, v32
	v_add_co_ci_u32_e64 v33, null, s3, v33, vcc_lo
	global_load_dword v46, v[44:45], off
	global_load_dword v47, v[32:33], off
	s_waitcnt vmcnt(0)
	v_mul_f32_e32 v46, v46, v47
	v_mul_f32_e32 v46, v46, v49
	global_store_dword v[44:45], v46, off
	v_lshlrev_b64 v[44:45], 2, v[0:1]
	v_add_nc_u32_e32 v0, s4, v0
	v_add_co_u32 v44, vcc_lo, s0, v44
	v_add_co_ci_u32_e64 v45, null, s1, v45, vcc_lo
	global_load_dword v46, v[44:45], off
	s_waitcnt vmcnt(0)
	v_mul_f32_e32 v46, v46, v47
	v_mul_f32_e32 v46, v46, v49
	global_store_dword v[44:45], v46, off
	v_lshlrev_b64 v[44:45], 2, v[0:1]
	v_add_nc_u32_e32 v0, s4, v0
	v_add_co_u32 v44, vcc_lo, s0, v44
	v_add_co_ci_u32_e64 v45, null, s1, v45, vcc_lo
	v_add_co_u32 v36, vcc_lo, s2, v36
	v_add_co_ci_u32_e64 v37, null, s3, v37, vcc_lo
	global_load_dword v46, v[44:45], off
	global_load_dword v50, v[36:37], off
	s_waitcnt vmcnt(0)
	v_mul_f32_e32 v46, v46, v50
	global_store_dword v[44:45], v46, off
	v_lshlrev_b64 v[44:45], 2, v[0:1]
	v_add_nc_u32_e32 v0, s4, v0
	v_add_co_u32 v44, vcc_lo, s0, v44
	v_add_co_ci_u32_e64 v45, null, s1, v45, vcc_lo
	global_load_dword v46, v[44:45], off
	s_waitcnt vmcnt(0)
	v_mul_f32_e32 v46, v46, v49
	global_store_dword v[44:45], v46, off
	v_lshlrev_b64 v[44:45], 2, v[0:1]
	v_add_nc_u32_e32 v0, s4, v0
	v_add_co_u32 v44, vcc_lo, s0, v44
	v_add_co_ci_u32_e64 v45, null, s1, v45, vcc_lo
	global_load_dword v46, v[44:45], off
	s_waitcnt vmcnt(0)
	v_mul_f32_e32 v46, v46, v47
	v_mul_f32_e32 v46, v46, v48
	global_store_dword v[44:45], v46, off
	v_lshlrev_b64 v[44:45], 2, v[0:1]
	v_add_nc_u32_e32 v0, s4, v0
	v_add_co_u32 v44, vcc_lo, s0, v44
	v_add_co_ci_u32_e64 v45, null, s1, v45, vcc_lo
	global_load_dword v46, v[44:45], off
	s_clause 0x1
	global_load_dword v47, v[4:5], off
	global_load_dword v48, v[12:13], off
	s_waitcnt vmcnt(1)
	v_mul_f32_e32 v46, v46, v47
	s_waitcnt vmcnt(0)
	v_mul_f32_e32 v46, v46, v48
	global_store_dword v[44:45], v46, off
	v_lshlrev_b64 v[44:45], 2, v[0:1]
	v_add_nc_u32_e32 v0, s4, v0
	v_add_co_u32 v44, vcc_lo, s0, v44
	v_add_co_ci_u32_e64 v45, null, s1, v45, vcc_lo
	global_load_dword v46, v[44:45], off
	s_clause 0x1
	global_load_dword v49, v[6:7], off
	global_load_dword v50, v[8:9], off
	s_waitcnt vmcnt(1)
	v_mul_f32_e32 v46, v46, v49
	s_waitcnt vmcnt(0)
	v_mul_f32_e32 v46, v46, v50
	global_store_dword v[44:45], v46, off
	v_lshlrev_b64 v[44:45], 2, v[0:1]
	v_add_nc_u32_e32 v0, s4, v0
	v_add_co_u32 v44, vcc_lo, s0, v44
	v_add_co_ci_u32_e64 v45, null, s1, v45, vcc_lo
	global_load_dword v46, v[44:45], off
	global_load_dword v51, v[16:17], off
	s_waitcnt vmcnt(0)
	v_mul_f32_e32 v46, v46, v51
	global_store_dword v[44:45], v46, off
	v_lshlrev_b64 v[44:45], 2, v[0:1]
	v_add_nc_u32_e32 v0, s4, v0
	v_add_co_u32 v44, vcc_lo, s0, v44
	v_add_co_ci_u32_e64 v45, null, s1, v45, vcc_lo
	global_load_dword v46, v[44:45], off
	s_waitcnt vmcnt(0)
	v_mul_f32_e32 v46, v46, v47
	v_mul_f32_e32 v46, v46, v50
	global_store_dword v[44:45], v46, off
	v_lshlrev_b64 v[44:45], 2, v[0:1]
	v_add_nc_u32_e32 v0, s4, v0
	v_add_co_u32 v44, vcc_lo, s0, v44
	v_add_co_ci_u32_e64 v45, null, s1, v45, vcc_lo
	global_load_dword v46, v[44:45], off
	s_waitcnt vmcnt(0)
	v_mul_f32_e32 v46, v46, v47
	;; [unrolled: 9-line block ×3, first 2 shown]
	global_load_dword v47, v[2:3], off
	s_waitcnt vmcnt(0)
	v_mul_f32_e32 v46, v46, v47
	global_store_dword v[44:45], v46, off
	v_lshlrev_b64 v[44:45], 2, v[0:1]
	v_add_nc_u32_e32 v0, s4, v0
	v_add_co_u32 v44, vcc_lo, s0, v44
	v_add_co_ci_u32_e64 v45, null, s1, v45, vcc_lo
	global_load_dword v46, v[44:45], off
	s_waitcnt vmcnt(0)
	v_mul_f32_e32 v46, v46, v49
	v_mul_f32_e32 v46, v46, v48
	global_store_dword v[44:45], v46, off
	v_lshlrev_b64 v[44:45], 2, v[0:1]
	v_add_nc_u32_e32 v0, s4, v0
	v_add_co_u32 v44, vcc_lo, s0, v44
	v_add_co_ci_u32_e64 v45, null, s1, v45, vcc_lo
	global_load_dword v46, v[44:45], off
	s_waitcnt vmcnt(0)
	v_mul_f32_e32 v46, v46, v49
	;; [unrolled: 9-line block ×3, first 2 shown]
	v_mul_f32_e32 v46, v46, v51
	global_store_dword v[44:45], v46, off
	v_lshlrev_b64 v[44:45], 2, v[0:1]
	v_add_nc_u32_e32 v0, s4, v0
	v_add_co_u32 v44, vcc_lo, s0, v44
	v_add_co_ci_u32_e64 v45, null, s1, v45, vcc_lo
	global_load_dword v46, v[44:45], off
	global_load_dword v47, v[32:33], off
	s_waitcnt vmcnt(0)
	v_mul_f32_e32 v46, v46, v47
	global_load_dword v47, v[10:11], off
	s_waitcnt vmcnt(0)
	v_mul_f32_e32 v46, v46, v47
	global_store_dword v[44:45], v46, off
	v_lshlrev_b64 v[44:45], 2, v[0:1]
	v_add_nc_u32_e32 v0, s4, v0
	v_add_co_u32 v44, vcc_lo, s0, v44
	v_add_co_ci_u32_e64 v45, null, s1, v45, vcc_lo
	global_load_dword v46, v[44:45], off
	s_waitcnt vmcnt(0)
	v_mul_f32_e32 v46, v46, v49
	v_mul_f32_e32 v46, v49, v46
	global_store_dword v[44:45], v46, off
	v_lshlrev_b64 v[44:45], 2, v[0:1]
	v_add_nc_u32_e32 v0, s4, v0
	v_add_co_u32 v44, vcc_lo, s0, v44
	v_add_co_ci_u32_e64 v45, null, s1, v45, vcc_lo
	global_load_dword v46, v[44:45], off
	s_waitcnt vmcnt(0)
	v_mul_f32_e32 v46, v46, v49
	v_mul_f32_e32 v46, v49, v46
	global_store_dword v[44:45], v46, off
	v_lshlrev_b64 v[44:45], 2, v[0:1]
	v_add_nc_u32_e32 v0, s4, v0
	v_add_co_u32 v44, vcc_lo, s0, v44
	v_add_co_ci_u32_e64 v45, null, s1, v45, vcc_lo
	global_load_dword v46, v[44:45], off
	global_load_dword v48, v[22:23], off
	s_waitcnt vmcnt(0)
	v_mul_f32_e32 v46, v46, v48
	global_store_dword v[44:45], v46, off
	v_lshlrev_b64 v[44:45], 2, v[0:1]
	v_add_nc_u32_e32 v0, s4, v0
	v_add_co_u32 v44, vcc_lo, s0, v44
	v_add_co_ci_u32_e64 v45, null, s1, v45, vcc_lo
	global_load_dword v46, v[44:45], off
	s_waitcnt vmcnt(0)
	v_mul_f32_e32 v46, v46, v47
	v_mul_f32_e32 v46, v46, v48
	;; [unrolled: 1-line block ×3, first 2 shown]
	global_store_dword v[44:45], v46, off
	v_lshlrev_b64 v[44:45], 2, v[0:1]
	v_add_nc_u32_e32 v0, s4, v0
	v_add_co_u32 v44, vcc_lo, s0, v44
	v_add_co_ci_u32_e64 v45, null, s1, v45, vcc_lo
	global_load_dword v46, v[44:45], off
	s_waitcnt vmcnt(0)
	v_mul_f32_e32 v46, v46, v50
	v_mul_f32_e32 v46, v46, v48
	;; [unrolled: 1-line block ×3, first 2 shown]
	global_store_dword v[44:45], v46, off
	v_lshlrev_b64 v[44:45], 2, v[0:1]
	v_add_nc_u32_e32 v0, s4, v0
	v_add_co_u32 v44, vcc_lo, s0, v44
	v_add_co_ci_u32_e64 v45, null, s1, v45, vcc_lo
	global_load_dword v46, v[44:45], off
	global_load_dword v49, v[42:43], off
	s_waitcnt vmcnt(0)
	v_mul_f32_e32 v46, v46, v49
	v_mul_f32_e32 v46, v46, v48
	global_store_dword v[44:45], v46, off
	v_lshlrev_b64 v[44:45], 2, v[0:1]
	v_add_nc_u32_e32 v0, s4, v0
	v_add_co_u32 v44, vcc_lo, s0, v44
	v_add_co_ci_u32_e64 v45, null, s1, v45, vcc_lo
	global_load_dword v46, v[44:45], off
	s_waitcnt vmcnt(0)
	v_mul_f32_e32 v46, v46, v48
	global_store_dword v[44:45], v46, off
	v_lshlrev_b64 v[44:45], 2, v[0:1]
	v_add_nc_u32_e32 v0, s5, v0
	v_add_co_u32 v44, vcc_lo, s0, v44
	v_add_co_ci_u32_e64 v45, null, s1, v45, vcc_lo
	global_load_dword v46, v[44:45], off
	s_waitcnt vmcnt(0)
	v_mul_f32_e32 v46, v46, v49
	v_mul_f32_e32 v46, v46, v48
	;; [unrolled: 1-line block ×3, first 2 shown]
	global_store_dword v[44:45], v46, off
	v_lshlrev_b64 v[44:45], 2, v[0:1]
	v_add_nc_u32_e32 v0, s4, v0
	v_add_co_u32 v44, vcc_lo, s0, v44
	v_add_co_ci_u32_e64 v45, null, s1, v45, vcc_lo
	global_load_dword v46, v[44:45], off
	s_waitcnt vmcnt(0)
	v_mul_f32_e32 v46, v46, v49
	v_mul_f32_e32 v46, v46, v47
	global_store_dword v[44:45], v46, off
	v_lshlrev_b64 v[44:45], 2, v[0:1]
	v_add_nc_u32_e32 v0, s4, v0
	v_add_co_u32 v44, vcc_lo, s0, v44
	v_add_co_ci_u32_e64 v45, null, s1, v45, vcc_lo
	global_load_dword v46, v[44:45], off
	global_load_dword v50, v[40:41], off
	s_waitcnt vmcnt(0)
	v_mul_f32_e32 v40, v46, v50
	v_mul_f32_e32 v40, v40, v47
	global_store_dword v[44:45], v40, off
	v_lshlrev_b64 v[40:41], 2, v[0:1]
	v_add_nc_u32_e32 v0, s4, v0
	v_add_co_u32 v40, vcc_lo, s0, v40
	v_add_co_ci_u32_e64 v41, null, s1, v41, vcc_lo
	global_load_dword v44, v[40:41], off
	s_waitcnt vmcnt(0)
	v_mul_f32_e32 v44, v44, v48
	global_store_dword v[40:41], v44, off
	v_lshlrev_b64 v[40:41], 2, v[0:1]
	v_add_nc_u32_e32 v0, s4, v0
	v_add_co_u32 v40, vcc_lo, s0, v40
	v_add_co_ci_u32_e64 v41, null, s1, v41, vcc_lo
	global_load_dword v44, v[40:41], off
	global_load_dword v45, v[20:21], off
	s_waitcnt vmcnt(0)
	v_mul_f32_e32 v44, v44, v45
	v_mul_f32_e32 v44, v44, v47
	global_store_dword v[40:41], v44, off
	v_lshlrev_b64 v[40:41], 2, v[0:1]
	v_add_nc_u32_e32 v0, s4, v0
	v_add_co_u32 v40, vcc_lo, s0, v40
	v_add_co_ci_u32_e64 v41, null, s1, v41, vcc_lo
	global_load_dword v44, v[40:41], off
	global_load_dword v46, v[6:7], off
	s_waitcnt vmcnt(0)
	v_mul_f32_e32 v44, v44, v46
	v_mul_f32_e32 v44, v44, v48
	global_store_dword v[40:41], v44, off
	v_lshlrev_b64 v[40:41], 2, v[0:1]
	v_add_nc_u32_e32 v0, s5, v0
	v_add_co_u32 v40, vcc_lo, s0, v40
	v_add_co_ci_u32_e64 v41, null, s1, v41, vcc_lo
	global_load_dword v44, v[40:41], off
	s_waitcnt vmcnt(0)
	v_mul_f32_e32 v44, v44, v48
	global_store_dword v[40:41], v44, off
	v_lshlrev_b64 v[40:41], 2, v[0:1]
	v_add_nc_u32_e32 v0, s4, v0
	v_add_co_u32 v40, vcc_lo, s0, v40
	v_add_co_ci_u32_e64 v41, null, s1, v41, vcc_lo
	global_load_dword v44, v[40:41], off
	s_waitcnt vmcnt(0)
	v_mul_f32_e32 v44, v44, v49
	v_mul_f32_e32 v44, v44, v47
	global_store_dword v[40:41], v44, off
	v_lshlrev_b64 v[40:41], 2, v[0:1]
	v_add_nc_u32_e32 v0, s4, v0
	v_add_co_u32 v40, vcc_lo, s0, v40
	v_add_co_ci_u32_e64 v41, null, s1, v41, vcc_lo
	global_load_dword v44, v[40:41], off
	s_waitcnt vmcnt(0)
	v_mul_f32_e32 v44, v44, v48
	global_store_dword v[40:41], v44, off
	v_lshlrev_b64 v[40:41], 2, v[0:1]
	v_add_nc_u32_e32 v0, s4, v0
	v_add_co_u32 v40, vcc_lo, s0, v40
	v_add_co_ci_u32_e64 v41, null, s1, v41, vcc_lo
	global_load_dword v44, v[40:41], off
	s_waitcnt vmcnt(0)
	v_mul_f32_e32 v44, v44, v45
	v_mul_f32_e32 v44, v44, v47
	global_store_dword v[40:41], v44, off
	v_lshlrev_b64 v[40:41], 2, v[0:1]
	v_add_nc_u32_e32 v0, s5, v0
	v_add_co_u32 v40, vcc_lo, s0, v40
	v_add_co_ci_u32_e64 v41, null, s1, v41, vcc_lo
	global_load_dword v44, v[40:41], off
	global_load_dword v45, v[34:35], off
	s_waitcnt vmcnt(0)
	v_mul_f32_e32 v34, v44, v45
	global_store_dword v[40:41], v34, off
	v_lshlrev_b64 v[34:35], 2, v[0:1]
	global_load_dword v41, v[12:13], off
	v_add_nc_u32_e32 v0, s4, v0
	v_add_co_u32 v34, vcc_lo, s0, v34
	v_add_co_ci_u32_e64 v35, null, s1, v35, vcc_lo
	global_load_dword v40, v[34:35], off
	s_waitcnt vmcnt(0)
	v_mul_f32_e32 v40, v40, v50
	v_mul_f32_e32 v40, v40, v41
	global_store_dword v[34:35], v40, off
	v_lshlrev_b64 v[34:35], 2, v[0:1]
	v_add_nc_u32_e32 v0, s4, v0
	v_add_co_u32 v34, vcc_lo, s0, v34
	v_add_co_ci_u32_e64 v35, null, s1, v35, vcc_lo
	global_load_dword v40, v[34:35], off
	s_waitcnt vmcnt(0)
	v_mul_f32_e32 v40, v40, v46
	global_load_dword v46, v[16:17], off
	v_mul_f32_e32 v40, v40, v48
	global_store_dword v[34:35], v40, off
	v_lshlrev_b64 v[34:35], 2, v[0:1]
	v_add_nc_u32_e32 v0, s4, v0
	v_add_co_u32 v34, vcc_lo, s0, v34
	v_add_co_ci_u32_e64 v35, null, s1, v35, vcc_lo
	global_load_dword v40, v[34:35], off
	s_waitcnt vmcnt(0)
	v_mul_f32_e32 v44, v40, v50
	global_load_dword v40, v[8:9], off
	s_waitcnt vmcnt(0)
	v_mul_f32_e32 v44, v44, v40
	global_store_dword v[34:35], v44, off
	v_lshlrev_b64 v[34:35], 2, v[0:1]
	v_add_nc_u32_e32 v0, s4, v0
	v_add_co_u32 v34, vcc_lo, s0, v34
	v_add_co_ci_u32_e64 v35, null, s1, v35, vcc_lo
	global_load_dword v44, v[34:35], off
	s_waitcnt vmcnt(0)
	v_mul_f32_e32 v44, v44, v45
	global_store_dword v[34:35], v44, off
	v_lshlrev_b64 v[34:35], 2, v[0:1]
	v_add_nc_u32_e32 v0, s4, v0
	v_add_co_u32 v34, vcc_lo, s0, v34
	v_add_co_ci_u32_e64 v35, null, s1, v35, vcc_lo
	global_load_dword v44, v[34:35], off
	s_waitcnt vmcnt(0)
	v_mul_f32_e32 v44, v44, v50
	v_mul_f32_e32 v44, v44, v46
	global_store_dword v[34:35], v44, off
	v_lshlrev_b64 v[34:35], 2, v[0:1]
	v_add_nc_u32_e32 v0, s4, v0
	v_add_co_u32 v34, vcc_lo, s0, v34
	v_add_co_ci_u32_e64 v35, null, s1, v35, vcc_lo
	global_load_dword v45, v[34:35], off
	global_load_dword v44, v[32:33], off
	s_waitcnt vmcnt(0)
	v_mul_f32_e32 v45, v45, v44
	global_store_dword v[34:35], v45, off
	v_lshlrev_b64 v[34:35], 2, v[0:1]
	v_add_nc_u32_e32 v0, s4, v0
	v_add_co_u32 v34, vcc_lo, s0, v34
	v_add_co_ci_u32_e64 v35, null, s1, v35, vcc_lo
	global_load_dword v47, v[34:35], off
	global_load_dword v45, v[42:43], off
	s_waitcnt vmcnt(0)
	v_mul_f32_e32 v42, v47, v45
	v_mul_f32_e32 v42, v42, v41
	global_store_dword v[34:35], v42, off
	v_lshlrev_b64 v[34:35], 2, v[0:1]
	v_add_nc_u32_e32 v0, s4, v0
	v_add_co_u32 v34, vcc_lo, s0, v34
	v_add_co_ci_u32_e64 v35, null, s1, v35, vcc_lo
	global_load_dword v42, v[34:35], off
	s_waitcnt vmcnt(0)
	v_mul_f32_e32 v41, v42, v41
	global_store_dword v[34:35], v41, off
	v_lshlrev_b64 v[34:35], 2, v[0:1]
	v_add_nc_u32_e32 v0, s4, v0
	v_add_co_u32 v34, vcc_lo, s0, v34
	v_add_co_ci_u32_e64 v35, null, s1, v35, vcc_lo
	global_load_dword v41, v[34:35], off
	global_load_dword v42, v[20:21], off
	s_waitcnt vmcnt(0)
	v_mul_f32_e32 v41, v41, v42
	global_load_dword v42, v[10:11], off
	s_waitcnt vmcnt(0)
	v_mul_f32_e32 v41, v41, v42
	global_store_dword v[34:35], v41, off
	v_lshlrev_b64 v[34:35], 2, v[0:1]
	v_add_nc_u32_e32 v0, s4, v0
	v_add_co_u32 v34, vcc_lo, s0, v34
	v_add_co_ci_u32_e64 v35, null, s1, v35, vcc_lo
	global_load_dword v43, v[34:35], off
	global_load_dword v41, v[6:7], off
	s_waitcnt vmcnt(0)
	v_mul_f32_e32 v47, v43, v41
	global_load_dword v43, v[22:23], off
	s_waitcnt vmcnt(0)
	v_mul_f32_e32 v47, v47, v43
	global_store_dword v[34:35], v47, off
	v_lshlrev_b64 v[34:35], 2, v[0:1]
	v_add_nc_u32_e32 v0, s4, v0
	v_add_co_u32 v34, vcc_lo, s0, v34
	v_add_co_ci_u32_e64 v35, null, s1, v35, vcc_lo
	global_load_dword v47, v[34:35], off
	s_waitcnt vmcnt(0)
	v_mul_f32_e32 v47, v47, v45
	v_mul_f32_e32 v46, v47, v46
	global_store_dword v[34:35], v46, off
	v_lshlrev_b64 v[34:35], 2, v[0:1]
	v_add_nc_u32_e32 v0, s4, v0
	v_add_co_u32 v34, vcc_lo, s0, v34
	v_add_co_ci_u32_e64 v35, null, s1, v35, vcc_lo
	global_load_dword v46, v[34:35], off
	s_waitcnt vmcnt(0)
	v_mul_f32_e32 v47, v46, v45
	global_load_dword v46, v[2:3], off
	s_waitcnt vmcnt(0)
	v_mul_f32_e32 v47, v47, v46
	global_store_dword v[34:35], v47, off
	v_lshlrev_b64 v[34:35], 2, v[0:1]
	v_add_nc_u32_e32 v0, s4, v0
	v_add_co_u32 v34, vcc_lo, s0, v34
	v_add_co_ci_u32_e64 v35, null, s1, v35, vcc_lo
	global_load_dword v47, v[34:35], off
	global_load_dword v24, v[24:25], off
	s_waitcnt vmcnt(0)
	v_mul_f32_e32 v24, v47, v24
	global_store_dword v[34:35], v24, off
	v_lshlrev_b64 v[24:25], 2, v[0:1]
	v_add_nc_u32_e32 v0, s4, v0
	v_add_co_u32 v24, vcc_lo, s0, v24
	v_add_co_ci_u32_e64 v25, null, s1, v25, vcc_lo
	global_load_dword v34, v[24:25], off
	global_load_dword v35, v[4:5], off
	s_waitcnt vmcnt(0)
	v_mul_f32_e32 v34, v34, v35
	global_load_dword v35, v[26:27], off
	global_store_dword v[24:25], v34, off
	v_lshlrev_b64 v[24:25], 2, v[0:1]
	v_add_nc_u32_e32 v0, s4, v0
	v_add_co_u32 v24, vcc_lo, s0, v24
	v_add_co_ci_u32_e64 v25, null, s1, v25, vcc_lo
	global_load_dword v34, v[24:25], off
	s_waitcnt vmcnt(0)
	v_mul_f32_e32 v34, v34, v40
	global_store_dword v[24:25], v34, off
	v_lshlrev_b64 v[24:25], 2, v[0:1]
	v_add_nc_u32_e32 v0, s4, v0
	v_add_co_u32 v24, vcc_lo, s0, v24
	v_add_co_ci_u32_e64 v25, null, s1, v25, vcc_lo
	global_load_dword v34, v[24:25], off
	s_waitcnt vmcnt(0)
	v_mul_f32_e32 v34, v34, v44
	v_mul_f32_e32 v34, v34, v46
	global_store_dword v[24:25], v34, off
	v_lshlrev_b64 v[24:25], 2, v[0:1]
	v_add_nc_u32_e32 v0, s4, v0
	v_add_co_u32 v24, vcc_lo, s0, v24
	v_add_co_ci_u32_e64 v25, null, s1, v25, vcc_lo
	global_load_dword v34, v[24:25], off
	s_waitcnt vmcnt(0)
	v_mul_f32_e32 v34, v34, v44
	;; [unrolled: 9-line block ×3, first 2 shown]
	v_mul_f32_e32 v34, v34, v35
	global_store_dword v[24:25], v34, off
	v_lshlrev_b64 v[24:25], 2, v[0:1]
	v_add_nc_u32_e32 v0, s4, v0
	v_add_co_u32 v24, vcc_lo, s0, v24
	v_add_co_ci_u32_e64 v25, null, s1, v25, vcc_lo
	v_add_co_u32 v30, vcc_lo, s2, v30
	v_add_co_ci_u32_e64 v31, null, s3, v31, vcc_lo
	global_load_dword v34, v[24:25], off
	global_load_dword v35, v[30:31], off
	s_waitcnt vmcnt(0)
	v_mul_f32_e32 v34, v34, v35
	global_store_dword v[24:25], v34, off
	v_lshlrev_b64 v[24:25], 2, v[0:1]
	v_add_nc_u32_e32 v0, s4, v0
	v_add_co_u32 v34, vcc_lo, s0, v24
	v_add_co_ci_u32_e64 v35, null, s1, v25, vcc_lo
	v_add_co_u32 v24, vcc_lo, s2, v28
	v_add_co_ci_u32_e64 v25, null, s3, v29, vcc_lo
	global_load_dword v44, v[34:35], off
	global_load_dword v28, v[24:25], off
	s_waitcnt vmcnt(0)
	v_mul_f32_e32 v28, v44, v28
	v_mul_f32_e32 v28, v28, v42
	global_store_dword v[34:35], v28, off
	v_lshlrev_b64 v[28:29], 2, v[0:1]
	v_add_nc_u32_e32 v0, s4, v0
	v_add_co_u32 v28, vcc_lo, s0, v28
	v_add_co_ci_u32_e64 v29, null, s1, v29, vcc_lo
	global_load_dword v34, v[28:29], off
	s_waitcnt vmcnt(0)
	v_mul_f32_e32 v34, v34, v41
	v_mul_f32_e32 v34, v34, v43
	global_store_dword v[28:29], v34, off
	v_lshlrev_b64 v[28:29], 2, v[0:1]
	v_add_nc_u32_e32 v0, s4, v0
	v_add_co_u32 v28, vcc_lo, s0, v28
	v_add_co_ci_u32_e64 v29, null, s1, v29, vcc_lo
	global_load_dword v35, v[28:29], off
	global_load_dword v34, v[38:39], off
	s_waitcnt vmcnt(0)
	v_mul_f32_e32 v35, v35, v34
	global_store_dword v[28:29], v35, off
	v_lshlrev_b64 v[28:29], 2, v[0:1]
	v_add_nc_u32_e32 v0, s4, v0
	v_add_co_u32 v28, vcc_lo, s0, v28
	v_add_co_ci_u32_e64 v29, null, s1, v29, vcc_lo
	global_load_dword v35, v[28:29], off
	s_waitcnt vmcnt(0)
	v_mul_f32_e32 v35, v35, v41
	global_store_dword v[28:29], v35, off
	v_lshlrev_b64 v[28:29], 2, v[0:1]
	v_add_nc_u32_e32 v0, s4, v0
	v_add_co_u32 v28, vcc_lo, s0, v28
	v_add_co_ci_u32_e64 v29, null, s1, v29, vcc_lo
	global_load_dword v35, v[28:29], off
	s_clause 0x1
	global_load_dword v38, v[20:21], off
	global_load_dword v39, v[12:13], off
	s_waitcnt vmcnt(1)
	v_mul_f32_e32 v35, v35, v38
	s_waitcnt vmcnt(0)
	v_mul_f32_e32 v35, v35, v39
	global_store_dword v[28:29], v35, off
	v_lshlrev_b64 v[28:29], 2, v[0:1]
	v_add_nc_u32_e32 v0, s4, v0
	v_add_co_u32 v28, vcc_lo, s0, v28
	v_add_co_ci_u32_e64 v29, null, s1, v29, vcc_lo
	global_load_dword v35, v[28:29], off
	s_waitcnt vmcnt(0)
	v_mul_f32_e32 v35, v35, v38
	v_mul_f32_e32 v35, v35, v40
	global_load_dword v40, v[16:17], off
	global_store_dword v[28:29], v35, off
	v_lshlrev_b64 v[28:29], 2, v[0:1]
	v_add_nc_u32_e32 v0, s4, v0
	v_add_co_u32 v28, vcc_lo, s0, v28
	v_add_co_ci_u32_e64 v29, null, s1, v29, vcc_lo
	global_load_dword v35, v[28:29], off
	s_waitcnt vmcnt(0)
	v_mul_f32_e32 v35, v35, v38
	v_mul_f32_e32 v35, v35, v40
	global_store_dword v[28:29], v35, off
	v_lshlrev_b64 v[28:29], 2, v[0:1]
	v_add_nc_u32_e32 v0, s4, v0
	v_add_co_u32 v28, vcc_lo, s0, v28
	v_add_co_ci_u32_e64 v29, null, s1, v29, vcc_lo
	global_load_dword v35, v[28:29], off
	s_waitcnt vmcnt(0)
	v_mul_f32_e32 v35, v35, v38
	global_load_dword v38, v[2:3], off
	s_waitcnt vmcnt(0)
	v_mul_f32_e32 v35, v35, v38
	global_store_dword v[28:29], v35, off
	v_lshlrev_b64 v[28:29], 2, v[0:1]
	v_add_nc_u32_e32 v0, s4, v0
	v_add_co_u32 v28, vcc_lo, s0, v28
	v_add_co_ci_u32_e64 v29, null, s1, v29, vcc_lo
	global_load_dword v35, v[28:29], off
	s_clause 0x2
	global_load_dword v42, v[4:5], off
	global_load_dword v43, v[22:23], off
	;; [unrolled: 1-line block ×3, first 2 shown]
	s_waitcnt vmcnt(2)
	v_mul_f32_e32 v35, v35, v42
	s_waitcnt vmcnt(1)
	v_mul_f32_e32 v35, v35, v43
	;; [unrolled: 2-line block ×3, first 2 shown]
	global_store_dword v[28:29], v35, off
	v_lshlrev_b64 v[28:29], 2, v[0:1]
	v_add_nc_u32_e32 v0, s5, v0
	v_add_co_u32 v28, vcc_lo, s0, v28
	v_add_co_ci_u32_e64 v29, null, s1, v29, vcc_lo
	global_load_dword v35, v[28:29], off
	s_waitcnt vmcnt(0)
	v_mul_f32_e32 v35, v35, v39
	global_store_dword v[28:29], v35, off
	v_lshlrev_b64 v[28:29], 2, v[0:1]
	v_add_nc_u32_e32 v0, s4, v0
	v_add_co_u32 v28, vcc_lo, s0, v28
	v_add_co_ci_u32_e64 v29, null, s1, v29, vcc_lo
	global_load_dword v35, v[28:29], off
	s_waitcnt vmcnt(0)
	v_mul_f32_e32 v35, v35, v39
	;; [unrolled: 8-line block ×8, first 2 shown]
	v_mul_f32_e32 v35, v35, v44
	global_store_dword v[28:29], v35, off
	v_lshlrev_b64 v[28:29], 2, v[0:1]
	v_add_nc_u32_e32 v0, s4, v0
	v_add_co_u32 v28, vcc_lo, s0, v28
	v_add_co_ci_u32_e64 v29, null, s1, v29, vcc_lo
	global_load_dword v35, v[28:29], off
	s_waitcnt vmcnt(0)
	v_mul_f32_e32 v35, v35, v43
	global_store_dword v[28:29], v35, off
	v_lshlrev_b64 v[28:29], 2, v[0:1]
	v_add_nc_u32_e32 v0, s4, v0
	v_add_co_u32 v28, vcc_lo, s0, v28
	v_add_co_ci_u32_e64 v29, null, s1, v29, vcc_lo
	global_load_dword v38, v[28:29], off
	s_clause 0x1
	global_load_dword v35, v[24:25], off
	global_load_dword v39, v[10:11], off
	s_waitcnt vmcnt(1)
	v_mul_f32_e32 v38, v38, v35
	s_waitcnt vmcnt(0)
	v_mul_f32_e32 v38, v38, v39
	global_store_dword v[28:29], v38, off
	v_lshlrev_b64 v[28:29], 2, v[0:1]
	v_add_nc_u32_e32 v0, s4, v0
	v_add_co_u32 v28, vcc_lo, s0, v28
	v_add_co_ci_u32_e64 v29, null, s1, v29, vcc_lo
	global_load_dword v38, v[28:29], off
	global_load_dword v40, v[26:27], off
	s_waitcnt vmcnt(0)
	v_mul_f32_e32 v38, v38, v40
	global_store_dword v[28:29], v38, off
	v_lshlrev_b64 v[28:29], 2, v[0:1]
	v_add_nc_u32_e32 v0, s4, v0
	v_add_co_u32 v28, vcc_lo, s0, v28
	v_add_co_ci_u32_e64 v29, null, s1, v29, vcc_lo
	global_load_dword v38, v[28:29], off
	s_waitcnt vmcnt(0)
	v_mul_f32_e32 v35, v38, v35
	v_mul_f32_e32 v35, v35, v39
	global_store_dword v[28:29], v35, off
	v_lshlrev_b64 v[28:29], 2, v[0:1]
	v_add_nc_u32_e32 v0, s5, v0
	v_add_co_u32 v28, vcc_lo, s0, v28
	v_add_co_ci_u32_e64 v29, null, s1, v29, vcc_lo
	global_load_dword v35, v[28:29], off
	s_waitcnt vmcnt(0)
	v_mul_f32_e32 v35, v35, v40
	global_store_dword v[28:29], v35, off
	v_lshlrev_b64 v[28:29], 2, v[0:1]
	v_add_nc_u32_e32 v0, s4, v0
	v_add_co_u32 v28, vcc_lo, s0, v28
	v_add_co_ci_u32_e64 v29, null, s1, v29, vcc_lo
	global_load_dword v35, v[28:29], off
	global_load_dword v37, v[36:37], off
	s_waitcnt vmcnt(0)
	v_mul_f32_e32 v35, v35, v37
	global_store_dword v[28:29], v35, off
	v_lshlrev_b64 v[28:29], 2, v[0:1]
	v_add_nc_u32_e32 v0, s4, v0
	v_add_co_u32 v28, vcc_lo, s0, v28
	v_add_co_ci_u32_e64 v29, null, s1, v29, vcc_lo
	global_load_dword v35, v[28:29], off
	s_clause 0x1
	global_load_dword v38, v[32:33], off
	global_load_dword v40, v[12:13], off
	s_waitcnt vmcnt(1)
	v_mul_f32_e32 v35, v35, v38
	s_waitcnt vmcnt(0)
	v_mul_f32_e32 v35, v35, v40
	global_store_dword v[28:29], v35, off
	v_lshlrev_b64 v[28:29], 2, v[0:1]
	v_add_nc_u32_e32 v0, s4, v0
	v_add_co_u32 v35, vcc_lo, s0, v28
	v_add_co_ci_u32_e64 v36, null, s1, v29, vcc_lo
	global_load_dword v29, v[35:36], off
	s_clause 0x3
	global_load_dword v28, v[6:7], off
	global_load_dword v41, v[4:5], off
	;; [unrolled: 1-line block ×4, first 2 shown]
	s_waitcnt vmcnt(3)
	v_mul_f32_e32 v29, v29, v28
	s_waitcnt vmcnt(2)
	v_mul_f32_e32 v29, v29, v41
	global_store_dword v[35:36], v29, off
	v_lshlrev_b64 v[35:36], 2, v[0:1]
	v_add_nc_u32_e32 v0, s4, v0
	v_add_co_u32 v35, vcc_lo, s0, v35
	v_add_co_ci_u32_e64 v36, null, s1, v36, vcc_lo
	global_load_dword v29, v[35:36], off
	s_waitcnt vmcnt(0)
	v_mul_f32_e32 v29, v29, v34
	v_mul_f32_e32 v29, v29, v39
	global_store_dword v[35:36], v29, off
	v_lshlrev_b64 v[34:35], 2, v[0:1]
	global_load_dword v36, v[2:3], off
	v_add_nc_u32_e32 v0, s4, v0
	v_add_co_u32 v34, vcc_lo, s0, v34
	v_add_co_ci_u32_e64 v35, null, s1, v35, vcc_lo
	global_load_dword v29, v[34:35], off
	s_waitcnt vmcnt(0)
	v_mul_f32_e32 v29, v29, v38
	v_mul_f32_e32 v29, v29, v36
	global_store_dword v[34:35], v29, off
	v_lshlrev_b64 v[34:35], 2, v[0:1]
	v_add_nc_u32_e32 v0, s4, v0
	v_add_co_u32 v34, vcc_lo, s0, v34
	v_add_co_ci_u32_e64 v35, null, s1, v35, vcc_lo
	global_load_dword v29, v[34:35], off
	s_waitcnt vmcnt(0)
	v_mul_f32_e32 v29, v29, v37
	v_mul_f32_e32 v19, v29, v18
	global_load_dword v29, v[14:15], off
	global_store_dword v[34:35], v19, off
	v_lshlrev_b64 v[34:35], 2, v[0:1]
	v_add_nc_u32_e32 v0, s4, v0
	v_add_co_u32 v34, vcc_lo, s0, v34
	v_add_co_ci_u32_e64 v35, null, s1, v35, vcc_lo
	global_load_dword v19, v[34:35], off
	s_waitcnt vmcnt(0)
	v_mul_f32_e32 v19, v19, v38
	v_mul_f32_e32 v19, v19, v29
	global_store_dword v[34:35], v19, off
	v_lshlrev_b64 v[34:35], 2, v[0:1]
	v_add_nc_u32_e32 v0, s4, v0
	v_add_co_u32 v34, vcc_lo, s0, v34
	v_add_co_ci_u32_e64 v35, null, s1, v35, vcc_lo
	global_load_dword v19, v[34:35], off
	s_waitcnt vmcnt(0)
	v_mul_f32_e32 v19, v19, v28
	v_mul_f32_e32 v29, v19, v41
	global_load_dword v19, v[8:9], off
	s_waitcnt vmcnt(0)
	v_mul_f32_e32 v29, v29, v19
	global_store_dword v[34:35], v29, off
	v_lshlrev_b64 v[34:35], 2, v[0:1]
	v_add_nc_u32_e32 v0, s4, v0
	v_add_co_u32 v34, vcc_lo, s0, v34
	v_add_co_ci_u32_e64 v35, null, s1, v35, vcc_lo
	global_load_dword v29, v[34:35], off
	s_waitcnt vmcnt(0)
	v_mul_f32_e32 v29, v29, v37
	v_mul_f32_e32 v29, v29, v36
	global_store_dword v[34:35], v29, off
	v_lshlrev_b64 v[34:35], 2, v[0:1]
	v_add_nc_u32_e32 v0, s4, v0
	v_add_co_u32 v34, vcc_lo, s0, v34
	v_add_co_ci_u32_e64 v35, null, s1, v35, vcc_lo
	global_load_dword v29, v[34:35], off
	s_waitcnt vmcnt(0)
	v_mul_f32_e32 v29, v29, v37
	v_mul_f32_e32 v23, v29, v22
	global_store_dword v[34:35], v23, off
	v_lshlrev_b64 v[34:35], 2, v[0:1]
	v_add_nc_u32_e32 v0, s4, v0
	v_add_co_u32 v34, vcc_lo, s0, v34
	v_add_co_ci_u32_e64 v35, null, s1, v35, vcc_lo
	global_load_dword v23, v[34:35], off
	s_waitcnt vmcnt(0)
	v_mul_f32_e32 v23, v23, v40
	global_store_dword v[34:35], v23, off
	v_lshlrev_b64 v[34:35], 2, v[0:1]
	v_add_nc_u32_e32 v0, s4, v0
	v_add_co_u32 v34, vcc_lo, s0, v34
	v_add_co_ci_u32_e64 v35, null, s1, v35, vcc_lo
	global_load_dword v23, v[34:35], off
	s_waitcnt vmcnt(0)
	v_mul_f32_e32 v23, v23, v19
	global_store_dword v[34:35], v23, off
	v_lshlrev_b64 v[34:35], 2, v[0:1]
	v_add_nc_u32_e32 v0, s4, v0
	v_add_co_u32 v34, vcc_lo, s0, v34
	v_add_co_ci_u32_e64 v35, null, s1, v35, vcc_lo
	global_load_dword v23, v[34:35], off
	global_load_dword v36, v[16:17], off
	s_waitcnt vmcnt(0)
	v_mul_f32_e32 v16, v23, v36
	global_store_dword v[34:35], v16, off
	v_lshlrev_b64 v[16:17], 2, v[0:1]
	v_add_nc_u32_e32 v0, s4, v0
	v_add_co_u32 v16, vcc_lo, s0, v16
	v_add_co_ci_u32_e64 v17, null, s1, v17, vcc_lo
	global_load_dword v23, v[16:17], off
	s_waitcnt vmcnt(0)
	v_mul_f32_e32 v23, v23, v28
	global_store_dword v[16:17], v23, off
	v_lshlrev_b64 v[16:17], 2, v[0:1]
	v_add_nc_u32_e32 v0, s4, v0
	v_add_co_u32 v28, vcc_lo, s0, v16
	v_add_co_ci_u32_e64 v29, null, s1, v17, vcc_lo
	global_load_dword v17, v[28:29], off
	global_load_dword v16, v[26:27], off
	v_lshlrev_b64 v[26:27], 2, v[0:1]
	v_add_nc_u32_e32 v0, s4, v0
	v_add_co_u32 v26, vcc_lo, s0, v26
	v_add_co_ci_u32_e64 v27, null, s1, v27, vcc_lo
	s_waitcnt vmcnt(0)
	v_mul_f32_e32 v17, v17, v16
	global_store_dword v[28:29], v17, off
	global_load_dword v23, v[26:27], off
	s_clause 0x1
	global_load_dword v17, v[30:31], off
	global_load_dword v28, v[4:5], off
	s_waitcnt vmcnt(1)
	v_mul_f32_e32 v23, v23, v17
	global_store_dword v[26:27], v23, off
	v_lshlrev_b64 v[26:27], 2, v[0:1]
	v_add_nc_u32_e32 v0, s4, v0
	v_add_co_u32 v26, vcc_lo, s0, v26
	v_add_co_ci_u32_e64 v27, null, s1, v27, vcc_lo
	global_load_dword v23, v[26:27], off
	s_waitcnt vmcnt(0)
	v_mul_f32_e32 v23, v23, v16
	global_store_dword v[26:27], v23, off
	v_lshlrev_b64 v[26:27], 2, v[0:1]
	v_add_nc_u32_e32 v0, s4, v0
	v_add_co_u32 v26, vcc_lo, s0, v26
	v_add_co_ci_u32_e64 v27, null, s1, v27, vcc_lo
	global_load_dword v23, v[26:27], off
	s_waitcnt vmcnt(0)
	v_mul_f32_e32 v23, v23, v17
	v_mul_f32_e32 v18, v23, v18
	global_store_dword v[26:27], v18, off
	v_lshlrev_b64 v[26:27], 2, v[0:1]
	v_add_nc_u32_e32 v0, s4, v0
	v_add_co_u32 v26, vcc_lo, s0, v26
	v_add_co_ci_u32_e64 v27, null, s1, v27, vcc_lo
	global_load_dword v18, v[26:27], off
	s_waitcnt vmcnt(0)
	v_mul_f32_e32 v18, v18, v19
	;; [unrolled: 9-line block ×3, first 2 shown]
	v_mul_f32_e32 v22, v23, v22
	global_store_dword v[18:19], v22, off
	v_lshlrev_b64 v[18:19], 2, v[0:1]
	v_add_nc_u32_e32 v0, s4, v0
	v_add_co_u32 v18, vcc_lo, s0, v18
	v_add_co_ci_u32_e64 v19, null, s1, v19, vcc_lo
	global_load_dword v22, v[18:19], off
	s_clause 0x1
	global_load_dword v23, v[32:33], off
	global_load_dword v26, v[6:7], off
	s_waitcnt vmcnt(1)
	v_mul_f32_e32 v22, v22, v23
	s_waitcnt vmcnt(0)
	v_mul_f32_e32 v22, v22, v26
	global_store_dword v[18:19], v22, off
	v_lshlrev_b64 v[18:19], 2, v[0:1]
	v_add_nc_u32_e32 v0, s4, v0
	v_add_co_u32 v22, vcc_lo, s0, v18
	v_add_co_ci_u32_e64 v23, null, s1, v19, vcc_lo
	global_load_dword v19, v[22:23], off
	s_clause 0x1
	global_load_dword v18, v[24:25], off
	global_load_dword v24, v[12:13], off
	s_waitcnt vmcnt(1)
	v_mul_f32_e32 v19, v19, v18
	s_waitcnt vmcnt(0)
	v_mul_f32_e32 v12, v19, v24
	global_store_dword v[22:23], v12, off
	v_lshlrev_b64 v[12:13], 2, v[0:1]
	v_add_nc_u32_e32 v0, s5, v0
	v_add_co_u32 v12, vcc_lo, s0, v12
	v_add_co_ci_u32_e64 v13, null, s1, v13, vcc_lo
	global_load_dword v19, v[12:13], off
	s_clause 0x3
	global_load_dword v20, v[20:21], off
	global_load_dword v10, v[10:11], off
	;; [unrolled: 1-line block ×4, first 2 shown]
	s_waitcnt vmcnt(3)
	v_mul_f32_e32 v19, v19, v20
	v_mul_f32_e32 v19, v19, v26
	s_waitcnt vmcnt(2)
	v_mul_f32_e32 v10, v19, v10
	global_store_dword v[12:13], v10, off
	v_lshlrev_b64 v[10:11], 2, v[0:1]
	v_add_nc_u32_e32 v0, s4, v0
	v_add_co_u32 v12, vcc_lo, s0, v10
	v_add_co_ci_u32_e64 v13, null, s1, v11, vcc_lo
	global_load_dword v10, v[12:13], off
	s_waitcnt vmcnt(0)
	v_mul_f32_e32 v11, v10, v18
	global_load_dword v10, v[8:9], off
	s_waitcnt vmcnt(0)
	v_mul_f32_e32 v8, v11, v10
	global_store_dword v[12:13], v8, off
	v_lshlrev_b64 v[8:9], 2, v[0:1]
	v_add_nc_u32_e32 v0, s4, v0
	global_load_dword v12, v[14:15], off
	v_add_co_u32 v8, vcc_lo, s0, v8
	v_add_co_ci_u32_e64 v9, null, s1, v9, vcc_lo
	global_load_dword v11, v[8:9], off
	s_waitcnt vmcnt(0)
	v_mul_f32_e32 v11, v11, v18
	v_mul_f32_e32 v11, v11, v36
	global_store_dword v[8:9], v11, off
	v_lshlrev_b64 v[8:9], 2, v[0:1]
	v_add_nc_u32_e32 v0, s4, v0
	v_add_co_u32 v8, vcc_lo, s0, v8
	v_add_co_ci_u32_e64 v9, null, s1, v9, vcc_lo
	global_load_dword v11, v[8:9], off
	s_waitcnt vmcnt(0)
	v_mul_f32_e32 v11, v11, v18
	v_mul_f32_e32 v11, v11, v12
	global_store_dword v[8:9], v11, off
	v_lshlrev_b64 v[8:9], 2, v[0:1]
	v_add_nc_u32_e32 v0, s4, v0
	;; [unrolled: 9-line block ×3, first 2 shown]
	v_add_co_u32 v8, vcc_lo, s0, v8
	v_add_co_ci_u32_e64 v9, null, s1, v9, vcc_lo
	global_load_dword v11, v[8:9], off
	s_waitcnt vmcnt(0)
	v_mul_f32_e32 v11, v11, v26
	global_store_dword v[8:9], v11, off
	v_lshlrev_b64 v[8:9], 2, v[0:1]
	v_add_nc_u32_e32 v0, s4, v0
	v_add_co_u32 v8, vcc_lo, s0, v8
	v_add_co_ci_u32_e64 v9, null, s1, v9, vcc_lo
	global_load_dword v11, v[8:9], off
	s_waitcnt vmcnt(0)
	v_mul_f32_e32 v11, v11, v17
	v_mul_f32_e32 v11, v11, v24
	global_store_dword v[8:9], v11, off
	v_lshlrev_b64 v[8:9], 2, v[0:1]
	v_add_nc_u32_e32 v0, s4, v0
	v_add_co_u32 v8, vcc_lo, s0, v8
	v_add_co_ci_u32_e64 v9, null, s1, v9, vcc_lo
	global_load_dword v11, v[8:9], off
	s_waitcnt vmcnt(0)
	v_mul_f32_e32 v11, v11, v28
	global_store_dword v[8:9], v11, off
	v_lshlrev_b64 v[8:9], 2, v[0:1]
	v_add_nc_u32_e32 v0, s4, v0
	v_add_co_u32 v8, vcc_lo, s0, v8
	v_add_co_ci_u32_e64 v9, null, s1, v9, vcc_lo
	global_load_dword v11, v[8:9], off
	s_waitcnt vmcnt(0)
	v_mul_f32_e32 v11, v11, v17
	v_mul_f32_e32 v11, v11, v36
	global_store_dword v[8:9], v11, off
	v_lshlrev_b64 v[8:9], 2, v[0:1]
	v_add_nc_u32_e32 v0, s4, v0
	v_add_co_u32 v8, vcc_lo, s0, v8
	v_add_co_ci_u32_e64 v9, null, s1, v9, vcc_lo
	global_load_dword v11, v[8:9], off
	s_waitcnt vmcnt(0)
	v_mul_f32_e32 v11, v11, v17
	;; [unrolled: 9-line block ×3, first 2 shown]
	v_mul_f32_e32 v4, v8, v4
	global_store_dword v[2:3], v4, off
	v_lshlrev_b64 v[2:3], 2, v[0:1]
	v_add_nc_u32_e32 v0, s4, v0
	v_add_co_u32 v2, vcc_lo, s0, v2
	v_add_co_ci_u32_e64 v3, null, s1, v3, vcc_lo
	v_lshlrev_b64 v[0:1], 2, v[0:1]
	global_load_dword v4, v[2:3], off
	v_add_co_u32 v0, vcc_lo, s0, v0
	v_add_co_ci_u32_e64 v1, null, s1, v1, vcc_lo
	s_waitcnt vmcnt(0)
	v_mul_f32_e32 v4, v4, v16
	v_mul_f32_e32 v4, v4, v17
	global_store_dword v[2:3], v4, off
	global_load_dword v2, v[0:1], off
	global_load_dword v3, v[6:7], off
	s_waitcnt vmcnt(1)
	v_mul_f32_e32 v2, v2, v18
	s_waitcnt vmcnt(0)
	v_mul_f32_e32 v2, v2, v3
	global_store_dword v[0:1], v2, off
	s_endpgm
	.section	.rodata,"a",@progbits
	.p2align	6, 0x0
	.amdhsa_kernel _Z12ratx4_kernelIfEvPKT_PS0_S3_
		.amdhsa_group_segment_fixed_size 0
		.amdhsa_private_segment_fixed_size 0
		.amdhsa_kernarg_size 280
		.amdhsa_user_sgpr_count 6
		.amdhsa_user_sgpr_private_segment_buffer 1
		.amdhsa_user_sgpr_dispatch_ptr 0
		.amdhsa_user_sgpr_queue_ptr 0
		.amdhsa_user_sgpr_kernarg_segment_ptr 1
		.amdhsa_user_sgpr_dispatch_id 0
		.amdhsa_user_sgpr_flat_scratch_init 0
		.amdhsa_user_sgpr_private_segment_size 0
		.amdhsa_wavefront_size32 1
		.amdhsa_uses_dynamic_stack 0
		.amdhsa_system_sgpr_private_segment_wavefront_offset 0
		.amdhsa_system_sgpr_workgroup_id_x 1
		.amdhsa_system_sgpr_workgroup_id_y 0
		.amdhsa_system_sgpr_workgroup_id_z 0
		.amdhsa_system_sgpr_workgroup_info 0
		.amdhsa_system_vgpr_workitem_id 0
		.amdhsa_next_free_vgpr 54
		.amdhsa_next_free_sgpr 8
		.amdhsa_reserve_vcc 1
		.amdhsa_reserve_flat_scratch 0
		.amdhsa_float_round_mode_32 0
		.amdhsa_float_round_mode_16_64 0
		.amdhsa_float_denorm_mode_32 3
		.amdhsa_float_denorm_mode_16_64 3
		.amdhsa_dx10_clamp 1
		.amdhsa_ieee_mode 1
		.amdhsa_fp16_overflow 0
		.amdhsa_workgroup_processor_mode 1
		.amdhsa_memory_ordered 1
		.amdhsa_forward_progress 1
		.amdhsa_shared_vgpr_count 0
		.amdhsa_exception_fp_ieee_invalid_op 0
		.amdhsa_exception_fp_denorm_src 0
		.amdhsa_exception_fp_ieee_div_zero 0
		.amdhsa_exception_fp_ieee_overflow 0
		.amdhsa_exception_fp_ieee_underflow 0
		.amdhsa_exception_fp_ieee_inexact 0
		.amdhsa_exception_int_div_zero 0
	.end_amdhsa_kernel
	.section	.text._Z12ratx4_kernelIfEvPKT_PS0_S3_,"axG",@progbits,_Z12ratx4_kernelIfEvPKT_PS0_S3_,comdat
.Lfunc_end15:
	.size	_Z12ratx4_kernelIfEvPKT_PS0_S3_, .Lfunc_end15-_Z12ratx4_kernelIfEvPKT_PS0_S3_
                                        ; -- End function
	.set _Z12ratx4_kernelIfEvPKT_PS0_S3_.num_vgpr, 54
	.set _Z12ratx4_kernelIfEvPKT_PS0_S3_.num_agpr, 0
	.set _Z12ratx4_kernelIfEvPKT_PS0_S3_.numbered_sgpr, 8
	.set _Z12ratx4_kernelIfEvPKT_PS0_S3_.num_named_barrier, 0
	.set _Z12ratx4_kernelIfEvPKT_PS0_S3_.private_seg_size, 0
	.set _Z12ratx4_kernelIfEvPKT_PS0_S3_.uses_vcc, 1
	.set _Z12ratx4_kernelIfEvPKT_PS0_S3_.uses_flat_scratch, 0
	.set _Z12ratx4_kernelIfEvPKT_PS0_S3_.has_dyn_sized_stack, 0
	.set _Z12ratx4_kernelIfEvPKT_PS0_S3_.has_recursion, 0
	.set _Z12ratx4_kernelIfEvPKT_PS0_S3_.has_indirect_call, 0
	.section	.AMDGPU.csdata,"",@progbits
; Kernel info:
; codeLenInByte = 12096
; TotalNumSgprs: 10
; NumVgprs: 54
; ScratchSize: 0
; MemoryBound: 0
; FloatMode: 240
; IeeeMode: 1
; LDSByteSize: 0 bytes/workgroup (compile time only)
; SGPRBlocks: 0
; VGPRBlocks: 6
; NumSGPRsForWavesPerEU: 10
; NumVGPRsForWavesPerEU: 54
; Occupancy: 16
; WaveLimiterHint : 0
; COMPUTE_PGM_RSRC2:SCRATCH_EN: 0
; COMPUTE_PGM_RSRC2:USER_SGPR: 6
; COMPUTE_PGM_RSRC2:TRAP_HANDLER: 0
; COMPUTE_PGM_RSRC2:TGID_X_EN: 1
; COMPUTE_PGM_RSRC2:TGID_Y_EN: 0
; COMPUTE_PGM_RSRC2:TGID_Z_EN: 0
; COMPUTE_PGM_RSRC2:TIDIG_COMP_CNT: 0
	.section	.text._Z11qssa_kernelIfEvPT_S1_S1_,"axG",@progbits,_Z11qssa_kernelIfEvPT_S1_S1_,comdat
	.protected	_Z11qssa_kernelIfEvPT_S1_S1_ ; -- Begin function _Z11qssa_kernelIfEvPT_S1_S1_
	.globl	_Z11qssa_kernelIfEvPT_S1_S1_
	.p2align	8
	.type	_Z11qssa_kernelIfEvPT_S1_S1_,@function
_Z11qssa_kernelIfEvPT_S1_S1_:           ; @_Z11qssa_kernelIfEvPT_S1_S1_
; %bb.0:
	s_mov_b64 s[22:23], s[2:3]
	s_mov_b64 s[20:21], s[0:1]
	v_mov_b32_e32 v9, 0
	s_add_u32 s20, s20, s7
	s_clause 0x1
	s_load_dword s0, s[4:5], 0x24
	s_load_dword s7, s[4:5], 0x18
	s_addc_u32 s21, s21, 0
	s_waitcnt lgkmcnt(0)
	s_and_b32 s0, s0, 0xffff
	s_mul_i32 s7, s7, s0
	s_mul_i32 s6, s6, s0
	s_mul_i32 s0, s7, 56
	s_mul_i32 s8, s7, 15
	v_add3_u32 v8, s0, s6, v0
	s_load_dwordx4 s[0:3], s[4:5], 0x0
	s_mul_i32 s10, s7, 37
	s_mul_i32 s11, s7, 10
	;; [unrolled: 1-line block ×3, first 2 shown]
	v_lshlrev_b64 v[4:5], 2, v[8:9]
	v_add_nc_u32_e32 v8, s7, v8
	s_mul_i32 s6, s7, 0xffffffc7
	s_load_dwordx2 s[4:5], s[4:5], 0x10
	s_lshl_b32 s13, s7, 1
	s_mul_i32 s14, s7, 3
	v_mad_u64_u32 v[6:7], null, 0x55, s7, v[8:9]
	v_mov_b32_e32 v7, v9
	v_lshlrev_b64 v[94:95], 2, v[8:9]
	s_mul_i32 s16, s7, 30
	s_lshl_b32 s12, s7, 3
	s_mul_i32 s15, s7, 11
	s_mul_i32 s17, s7, 17
	v_mad_u64_u32 v[0:1], null, s7, 36, v[6:7]
	s_waitcnt lgkmcnt(0)
	v_add_co_u32 v10, vcc_lo, s0, v4
	v_add_co_ci_u32_e64 v11, null, s1, v5, vcc_lo
	v_add_co_u32 v24, vcc_lo, s2, v4
	v_add_nc_u32_e32 v8, s8, v0
	v_mov_b32_e32 v1, v9
	v_add_co_ci_u32_e64 v25, null, s3, v5, vcc_lo
	v_add_co_u32 v4, vcc_lo, s0, v94
	v_mad_u64_u32 v[14:15], null, s7, 12, v[8:9]
	v_mov_b32_e32 v15, v9
	v_lshlrev_b64 v[12:13], 2, v[6:7]
	v_add_co_ci_u32_e64 v5, null, s1, v95, vcc_lo
	v_lshlrev_b64 v[6:7], 2, v[8:9]
	global_store_dword v[10:11], v9, off
	v_mad_u64_u32 v[22:23], null, 0xffffff54, s7, v[14:15]
	v_lshlrev_b64 v[10:11], 2, v[0:1]
	global_store_dword v[4:5], v9, off
	v_add_co_u32 v4, vcc_lo, s0, v12
	v_lshlrev_b64 v[96:97], 2, v[14:15]
	v_add_co_ci_u32_e64 v5, null, s1, v13, vcc_lo
	v_add_nc_u32_e32 v8, s7, v22
	v_add_co_u32 v16, vcc_lo, s0, v10
	v_add_co_ci_u32_e64 v17, null, s1, v11, vcc_lo
	v_lshlrev_b64 v[14:15], 2, v[8:9]
	v_add_nc_u32_e32 v8, s7, v8
	v_add_co_u32 v18, vcc_lo, s2, v6
	v_add_co_ci_u32_e64 v19, null, s3, v7, vcc_lo
	v_lshlrev_b64 v[26:27], 2, v[8:9]
	v_add_nc_u32_e32 v8, s7, v8
	v_add_co_u32 v20, vcc_lo, s0, v96
	v_add_co_ci_u32_e64 v21, null, s1, v97, vcc_lo
	global_store_dword v[4:5], v9, off
	global_store_dword v[16:17], v9, off
	global_store_dword v[18:19], v9, off
	global_store_dword v[20:21], v9, off
	v_lshlrev_b64 v[16:17], 2, v[8:9]
	v_add_nc_u32_e32 v8, s7, v8
	v_add_co_u32 v46, vcc_lo, s0, v26
	v_add_co_ci_u32_e64 v47, null, s1, v27, vcc_lo
	v_lshlrev_b64 v[18:19], 2, v[8:9]
	v_add_nc_u32_e32 v8, s7, v8
	v_add_co_u32 v30, vcc_lo, s2, v26
	v_add_co_ci_u32_e64 v31, null, s3, v27, vcc_lo
	v_lshlrev_b64 v[20:21], 2, v[8:9]
	v_add_nc_u32_e32 v8, s7, v8
	v_mov_b32_e32 v23, v9
	s_mul_i32 s18, s7, 31
	v_lshlrev_b64 v[26:27], 2, v[8:9]
	v_add_nc_u32_e32 v8, s10, v8
	v_lshlrev_b64 v[22:23], 2, v[22:23]
	v_lshlrev_b64 v[4:5], 2, v[8:9]
	v_add_nc_u32_e32 v8, s11, v8
	v_mad_u64_u32 v[32:33], null, s7, 18, v[8:9]
	v_mov_b32_e32 v33, v9
	v_lshlrev_b64 v[28:29], 2, v[8:9]
	v_add_nc_u32_e32 v8, s9, v32
	v_lshlrev_b64 v[32:33], 2, v[32:33]
	v_add_co_u32 v42, vcc_lo, s0, v32
	v_add_co_ci_u32_e64 v43, null, s1, v33, vcc_lo
	v_add_co_u32 v36, vcc_lo, s2, v32
	v_add_co_ci_u32_e64 v37, null, s3, v33, vcc_lo
	v_lshlrev_b64 v[32:33], 2, v[8:9]
	v_add_nc_u32_e32 v8, s6, v8
	v_add_co_u32 v44, vcc_lo, s0, v32
	v_add_co_ci_u32_e64 v45, null, s1, v33, vcc_lo
	v_add_co_u32 v40, vcc_lo, s2, v32
	v_add_co_ci_u32_e64 v41, null, s3, v33, vcc_lo
	v_lshlrev_b64 v[32:33], 2, v[8:9]
	v_add_nc_u32_e32 v8, s9, v8
	v_mad_u64_u32 v[34:35], null, 0xffffffcf, s7, v[8:9]
	v_mov_b32_e32 v35, v9
	v_lshlrev_b64 v[38:39], 2, v[34:35]
	v_add_co_u32 v38, vcc_lo, s4, v38
	v_add_co_ci_u32_e64 v39, null, s5, v39, vcc_lo
	v_add_co_u32 v48, vcc_lo, s0, v22
	v_add_co_ci_u32_e64 v49, null, s1, v23, vcc_lo
	s_clause 0x1
	global_load_dword v48, v[48:49], off
	global_load_dword v82, v[46:47], off
	v_add_co_u32 v46, vcc_lo, s0, v16
	v_add_co_ci_u32_e64 v47, null, s1, v17, vcc_lo
	global_load_dword v49, v[46:47], off
	v_add_co_u32 v46, vcc_lo, s0, v20
	v_add_co_ci_u32_e64 v47, null, s1, v21, vcc_lo
	;; [unrolled: 3-line block ×3, first 2 shown]
	s_clause 0x1
	global_load_dword v50, v[46:47], off
	global_load_dword v0, v[46:47], off
	v_add_co_u32 v46, vcc_lo, s0, v14
	v_add_co_ci_u32_e64 v47, null, s1, v15, vcc_lo
	s_waitcnt vmcnt(0)
	buffer_store_dword v0, off, s[20:23], 0 ; 4-byte Folded Spill
	s_clause 0x1
	global_load_dword v0, v[46:47], off
	global_load_dword v1, v[46:47], off
	v_add_co_u32 v46, vcc_lo, s0, v4
	v_add_co_ci_u32_e64 v47, null, s1, v5, vcc_lo
	s_waitcnt vmcnt(1)
	v_add_f32_e32 v0, v48, v0
	s_waitcnt vmcnt(0)
	buffer_store_dword v1, off, s[20:23], 0 offset:4 ; 4-byte Folded Spill
	s_clause 0x2
	global_load_dword v47, v[46:47], off
	global_load_dword v46, v[42:43], off
	;; [unrolled: 1-line block ×3, first 2 shown]
	v_add_co_u32 v42, vcc_lo, s0, v28
	v_add_f32_e32 v0, v0, v82
	v_add_co_ci_u32_e64 v43, null, s1, v29, vcc_lo
	v_add_f32_e32 v0, v0, v49
	v_add_f32_e32 v48, v0, v50
	s_clause 0x1
	global_load_dword v45, v[42:43], off
	global_load_dword v0, v[42:43], off
	v_add_co_u32 v42, vcc_lo, s0, v26
	v_add_co_ci_u32_e64 v43, null, s1, v27, vcc_lo
	s_waitcnt vmcnt(0)
	buffer_store_dword v0, off, s[20:23], 0 offset:8 ; 4-byte Folded Spill
	s_clause 0x1
	global_load_dword v1, v[42:43], off
	global_load_dword v99, v[42:43], off
	v_add_co_u32 v42, vcc_lo, s2, v16
	v_add_f32_e32 v0, v48, v35
	v_add_co_ci_u32_e64 v43, null, s3, v17, vcc_lo
	s_waitcnt vmcnt(1)
	v_add_f32_e32 v0, v0, v1
	global_load_dword v1, v[42:43], off
	v_add_co_u32 v42, vcc_lo, s2, v20
	v_add_co_ci_u32_e64 v43, null, s3, v21, vcc_lo
	s_clause 0x1
	global_load_dword v2, v[42:43], off
	global_load_dword v88, v[24:25], off
	v_add_co_u32 v24, vcc_lo, s2, v4
	v_add_co_ci_u32_e64 v25, null, s3, v5, vcc_lo
	v_add_f32_e32 v0, v0, v47
	global_load_dword v3, v[24:25], off
	v_add_co_u32 v24, vcc_lo, s2, v32
	v_add_co_ci_u32_e64 v25, null, s3, v33, vcc_lo
	v_add_f32_e32 v0, v0, v45
	global_load_dword v86, v[24:25], off
	v_lshlrev_b64 v[24:25], 2, v[8:9]
	v_add_f32_e32 v0, v0, v46
	v_add_co_u32 v42, vcc_lo, s2, v24
	v_add_co_ci_u32_e64 v43, null, s3, v25, vcc_lo
	s_clause 0x1
	global_load_dword v8, v[42:43], off
	global_load_dword v83, v[42:43], off
	v_add_f32_e32 v0, v0, v44
	s_waitcnt vmcnt(2)
	v_add_f32_e32 v0, v0, v86
	s_waitcnt vmcnt(1)
	v_add_f32_e32 v0, v0, v8
	v_div_scale_f32 v8, null, v0, v0, 1.0
	v_rcp_f32_e32 v35, v8
	v_fma_f32 v42, -v8, v35, 1.0
	v_fmac_f32_e32 v35, v42, v35
	v_div_scale_f32 v42, vcc_lo, 1.0, v0, 1.0
	v_mul_f32_e32 v43, v42, v35
	v_fma_f32 v44, -v8, v43, v42
	v_fmac_f32_e32 v43, v44, v35
	v_fma_f32 v8, -v8, v43, v42
	v_div_fmas_f32 v8, v8, v35, v43
	v_add_co_u32 v42, vcc_lo, s2, v22
	v_add_co_ci_u32_e64 v43, null, s3, v23, vcc_lo
	s_clause 0x2
	global_load_dword v35, v[42:43], off
	global_load_dword v36, v[36:37], off
	;; [unrolled: 1-line block ×3, first 2 shown]
	v_div_fixup_f32 v0, v8, v0, 1.0
	global_load_dword v87, v[30:31], off
	v_add_co_u32 v30, vcc_lo, s0, v32
	v_add_co_ci_u32_e64 v31, null, s1, v33, vcc_lo
	v_add_co_u32 v24, vcc_lo, s0, v24
	v_add_co_ci_u32_e64 v25, null, s1, v25, vcc_lo
	v_add_nc_u32_e32 v8, s13, v34
	v_lshlrev_b64 v[32:33], 2, v[8:9]
	v_add_nc_u32_e32 v8, s7, v8
	v_add_co_u32 v32, vcc_lo, s4, v32
	v_add_co_ci_u32_e64 v33, null, s5, v33, vcc_lo
	s_waitcnt vmcnt(3)
	v_add_f32_e32 v1, v35, v1
	v_add_f32_e32 v1, v1, v2
	;; [unrolled: 1-line block ×4, first 2 shown]
	s_waitcnt vmcnt(2)
	v_add_f32_e32 v1, v1, v36
	s_waitcnt vmcnt(1)
	v_add_f32_e32 v1, v1, v37
	v_mul_f32_e32 v1, v0, v1
	global_store_dword v[38:39], v1, off
	s_clause 0x1
	global_load_dword v1, v[30:31], off
	global_load_dword v84, v[24:25], off
	v_lshlrev_b64 v[24:25], 2, v[8:9]
	v_add_nc_u32_e32 v8, s7, v8
	v_add_co_u32 v24, vcc_lo, s4, v24
	v_add_co_ci_u32_e64 v25, null, s5, v25, vcc_lo
	s_waitcnt vmcnt(1)
	v_add_f32_e32 v2, v87, v1
	v_mul_f32_e32 v2, v0, v2
	global_store_dword v[32:33], v2, off
	s_waitcnt vmcnt(0)
	v_mul_f32_e32 v2, v0, v84
	global_store_dword v[24:25], v2, off
	v_add_co_u32 v24, vcc_lo, s2, v26
	v_add_co_ci_u32_e64 v25, null, s3, v27, vcc_lo
	v_add_co_u32 v26, vcc_lo, s2, v28
	v_add_co_ci_u32_e64 v27, null, s3, v29, vcc_lo
	s_clause 0x1
	global_load_dword v2, v[24:25], off
	global_load_dword v3, v[26:27], off
	v_lshlrev_b64 v[28:29], 2, v[8:9]
	global_load_dword v105, v[24:25], off
	v_add_nc_u32_e32 v8, s14, v8
	v_add_co_u32 v28, vcc_lo, s4, v28
	v_add_co_ci_u32_e64 v29, null, s5, v29, vcc_lo
	v_add_co_u32 v24, vcc_lo, s2, v18
	v_add_co_ci_u32_e64 v25, null, s3, v19, vcc_lo
	s_waitcnt vmcnt(1)
	buffer_store_dword v3, off, s[20:23], 0 offset:12 ; 4-byte Folded Spill
	s_clause 0x1
	global_load_dword v3, v[24:25], off
	global_load_dword v106, v[24:25], off
	v_add_co_u32 v24, vcc_lo, s2, v14
	v_add_co_ci_u32_e64 v25, null, s3, v15, vcc_lo
	s_clause 0x1
	global_load_dword v30, v[24:25], off
	global_load_dword v107, v[24:25], off
	v_lshlrev_b64 v[24:25], 2, v[8:9]
	v_add_nc_u32_e32 v8, s16, v8
	v_add_co_u32 v24, vcc_lo, s4, v24
	v_add_co_ci_u32_e64 v25, null, s5, v25, vcc_lo
	s_waitcnt vmcnt(1)
	v_add_f32_e32 v3, v30, v3
	v_add_f32_e32 v2, v3, v2
	v_mul_f32_e32 v2, v0, v2
	global_store_dword v[28:29], v2, off
	global_load_dword v2, v[26:27], off
	s_waitcnt vmcnt(0)
	v_mul_f32_e32 v0, v0, v2
	global_store_dword v[24:25], v0, off
	v_lshlrev_b64 v[24:25], 2, v[8:9]
	v_add_nc_u32_e32 v8, s7, v8
	v_add_co_u32 v26, vcc_lo, s0, v24
	v_add_co_ci_u32_e64 v27, null, s1, v25, vcc_lo
	v_add_co_u32 v50, vcc_lo, s2, v24
	v_add_co_ci_u32_e64 v51, null, s3, v25, vcc_lo
	v_lshlrev_b64 v[24:25], 2, v[8:9]
	v_add_nc_u32_e32 v8, s7, v8
	v_lshlrev_b64 v[30:31], 2, v[8:9]
	v_add_nc_u32_e32 v8, s7, v8
	v_add_co_u32 v80, vcc_lo, s0, v24
	v_add_co_ci_u32_e64 v81, null, s1, v25, vcc_lo
	v_lshlrev_b64 v[42:43], 2, v[8:9]
	v_add_nc_u32_e32 v8, s7, v8
	v_add_co_u32 v52, vcc_lo, s2, v24
	v_add_co_ci_u32_e64 v53, null, s3, v25, vcc_lo
	v_lshlrev_b64 v[40:41], 2, v[8:9]
	v_add_nc_u32_e32 v8, s7, v8
	s_clause 0x1
	global_load_dword v0, v[26:27], off
	global_load_dword v2, v[80:81], off
	v_lshlrev_b64 v[38:39], 2, v[8:9]
	v_add_nc_u32_e32 v8, s13, v8
	v_lshlrev_b64 v[36:37], 2, v[8:9]
	v_add_nc_u32_e32 v8, s7, v8
	v_mad_u64_u32 v[91:92], null, s7, 35, v[8:9]
	v_lshlrev_b64 v[24:25], 2, v[8:9]
	v_mov_b32_e32 v92, v9
	v_add_nc_u32_e32 v8, s8, v91
	v_add_co_u32 v89, vcc_lo, s0, v24
	v_add_co_ci_u32_e64 v90, null, s1, v25, vcc_lo
	v_add_co_u32 v56, vcc_lo, s2, v24
	v_add_co_ci_u32_e64 v57, null, s3, v25, vcc_lo
	v_lshlrev_b64 v[24:25], 2, v[8:9]
	v_add_nc_u32_e32 v8, s9, v8
	v_mad_u64_u32 v[28:29], null, s7, 53, v[8:9]
	v_mov_b32_e32 v29, v9
	v_mad_u64_u32 v[70:71], null, 0xffffff96, s7, v[28:29]
	v_lshlrev_b64 v[32:33], 2, v[28:29]
	v_lshlrev_b64 v[28:29], 2, v[8:9]
	v_add_nc_u32_e32 v8, s12, v70
	v_add_co_u32 v103, vcc_lo, s0, v32
	v_add_co_ci_u32_e64 v104, null, s1, v33, vcc_lo
	v_lshlrev_b64 v[48:49], 2, v[8:9]
	v_add_nc_u32_e32 v8, s7, v8
	v_add_co_u32 v54, vcc_lo, s2, v32
	v_add_co_ci_u32_e64 v55, null, s3, v33, vcc_lo
	v_lshlrev_b64 v[34:35], 2, v[8:9]
	v_add_nc_u32_e32 v8, s7, v8
	v_lshlrev_b64 v[32:33], 2, v[8:9]
	v_add_nc_u32_e32 v8, s15, v8
	;; [unrolled: 2-line block ×3, first 2 shown]
	v_add_co_u32 v72, vcc_lo, s2, v44
	v_add_co_ci_u32_e64 v73, null, s3, v45, vcc_lo
	v_add_co_u32 v62, vcc_lo, s0, v44
	v_add_co_ci_u32_e64 v63, null, s1, v45, vcc_lo
	v_lshlrev_b64 v[44:45], 2, v[8:9]
	v_add_nc_u32_e32 v8, s9, v8
	v_add_co_u32 v74, vcc_lo, s2, v44
	v_add_co_ci_u32_e64 v75, null, s3, v45, vcc_lo
	v_add_co_u32 v60, vcc_lo, s0, v44
	v_add_co_ci_u32_e64 v61, null, s1, v45, vcc_lo
	v_lshlrev_b64 v[44:45], 2, v[8:9]
	v_add_nc_u32_e32 v8, s13, v8
	v_mad_u64_u32 v[58:59], null, s7, 5, v[8:9]
	v_mov_b32_e32 v59, v9
	v_lshlrev_b64 v[46:47], 2, v[8:9]
	v_add_nc_u32_e32 v8, s16, v58
	v_lshlrev_b64 v[58:59], 2, v[58:59]
	s_lshl_b32 s16, s7, 2
	v_add_co_u32 v76, vcc_lo, s2, v58
	v_add_co_ci_u32_e64 v77, null, s3, v59, vcc_lo
	v_add_co_u32 v66, vcc_lo, s0, v58
	v_add_co_ci_u32_e64 v67, null, s1, v59, vcc_lo
	v_lshlrev_b64 v[58:59], 2, v[8:9]
	v_add_co_u32 v78, vcc_lo, s2, v58
	v_add_co_ci_u32_e64 v79, null, s3, v59, vcc_lo
	v_add_co_u32 v68, vcc_lo, s0, v58
	v_add_co_ci_u32_e64 v69, null, s1, v59, vcc_lo
	v_mad_u64_u32 v[58:59], null, 0xffffff76, s7, v[8:9]
	v_mov_b32_e32 v59, v9
	v_lshlrev_b64 v[64:65], 2, v[58:59]
	v_add_co_u32 v64, vcc_lo, s4, v64
	v_add_co_ci_u32_e64 v65, null, s5, v65, vcc_lo
	v_add_co_u32 v26, vcc_lo, s0, v40
	v_add_co_ci_u32_e64 v27, null, s1, v41, vcc_lo
	global_load_dword v3, v[26:27], off
	v_add_co_u32 v26, vcc_lo, s0, v38
	v_add_co_ci_u32_e64 v27, null, s1, v39, vcc_lo
	global_load_dword v8, v[26:27], off
	v_add_co_u32 v26, vcc_lo, s0, v42
	v_add_co_ci_u32_e64 v27, null, s1, v43, vcc_lo
	s_clause 0x1
	global_load_dword v59, v[26:27], off
	global_load_dword v101, v[26:27], off
	v_add_co_u32 v26, vcc_lo, s0, v30
	v_add_co_ci_u32_e64 v27, null, s1, v31, vcc_lo
	s_clause 0x1
	global_load_dword v71, v[26:27], off
	global_load_dword v102, v[26:27], off
	v_add_co_u32 v26, vcc_lo, s0, v36
	v_add_co_ci_u32_e64 v27, null, s1, v37, vcc_lo
	s_waitcnt vmcnt(6)
	v_add_f32_e32 v0, v0, v2
	s_waitcnt vmcnt(1)
	v_add_f32_e32 v0, v0, v71
	v_add_f32_e32 v0, v0, v59
	s_clause 0x1
	global_load_dword v59, v[26:27], off
	global_load_dword v71, v[89:90], off
	v_lshlrev_b64 v[26:27], 2, v[91:92]
	v_add_f32_e32 v0, v0, v3
	v_add_co_u32 v80, vcc_lo, s0, v26
	v_add_co_ci_u32_e64 v81, null, s1, v27, vcc_lo
	v_add_f32_e32 v2, v0, v8
	global_load_dword v85, v[80:81], off
	v_add_co_u32 v80, vcc_lo, s0, v24
	v_add_co_ci_u32_e64 v81, null, s1, v25, vcc_lo
	s_clause 0x1
	global_load_dword v89, v[80:81], off
	global_load_dword v0, v[103:104], off
	v_add_co_u32 v80, vcc_lo, s0, v28
	v_add_co_ci_u32_e64 v81, null, s1, v29, vcc_lo
	s_clause 0x1
	global_load_dword v90, v[80:81], off
	global_load_dword v103, v[80:81], off
	v_add_f32_e32 v91, v1, v2
	v_add_co_u32 v80, vcc_lo, s2, v32
	v_add_co_ci_u32_e64 v81, null, s3, v33, vcc_lo
	s_clause 0x1
	global_load_dword v2, v[80:81], off
	global_load_dword v80, v[80:81], off
	s_waitcnt vmcnt(8)
	v_add_f32_e32 v1, v59, v91
	s_waitcnt vmcnt(7)
	v_add_f32_e32 v1, v71, v1
	v_mov_b32_e32 v71, v9
	v_lshlrev_b64 v[70:71], 2, v[70:71]
	s_waitcnt vmcnt(6)
	v_add_f32_e32 v1, v85, v1
	s_waitcnt vmcnt(5)
	v_add_f32_e32 v1, v89, v1
	v_add_co_u32 v89, vcc_lo, s2, v34
	s_waitcnt vmcnt(3)
	v_add_f32_e32 v1, v90, v1
	v_add_co_ci_u32_e64 v90, null, s3, v35, vcc_lo
	s_clause 0x1
	global_load_dword v3, v[89:90], off
	global_load_dword v81, v[89:90], off
	v_add_co_u32 v89, vcc_lo, s2, v48
	v_add_co_ci_u32_e64 v90, null, s3, v49, vcc_lo
	v_add_f32_e32 v0, v0, v1
	s_clause 0x1
	global_load_dword v1, v[89:90], off
	global_load_dword v85, v[89:90], off
	v_add_co_u32 v89, vcc_lo, s2, v70
	v_add_co_ci_u32_e64 v90, null, s3, v71, vcc_lo
	v_add_f32_e32 v0, v87, v0
	s_clause 0x1
	global_load_dword v8, v[89:90], off
	global_load_dword v87, v[89:90], off
	s_waitcnt vmcnt(1)
	v_add_f32_e32 v0, v8, v0
	v_add_f32_e32 v0, v1, v0
	s_clause 0x3
	global_load_dword v1, v[72:73], off
	global_load_dword v8, v[74:75], off
	;; [unrolled: 1-line block ×4, first 2 shown]
	v_add_co_u32 v72, vcc_lo, s2, v46
	v_add_co_ci_u32_e64 v73, null, s3, v47, vcc_lo
	v_add_f32_e32 v0, v3, v0
	s_clause 0x1
	global_load_dword v3, v[72:73], off
	global_load_dword v108, v[72:73], off
	v_add_co_u32 v72, vcc_lo, s2, v44
	v_add_co_ci_u32_e64 v73, null, s3, v45, vcc_lo
	v_add_f32_e32 v0, v2, v0
	s_clause 0x1
	global_load_dword v2, v[72:73], off
	global_load_dword v109, v[72:73], off
	s_waitcnt vmcnt(7)
	v_add_f32_e32 v0, v1, v0
	s_waitcnt vmcnt(6)
	v_add_f32_e32 v0, v8, v0
	;; [unrolled: 2-line block ×3, first 2 shown]
	v_add_f32_e32 v0, v3, v0
	v_add_f32_e32 v0, v59, v0
	;; [unrolled: 1-line block ×3, first 2 shown]
	v_div_scale_f32 v1, null, v0, v0, 1.0
	v_rcp_f32_e32 v2, v1
	v_fma_f32 v3, -v1, v2, 1.0
	v_fmac_f32_e32 v2, v3, v2
	v_div_scale_f32 v3, vcc_lo, 1.0, v0, 1.0
	v_mul_f32_e32 v8, v3, v2
	v_fma_f32 v59, -v1, v8, v3
	v_fmac_f32_e32 v8, v59, v2
	v_fma_f32 v1, -v1, v8, v3
	v_div_fmas_f32 v1, v1, v2, v8
	s_clause 0x1
	global_load_dword v2, v[50:51], off
	global_load_dword v3, v[52:53], off
	v_add_co_u32 v50, vcc_lo, s2, v40
	v_add_co_ci_u32_e64 v51, null, s3, v41, vcc_lo
	v_div_fixup_f32 v0, v1, v0, 1.0
	global_load_dword v8, v[50:51], off
	v_add_co_u32 v50, vcc_lo, s2, v38
	v_add_co_ci_u32_e64 v51, null, s3, v39, vcc_lo
	global_load_dword v52, v[50:51], off
	v_add_co_u32 v50, vcc_lo, s2, v36
	v_add_co_ci_u32_e64 v51, null, s3, v37, vcc_lo
	s_clause 0x1
	global_load_dword v53, v[50:51], off
	global_load_dword v56, v[56:57], off
	v_add_co_u32 v50, vcc_lo, s2, v94
	v_add_co_ci_u32_e64 v51, null, s3, v95, vcc_lo
	global_load_dword v57, v[50:51], off
	global_load_dword v59, v[62:63], off
	v_add_co_u32 v50, vcc_lo, s2, v26
	v_add_co_ci_u32_e64 v51, null, s3, v27, vcc_lo
	global_load_dword v62, v[50:51], off
	v_add_co_u32 v50, vcc_lo, s2, v24
	v_add_co_ci_u32_e64 v51, null, s3, v25, vcc_lo
	global_load_dword v50, v[50:51], off
	s_clause 0x2
	global_load_dword v51, v[60:61], off
	global_load_dword v60, v[66:67], off
	;; [unrolled: 1-line block ×4, first 2 shown]
	s_waitcnt vmcnt(12)
	v_add_f32_e32 v2, v2, v3
	s_waitcnt vmcnt(11)
	v_add_f32_e32 v2, v2, v8
	v_add_nc_u32_e32 v8, s7, v58
	s_waitcnt vmcnt(10)
	v_add_f32_e32 v2, v2, v52
	s_waitcnt vmcnt(9)
	v_add_f32_e32 v2, v2, v53
	;; [unrolled: 2-line block ×3, first 2 shown]
	v_add_f32_e32 v2, v88, v2
	s_waitcnt vmcnt(7)
	v_add_f32_e32 v2, v57, v2
	v_add_f32_e32 v2, v57, v2
	s_waitcnt vmcnt(6)
	v_add_f32_e32 v2, v59, v2
	s_waitcnt vmcnt(5)
	;; [unrolled: 2-line block ×4, first 2 shown]
	v_add_f32_e32 v2, v51, v2
	v_lshlrev_b64 v[50:51], 2, v[8:9]
	v_add_nc_u32_e32 v8, s13, v8
	s_waitcnt vmcnt(2)
	v_add_f32_e32 v2, v60, v2
	v_add_co_u32 v50, vcc_lo, s4, v50
	v_add_co_ci_u32_e64 v51, null, s5, v51, vcc_lo
	s_waitcnt vmcnt(1)
	v_add_f32_e32 v2, v61, v2
	v_lshlrev_b64 v[52:53], 2, v[8:9]
	v_add_nc_u32_e32 v8, s7, v8
	s_waitcnt vmcnt(0)
	v_add_f32_e32 v2, v54, v2
	v_mul_f32_e32 v1, v0, v2
	global_store_dword v[64:65], v1, off
	v_add_f32_e32 v1, v82, v86
	v_mul_f32_e32 v1, v1, v0
	global_store_dword v[50:51], v1, off
	v_add_co_u32 v50, vcc_lo, s0, v70
	v_add_co_ci_u32_e64 v51, null, s1, v71, vcc_lo
	v_add_co_u32 v48, vcc_lo, s0, v48
	v_add_co_ci_u32_e64 v49, null, s1, v49, vcc_lo
	;; [unrolled: 2-line block ×3, first 2 shown]
	s_clause 0x1
	global_load_dword v1, v[50:51], off
	global_load_dword v2, v[48:49], off
	v_add_co_u32 v48, vcc_lo, s0, v34
	v_add_co_ci_u32_e64 v49, null, s1, v35, vcc_lo
	global_load_dword v3, v[48:49], off
	v_add_co_u32 v48, vcc_lo, s0, v32
	v_add_co_ci_u32_e64 v49, null, s1, v33, vcc_lo
	v_add_co_u32 v30, vcc_lo, s2, v30
	v_add_co_ci_u32_e64 v31, null, s3, v31, vcc_lo
	global_load_dword v82, v[48:49], off
	s_waitcnt vmcnt(2)
	v_add_f32_e32 v48, v1, v2
	s_waitcnt vmcnt(1)
	v_add_f32_e32 v48, v48, v3
	;; [unrolled: 2-line block ×3, first 2 shown]
	v_mul_f32_e32 v48, v0, v48
	global_store_dword v[52:53], v48, off
	v_lshlrev_b64 v[48:49], 2, v[8:9]
	v_add_nc_u32_e32 v8, s13, v8
	v_add_co_u32 v48, vcc_lo, s4, v48
	v_add_co_ci_u32_e64 v49, null, s5, v49, vcc_lo
	v_add_co_u32 v50, vcc_lo, s2, v42
	v_add_co_ci_u32_e64 v51, null, s3, v43, vcc_lo
	s_clause 0x3
	global_load_dword v52, v[50:51], off
	global_load_dword v113, v[50:51], off
	;; [unrolled: 1-line block ×4, first 2 shown]
	s_waitcnt vmcnt(1)
	v_add_f32_e32 v30, v50, v52
	v_mul_f32_e32 v30, v0, v30
	global_store_dword v[48:49], v30, off
	v_add_co_u32 v30, vcc_lo, s0, v44
	v_add_co_ci_u32_e64 v31, null, s1, v45, vcc_lo
	v_add_co_u32 v44, vcc_lo, s0, v46
	v_add_co_ci_u32_e64 v45, null, s1, v47, vcc_lo
	s_clause 0x3
	global_load_dword v48, v[44:45], off
	global_load_dword v110, v[44:45], off
	;; [unrolled: 1-line block ×4, first 2 shown]
	v_lshlrev_b64 v[46:47], 2, v[8:9]
	v_add_nc_u32_e32 v8, s7, v8
	v_add_co_u32 v46, vcc_lo, s4, v46
	v_add_co_ci_u32_e64 v47, null, s5, v47, vcc_lo
	v_add_co_u32 v28, vcc_lo, s2, v28
	v_add_co_ci_u32_e64 v29, null, s3, v29, vcc_lo
	s_waitcnt vmcnt(1)
	v_add_f32_e32 v30, v44, v48
	v_mul_f32_e32 v30, v0, v30
	global_store_dword v[46:47], v30, off
	s_clause 0x1
	global_load_dword v44, v[28:29], off
	global_load_dword v104, v[28:29], off
	v_lshlrev_b64 v[30:31], 2, v[8:9]
	v_lshl_add_u32 v8, s7, 5, v8
	v_add_co_u32 v30, vcc_lo, s4, v30
	v_lshlrev_b64 v[28:29], 2, v[8:9]
	v_add_nc_u32_e32 v8, s7, v8
	v_add_co_ci_u32_e64 v31, null, s5, v31, vcc_lo
	v_lshlrev_b64 v[50:51], 2, v[8:9]
	v_add_nc_u32_e32 v8, s7, v8
	s_waitcnt vmcnt(1)
	v_mul_f32_e32 v0, v0, v44
	global_store_dword v[30:31], v0, off
	v_add_co_u32 v30, vcc_lo, s0, v28
	v_add_co_ci_u32_e64 v31, null, s1, v29, vcc_lo
	v_add_co_u32 v56, vcc_lo, s2, v28
	v_add_co_ci_u32_e64 v57, null, s3, v29, vcc_lo
	v_lshlrev_b64 v[28:29], 2, v[8:9]
	v_add_nc_u32_e32 v8, s7, v8
	v_add_f32_e32 v0, v84, v1
	v_add_co_u32 v72, vcc_lo, s0, v28
	v_add_co_ci_u32_e64 v73, null, s1, v29, vcc_lo
	v_add_co_u32 v58, vcc_lo, s2, v28
	v_add_co_ci_u32_e64 v59, null, s3, v29, vcc_lo
	v_lshlrev_b64 v[28:29], 2, v[8:9]
	v_add_nc_u32_e32 v8, s7, v8
	v_add_co_u32 v74, vcc_lo, s0, v28
	v_add_co_ci_u32_e64 v75, null, s1, v29, vcc_lo
	v_add_co_u32 v62, vcc_lo, s2, v28
	v_add_co_ci_u32_e64 v63, null, s3, v29, vcc_lo
	v_lshlrev_b64 v[28:29], 2, v[8:9]
	v_add_nc_u32_e32 v8, s7, v8
	v_lshlrev_b64 v[44:45], 2, v[8:9]
	v_add_nc_u32_e32 v8, s16, v8
	v_add_co_u32 v76, vcc_lo, s0, v28
	v_add_co_ci_u32_e64 v77, null, s1, v29, vcc_lo
	v_mad_u64_u32 v[88:89], null, s7, 22, v[8:9]
	v_add_co_u32 v66, vcc_lo, s2, v28
	v_add_co_ci_u32_e64 v67, null, s3, v29, vcc_lo
	v_lshlrev_b64 v[28:29], 2, v[8:9]
	v_mov_b32_e32 v89, v9
	v_add_nc_u32_e32 v8, s8, v88
	v_add_co_u32 v78, vcc_lo, s0, v28
	v_mad_u64_u32 v[70:71], null, s7, 59, v[8:9]
	v_add_co_ci_u32_e64 v79, null, s1, v29, vcc_lo
	v_add_co_u32 v52, vcc_lo, s2, v28
	v_add_co_ci_u32_e64 v53, null, s3, v29, vcc_lo
	v_lshlrev_b64 v[28:29], 2, v[8:9]
	v_add_nc_u32_e32 v8, s7, v70
	v_lshlrev_b64 v[64:65], 2, v[8:9]
	v_lshl_add_u32 v8, s7, 4, v8
	v_add_co_u32 v90, vcc_lo, s0, v28
	v_add_co_ci_u32_e64 v91, null, s1, v29, vcc_lo
	v_mad_u64_u32 v[46:47], null, 0xffffff9a, s7, v[8:9]
	v_lshlrev_b64 v[48:49], 2, v[8:9]
	v_add_co_u32 v54, vcc_lo, s2, v28
	v_add_co_ci_u32_e64 v55, null, s3, v29, vcc_lo
	s_clause 0x3
	global_load_dword v1, v[30:31], off
	global_load_dword v47, v[72:73], off
	;; [unrolled: 1-line block ×4, first 2 shown]
	v_add_nc_u32_e32 v8, s17, v46
	v_lshlrev_b64 v[28:29], 2, v[8:9]
	v_add_nc_u32_e32 v8, s11, v8
	v_lshlrev_b64 v[60:61], 2, v[8:9]
	v_add_co_u32 v68, vcc_lo, s2, v60
	v_add_co_ci_u32_e64 v69, null, s3, v61, vcc_lo
	v_add_co_u32 v60, vcc_lo, s0, v60
	v_add_co_ci_u32_e64 v61, null, s1, v61, vcc_lo
	;; [unrolled: 2-line block ×5, first 2 shown]
	s_clause 0x1
	global_load_dword v73, v[30:31], off
	global_load_dword v74, v[78:79], off
	v_add_co_u32 v30, vcc_lo, s0, v50
	v_add_co_ci_u32_e64 v31, null, s1, v51, vcc_lo
	s_clause 0x1
	global_load_dword v75, v[30:31], off
	global_load_dword v112, v[30:31], off
	v_lshlrev_b64 v[30:31], 2, v[88:89]
	s_waitcnt vmcnt(7)
	v_add_f32_e32 v0, v0, v1
	s_waitcnt vmcnt(1)
	v_add_f32_e32 v0, v0, v75
	v_add_f32_e32 v0, v0, v47
	;; [unrolled: 1-line block ×3, first 2 shown]
	v_add_co_u32 v71, vcc_lo, s0, v30
	v_add_f32_e32 v0, v0, v72
	v_add_co_ci_u32_e64 v72, null, s1, v31, vcc_lo
	v_add_f32_e32 v0, v0, v73
	v_add_f32_e32 v0, v0, v2
	;; [unrolled: 1-line block ×5, first 2 shown]
	s_clause 0x2
	global_load_dword v74, v[71:72], off
	global_load_dword v75, v[90:91], off
	global_load_dword v73, v[92:93], off
	v_add_co_u32 v71, vcc_lo, s0, v48
	v_add_co_ci_u32_e64 v72, null, s1, v49, vcc_lo
	s_clause 0x1
	global_load_dword v76, v[71:72], off
	global_load_dword v98, v[71:72], off
	v_mov_b32_e32 v71, v9
	v_lshlrev_b64 v[70:71], 2, v[70:71]
	v_add_co_u32 v77, vcc_lo, s0, v70
	v_add_co_ci_u32_e64 v78, null, s1, v71, vcc_lo
	s_clause 0x1
	global_load_dword v0, v[77:78], off
	global_load_dword v115, v[77:78], off
	s_waitcnt vmcnt(6)
	v_add_f32_e32 v1, v47, v74
	v_mov_b32_e32 v47, v9
	s_waitcnt vmcnt(5)
	v_add_f32_e32 v1, v1, v75
	v_lshlrev_b64 v[46:47], 2, v[46:47]
	v_add_co_u32 v72, vcc_lo, s2, v46
	s_waitcnt vmcnt(1)
	v_add_f32_e32 v0, v1, v0
	v_add_f32_e32 v0, v0, v73
	v_add_co_ci_u32_e64 v73, null, s3, v47, vcc_lo
	s_clause 0x5
	global_load_dword v1, v[72:73], off
	global_load_dword v2, v[68:69], off
	global_load_dword v3, v[56:57], off
	global_load_dword v59, v[58:59], off
	global_load_dword v68, v[62:63], off
	global_load_dword v66, v[66:67], off
	v_add_co_u32 v56, vcc_lo, s2, v28
	v_add_co_ci_u32_e64 v57, null, s3, v29, vcc_lo
	s_clause 0x1
	global_load_dword v58, v[56:57], off
	global_load_dword v116, v[56:57], off
	v_add_f32_e32 v0, v0, v76
	s_waitcnt vmcnt(7)
	v_add_f32_e32 v0, v0, v1
	s_waitcnt vmcnt(4)
	;; [unrolled: 2-line block ×4, first 2 shown]
	v_add_f32_e32 v0, v0, v58
	v_add_f32_e32 v3, v3, v66
	;; [unrolled: 1-line block ×3, first 2 shown]
	v_div_scale_f32 v1, null, v0, v0, 1.0
	v_rcp_f32_e32 v2, v1
	v_fma_f32 v56, -v1, v2, 1.0
	v_fmac_f32_e32 v2, v56, v2
	v_div_scale_f32 v56, vcc_lo, 1.0, v0, 1.0
	v_mul_f32_e32 v57, v56, v2
	v_fma_f32 v58, -v1, v57, v56
	v_fmac_f32_e32 v57, v58, v2
	v_fma_f32 v1, -v1, v57, v56
	v_div_fmas_f32 v1, v1, v2, v57
	v_mad_u64_u32 v[56:57], null, 0xffffffb5, s7, v[8:9]
	v_mov_b32_e32 v57, v9
	v_div_fixup_f32 v0, v1, v0, 1.0
	v_lshlrev_b64 v[57:58], 2, v[56:57]
	v_add_co_u32 v57, vcc_lo, s4, v57
	v_add_co_ci_u32_e64 v58, null, s5, v58, vcc_lo
	v_add_co_u32 v50, vcc_lo, s2, v50
	v_add_co_ci_u32_e64 v51, null, s3, v51, vcc_lo
	;; [unrolled: 2-line block ×3, first 2 shown]
	s_clause 0x1
	global_load_dword v2, v[62:63], off
	global_load_dword v8, v[52:53], off
	v_add_co_u32 v52, vcc_lo, s0, v46
	v_add_co_ci_u32_e64 v53, null, s1, v47, vcc_lo
	global_load_dword v62, v[52:53], off
	v_add_co_u32 v52, vcc_lo, s2, v30
	v_add_co_ci_u32_e64 v53, null, s3, v31, vcc_lo
	s_clause 0x1
	global_load_dword v52, v[52:53], off
	global_load_dword v53, v[54:55], off
	global_load_dword v54, v[60:61], off
	s_clause 0x1
	global_load_dword v55, v[64:65], off
	global_load_dword v119, v[50:51], off
	v_add_co_u32 v22, vcc_lo, s4, v22
	v_add_co_ci_u32_e64 v23, null, s5, v23, vcc_lo
	v_add_co_u32 v14, vcc_lo, s4, v14
	v_add_co_ci_u32_e64 v15, null, s5, v15, vcc_lo
	s_waitcnt vmcnt(7)
	v_add_f32_e32 v2, v3, v2
	s_waitcnt vmcnt(6)
	v_add_f32_e32 v2, v2, v8
	v_add_nc_u32_e32 v8, s12, v56
	s_waitcnt vmcnt(5)
	v_add_f32_e32 v2, v2, v62
	s_waitcnt vmcnt(4)
	v_add_f32_e32 v2, v2, v52
	;; [unrolled: 2-line block ×5, first 2 shown]
	v_mul_f32_e32 v1, v0, v2
	global_store_dword v[57:58], v1, off
	v_mul_f32_e32 v1, v0, v83
	global_store_dword v[22:23], v1, off
	v_add_f32_e32 v1, v87, v85
	v_add_f32_e32 v1, v1, v81
	v_add_f32_e32 v1, v1, v80
	v_mul_f32_e32 v1, v0, v1
	global_store_dword v[14:15], v1, off
	v_add_co_u32 v14, vcc_lo, s4, v16
	v_add_co_ci_u32_e64 v15, null, s5, v17, vcc_lo
	s_waitcnt vmcnt(0)
	v_mul_f32_e32 v1, v0, v119
	global_store_dword v[14:15], v1, off
	v_add_co_u32 v14, vcc_lo, s4, v18
	v_add_co_ci_u32_e64 v15, null, s5, v19, vcc_lo
	v_add_co_u32 v16, vcc_lo, s0, v28
	v_add_co_ci_u32_e64 v17, null, s1, v29, vcc_lo
	s_clause 0x1
	global_load_dword v1, v[16:17], off
	global_load_dword v118, v[16:17], off
	s_waitcnt vmcnt(1)
	v_mul_f32_e32 v1, v0, v1
	global_store_dword v[14:15], v1, off
	v_add_co_u32 v14, vcc_lo, s2, v70
	v_add_co_ci_u32_e64 v15, null, s3, v71, vcc_lo
	v_add_co_u32 v16, vcc_lo, s4, v20
	v_add_co_ci_u32_e64 v17, null, s5, v21, vcc_lo
	v_add_co_u32 v18, vcc_lo, s2, v48
	v_add_co_ci_u32_e64 v19, null, s3, v49, vcc_lo
	s_clause 0x2
	global_load_dword v1, v[14:15], off
	global_load_dword v100, v[18:19], off
	;; [unrolled: 1-line block ×3, first 2 shown]
	v_lshlrev_b64 v[14:15], 2, v[8:9]
	v_add_nc_u32_e32 v8, s7, v8
	s_waitcnt vmcnt(2)
	v_mul_f32_e32 v1, v0, v1
	global_store_dword v[16:17], v1, off
	global_load_dword v1, v[18:19], off
	v_add_co_u32 v16, vcc_lo, s4, v14
	v_add_co_ci_u32_e64 v17, null, s5, v15, vcc_lo
	v_add_co_u32 v92, vcc_lo, s0, v14
	v_add_co_ci_u32_e64 v93, null, s1, v15, vcc_lo
	;; [unrolled: 2-line block ×3, first 2 shown]
	v_lshlrev_b64 v[14:15], 2, v[8:9]
	v_add_nc_u32_e32 v8, s7, v8
	v_add_co_u32 v120, vcc_lo, s0, v14
	v_add_co_ci_u32_e64 v121, null, s1, v15, vcc_lo
	v_add_co_u32 v72, vcc_lo, s2, v14
	v_add_co_ci_u32_e64 v73, null, s3, v15, vcc_lo
	v_lshlrev_b64 v[14:15], 2, v[8:9]
	v_add_nc_u32_e32 v8, s7, v8
	v_lshlrev_b64 v[48:49], 2, v[8:9]
	v_add_nc_u32_e32 v8, s7, v8
	v_add_co_u32 v122, vcc_lo, s0, v14
	v_add_co_ci_u32_e64 v123, null, s1, v15, vcc_lo
	v_lshlrev_b64 v[20:21], 2, v[8:9]
	v_add_nc_u32_e32 v8, s7, v8
	v_add_co_u32 v74, vcc_lo, s2, v14
	v_add_co_ci_u32_e64 v75, null, s3, v15, vcc_lo
	v_lshlrev_b64 v[18:19], 2, v[8:9]
	v_add_nc_u32_e32 v8, s7, v8
	v_mad_u64_u32 v[124:125], null, s7, 41, v[8:9]
	v_mov_b32_e32 v125, v9
	s_waitcnt vmcnt(0)
	v_mul_f32_e32 v0, v0, v1
	global_store_dword v[16:17], v0, off
	v_lshlrev_b64 v[16:17], 2, v[8:9]
	v_add_nc_u32_e32 v8, s7, v124
	v_lshlrev_b64 v[56:57], 2, v[8:9]
	v_add_nc_u32_e32 v8, s18, v8
	v_mad_u64_u32 v[126:127], null, s7, 44, v[8:9]
	v_mov_b32_e32 v127, v9
	v_lshlrev_b64 v[22:23], 2, v[8:9]
	v_mad_u64_u32 v[62:63], null, s7, 25, v[126:127]
	v_mov_b32_e32 v63, v9
	v_mad_u64_u32 v[14:15], null, 0xffffff8b, s7, v[62:63]
	v_mov_b32_e32 v15, v9
	v_add_nc_u32_e32 v8, s7, v14
	v_lshlrev_b64 v[14:15], 2, v[14:15]
	v_add_co_u32 v76, vcc_lo, s2, v14
	v_add_co_ci_u32_e64 v77, null, s3, v15, vcc_lo
	v_add_co_u32 v50, vcc_lo, s0, v14
	v_add_co_ci_u32_e64 v51, null, s1, v15, vcc_lo
	v_lshlrev_b64 v[14:15], 2, v[8:9]
	v_add_nc_u32_e32 v8, s7, v8
	v_lshlrev_b64 v[52:53], 2, v[8:9]
	v_add_nc_u32_e32 v8, s7, v8
	;; [unrolled: 2-line block ×3, first 2 shown]
	v_add_co_u32 v78, vcc_lo, s2, v52
	v_add_co_ci_u32_e64 v79, null, s3, v53, vcc_lo
	v_add_co_u32 v52, vcc_lo, s0, v52
	v_lshlrev_b64 v[58:59], 2, v[8:9]
	v_add_co_ci_u32_e64 v53, null, s1, v53, vcc_lo
	v_add_co_u32 v82, vcc_lo, s2, v54
	v_add_co_ci_u32_e64 v83, null, s3, v55, vcc_lo
	v_add_co_u32 v54, vcc_lo, s0, v54
	;; [unrolled: 2-line block ×6, first 2 shown]
	v_add_co_ci_u32_e64 v61, null, s3, v57, vcc_lo
	v_mad_u64_u32 v[56:57], null, s7, 14, v[8:9]
	v_mov_b32_e32 v57, v9
	v_mad_u64_u32 v[90:91], null, s7, 50, v[56:57]
	v_mov_b32_e32 v91, v9
	v_lshlrev_b64 v[64:65], 2, v[56:57]
	v_mad_u64_u32 v[80:81], null, s7, 9, v[90:91]
	v_add_co_u32 v88, vcc_lo, s2, v64
	v_add_co_ci_u32_e64 v89, null, s3, v65, vcc_lo
	v_add_co_u32 v68, vcc_lo, s0, v64
	v_add_nc_u32_e32 v8, s11, v80
	v_add_co_ci_u32_e64 v69, null, s1, v65, vcc_lo
	v_add_co_u32 v12, vcc_lo, s2, v12
	v_lshlrev_b64 v[56:57], 2, v[8:9]
	v_add_co_ci_u32_e64 v13, null, s3, v13, vcc_lo
	s_mul_i32 s11, s7, 20
	v_add_co_u32 v86, vcc_lo, s2, v56
	v_add_co_ci_u32_e64 v87, null, s3, v57, vcc_lo
	v_add_co_u32 v64, vcc_lo, s0, v56
	v_add_co_ci_u32_e64 v65, null, s1, v57, vcc_lo
	;; [unrolled: 2-line block ×3, first 2 shown]
	v_lshlrev_b64 v[10:11], 2, v[62:63]
	v_add_co_u32 v0, vcc_lo, s0, v10
	v_add_co_ci_u32_e64 v1, null, s1, v11, vcc_lo
	v_add_co_u32 v66, vcc_lo, s2, v10
	v_add_co_ci_u32_e64 v67, null, s3, v11, vcc_lo
	;; [unrolled: 2-line block ×4, first 2 shown]
	s_clause 0x2
	global_load_dword v10, v[92:93], off
	global_load_dword v11, v[120:121], off
	;; [unrolled: 1-line block ×3, first 2 shown]
	v_lshlrev_b64 v[123:124], 2, v[124:125]
	global_load_dword v92, v[6:7], off
	v_add_co_u32 v6, vcc_lo, s0, v20
	v_add_co_ci_u32_e64 v7, null, s1, v21, vcc_lo
	global_load_dword v93, v[6:7], off
	v_add_co_u32 v6, vcc_lo, s0, v18
	v_add_co_ci_u32_e64 v7, null, s1, v19, vcc_lo
	;; [unrolled: 3-line block ×4, first 2 shown]
	global_load_dword v6, v[6:7], off
	s_waitcnt vmcnt(6)
	v_add_f32_e32 v7, v10, v11
	v_lshlrev_b64 v[10:11], 2, v[126:127]
	s_waitcnt vmcnt(5)
	v_add_f32_e32 v7, v7, v81
	s_waitcnt vmcnt(4)
	v_add_f32_e32 v7, v7, v92
	v_add_co_u32 v92, vcc_lo, s0, v10
	s_waitcnt vmcnt(3)
	v_add_f32_e32 v7, v7, v93
	v_add_co_ci_u32_e64 v93, null, s1, v11, vcc_lo
	s_waitcnt vmcnt(2)
	v_add_f32_e32 v7, v7, v120
	s_waitcnt vmcnt(1)
	v_add_f32_e32 v7, v7, v121
	s_clause 0x1
	global_load_dword v121, v[2:3], off
	global_load_dword v81, v[0:1], off
	v_add_co_u32 v0, vcc_lo, s0, v22
	v_add_co_ci_u32_e64 v1, null, s1, v23, vcc_lo
	s_clause 0x3
	global_load_dword v122, v[92:93], off
	global_load_dword v92, v[92:93], off
	;; [unrolled: 1-line block ×4, first 2 shown]
	s_waitcnt vmcnt(6)
	v_add_f32_e32 v120, v7, v6
	global_load_dword v3, v[76:77], off
	s_waitcnt vmcnt(6)
	v_add_f32_e32 v0, v120, v121
	s_waitcnt vmcnt(2)
	v_add_f32_e32 v0, v0, v2
	v_add_f32_e32 v0, v0, v122
	;; [unrolled: 1-line block ×7, first 2 shown]
	v_add_co_u32 v0, vcc_lo, s2, v14
	v_add_co_ci_u32_e64 v1, null, s3, v15, vcc_lo
	global_load_dword v6, v[0:1], off
	v_add_f32_e32 v0, v2, v113
	s_clause 0x3
	global_load_dword v2, v[78:79], off
	global_load_dword v79, v[82:83], off
	;; [unrolled: 1-line block ×4, first 2 shown]
	v_lshlrev_b64 v[76:77], 2, v[90:91]
	v_add_f32_e32 v7, v0, v119
	v_add_co_u32 v0, vcc_lo, s2, v76
	v_add_co_ci_u32_e64 v1, null, s3, v77, vcc_lo
	s_clause 0x1
	global_load_dword v83, v[0:1], off
	global_load_dword v78, v[0:1], off
	s_waitcnt vmcnt(7)
	v_add_f32_e32 v0, v7, v3
	s_waitcnt vmcnt(6)
	v_add_f32_e32 v0, v0, v6
	;; [unrolled: 2-line block ×5, first 2 shown]
	v_mov_b32_e32 v81, v9
	s_waitcnt vmcnt(2)
	v_add_f32_e32 v0, v0, v82
	s_clause 0x3
	global_load_dword v85, v[86:87], off
	global_load_dword v79, v[70:71], off
	;; [unrolled: 1-line block ×4, first 2 shown]
	v_lshlrev_b64 v[70:71], 2, v[80:81]
	s_waitcnt vmcnt(5)
	v_add_f32_e32 v84, v0, v83
	v_add_co_u32 v0, vcc_lo, s2, v48
	v_add_co_ci_u32_e64 v1, null, s3, v49, vcc_lo
	global_load_dword v75, v[0:1], off
	v_add_co_u32 v0, vcc_lo, s2, v20
	v_add_co_ci_u32_e64 v1, null, s3, v21, vcc_lo
	v_add_co_u32 v72, vcc_lo, s2, v70
	v_add_co_ci_u32_e64 v73, null, s3, v71, vcc_lo
	s_clause 0x2
	global_load_dword v83, v[0:1], off
	global_load_dword v80, v[72:73], off
	;; [unrolled: 1-line block ×3, first 2 shown]
	s_waitcnt vmcnt(1)
	v_add_f32_e32 v0, v84, v80
	v_add_f32_e32 v6, v0, v85
	v_div_scale_f32 v0, null, v6, v6, 1.0
	v_rcp_f32_e32 v1, v0
	v_fma_f32 v2, -v0, v1, 1.0
	v_fmac_f32_e32 v1, v2, v1
	v_div_scale_f32 v2, vcc_lo, 1.0, v6, 1.0
	v_mul_f32_e32 v3, v2, v1
	v_fma_f32 v7, -v0, v3, v2
	v_fmac_f32_e32 v3, v7, v1
	v_fma_f32 v0, -v0, v3, v2
	v_div_fmas_f32 v7, v0, v1, v3
	v_add_co_u32 v0, vcc_lo, s4, v48
	v_add_co_ci_u32_e64 v1, null, s5, v49, vcc_lo
	v_add_co_u32 v2, vcc_lo, s2, v18
	v_add_co_ci_u32_e64 v3, null, s3, v19, vcc_lo
	global_load_dword v48, v[2:3], off
	v_add_co_u32 v2, vcc_lo, s2, v16
	v_add_co_ci_u32_e64 v3, null, s3, v17, vcc_lo
	global_load_dword v49, v[2:3], off
	global_load_dword v50, v[50:51], off
	v_add_co_u32 v2, vcc_lo, s0, v14
	v_add_co_ci_u32_e64 v3, null, s1, v15, vcc_lo
	s_clause 0x3
	global_load_dword v51, v[2:3], off
	global_load_dword v52, v[52:53], off
	;; [unrolled: 1-line block ×4, first 2 shown]
	v_add_co_u32 v2, vcc_lo, s2, v123
	v_add_co_ci_u32_e64 v3, null, s3, v124, vcc_lo
	s_clause 0x1
	global_load_dword v2, v[2:3], off
	global_load_dword v3, v[60:61], off
	;; [unrolled: 1-line block ×3, first 2 shown]
	v_add_f32_e32 v58, v79, v82
	v_add_f32_e32 v58, v58, v74
	;; [unrolled: 1-line block ×4, first 2 shown]
	s_waitcnt vmcnt(9)
	v_add_f32_e32 v48, v58, v48
	s_waitcnt vmcnt(8)
	v_add_f32_e32 v48, v48, v49
	;; [unrolled: 2-line block ×9, first 2 shown]
	global_load_dword v3, v[64:65], off
	s_clause 0x1
	global_load_dword v48, v[12:13], off
	global_load_dword v64, v[12:13], off
	s_waitcnt vmcnt(3)
	v_add_f32_e32 v2, v2, v55
	s_waitcnt vmcnt(1)
	v_add_f32_e32 v2, v2, v48
	v_div_fixup_f32 v48, v7, v6, 1.0
	v_add_f32_e32 v2, v2, v3
	s_clause 0x2
	global_load_dword v3, v[66:67], off
	global_load_dword v12, v[56:57], off
	;; [unrolled: 1-line block ×3, first 2 shown]
	s_waitcnt vmcnt(1)
	v_add_f32_e32 v2, v2, v12
	v_add_f32_e32 v2, v2, v3
	s_clause 0x1
	global_load_dword v3, v[62:63], off
	global_load_dword v59, v[62:63], off
	s_waitcnt vmcnt(1)
	v_add_f32_e32 v2, v2, v3
	v_mul_f32_e32 v2, v48, v2
	global_store_dword v[0:1], v2, off
	s_clause 0x1
	buffer_load_dword v2, off, s[20:23], 0
	buffer_load_dword v3, off, s[20:23], 0 offset:4
	v_add_co_u32 v0, vcc_lo, s4, v20
	v_add_co_ci_u32_e64 v1, null, s5, v21, vcc_lo
	s_waitcnt vmcnt(0)
	v_add_f32_e32 v2, v3, v2
	v_add_f32_e32 v2, v2, v99
	v_mul_f32_e32 v2, v48, v2
	global_store_dword v[0:1], v2, off
	v_add_f32_e32 v2, v102, v101
	v_add_co_u32 v0, vcc_lo, s4, v18
	v_add_co_ci_u32_e64 v1, null, s5, v19, vcc_lo
	v_mul_f32_e32 v2, v48, v2
	global_store_dword v[0:1], v2, off
	v_add_co_u32 v0, vcc_lo, s4, v16
	v_add_co_ci_u32_e64 v1, null, s5, v17, vcc_lo
	v_mul_f32_e32 v2, v48, v112
	global_store_dword v[0:1], v2, off
	v_add_co_u32 v0, vcc_lo, s2, v22
	v_add_co_ci_u32_e64 v1, null, s3, v23, vcc_lo
	v_add_co_u32 v2, vcc_lo, s0, v76
	v_add_co_ci_u32_e64 v3, null, s1, v77, vcc_lo
	s_clause 0x1
	global_load_dword v12, v[2:3], off
	global_load_dword v66, v[2:3], off
	s_clause 0x1
	global_load_dword v2, v[0:1], off
	global_load_dword v65, v[0:1], off
	v_add_co_u32 v6, vcc_lo, s4, v42
	v_add_co_ci_u32_e64 v7, null, s5, v43, vcc_lo
	s_waitcnt vmcnt(1)
	v_add_f32_e32 v0, v2, v12
	v_mul_f32_e32 v0, v48, v0
	global_store_dword v[6:7], v0, off
	v_add_co_u32 v0, vcc_lo, s2, v10
	v_add_co_ci_u32_e64 v1, null, s3, v11, vcc_lo
	s_clause 0x1
	global_load_dword v6, v[0:1], off
	global_load_dword v61, v[0:1], off
	v_add_co_u32 v2, vcc_lo, s4, v40
	v_add_co_ci_u32_e64 v3, null, s5, v41, vcc_lo
	s_waitcnt vmcnt(1)
	v_mul_f32_e32 v0, v48, v6
	v_mad_u64_u32 v[6:7], null, 0xffffffc1, s7, v[8:9]
	global_store_dword v[2:3], v0, off
	v_add_co_u32 v0, vcc_lo, s0, v70
	v_add_co_ci_u32_e64 v1, null, s1, v71, vcc_lo
	v_add_nc_u32_e32 v8, s7, v6
	v_add_co_u32 v2, vcc_lo, s4, v38
	v_add_co_ci_u32_e64 v3, null, s5, v39, vcc_lo
	v_lshlrev_b64 v[12:13], 2, v[8:9]
	v_add_nc_u32_e32 v8, s13, v8
	v_add_co_u32 v10, vcc_lo, s0, v12
	v_add_co_ci_u32_e64 v11, null, s1, v13, vcc_lo
	global_load_dword v49, v[10:11], off
	v_lshlrev_b64 v[10:11], 2, v[8:9]
	v_add_nc_u32_e32 v8, s7, v8
	v_add_co_u32 v16, vcc_lo, s0, v10
	v_add_co_ci_u32_e64 v17, null, s1, v11, vcc_lo
	global_load_dword v50, v[16:17], off
	;; [unrolled: 5-line block ×3, first 2 shown]
	v_lshlrev_b64 v[18:19], 2, v[8:9]
	v_add_co_u32 v20, vcc_lo, s0, v18
	v_add_co_ci_u32_e64 v21, null, s1, v19, vcc_lo
	s_clause 0x2
	global_load_dword v52, v[20:21], off
	global_load_dword v7, v[0:1], off
	;; [unrolled: 1-line block ×3, first 2 shown]
	s_waitcnt vmcnt(1)
	v_mul_f32_e32 v0, v48, v7
	v_mov_b32_e32 v7, v9
	global_store_dword v[2:3], v0, off
	v_mad_u64_u32 v[0:1], null, 0xffffffe2, s7, v[8:9]
	v_mov_b32_e32 v1, v9
	v_lshlrev_b64 v[6:7], 2, v[6:7]
	v_add_nc_u32_e32 v8, s15, v0
	v_lshlrev_b64 v[0:1], 2, v[0:1]
	v_lshlrev_b64 v[20:21], 2, v[8:9]
	v_add_nc_u32_e32 v8, s14, v8
	v_add_co_u32 v2, vcc_lo, s2, v0
	v_add_co_ci_u32_e64 v3, null, s3, v1, vcc_lo
	v_add_co_u32 v0, vcc_lo, s0, v0
	v_lshlrev_b64 v[38:39], 2, v[8:9]
	v_add_co_ci_u32_e64 v1, null, s1, v1, vcc_lo
	v_add_co_u32 v22, vcc_lo, s2, v20
	v_add_co_ci_u32_e64 v23, null, s3, v21, vcc_lo
	v_add_co_u32 v20, vcc_lo, s0, v20
	;; [unrolled: 2-line block ×5, first 2 shown]
	v_add_co_ci_u32_e64 v43, null, s1, v7, vcc_lo
	global_load_dword v42, v[42:43], off
	s_clause 0x2
	global_load_dword v2, v[2:3], off
	global_load_dword v3, v[22:23], off
	;; [unrolled: 1-line block ×3, first 2 shown]
	v_add_co_u32 v6, vcc_lo, s2, v6
	v_add_co_ci_u32_e64 v7, null, s3, v7, vcc_lo
	v_add_co_u32 v12, vcc_lo, s2, v12
	v_add_co_ci_u32_e64 v13, null, s3, v13, vcc_lo
	;; [unrolled: 2-line block ×4, first 2 shown]
	v_add_nc_u32_e32 v8, s10, v8
	s_mul_i32 s10, s7, 21
	s_waitcnt vmcnt(3)
	v_add_f32_e32 v23, v42, v49
	v_add_f32_e32 v23, v23, v118
	;; [unrolled: 1-line block ×5, first 2 shown]
	s_waitcnt vmcnt(2)
	v_add_f32_e32 v2, v23, v2
	s_waitcnt vmcnt(1)
	v_add_f32_e32 v2, v2, v3
	;; [unrolled: 2-line block ×3, first 2 shown]
	v_div_scale_f32 v2, null, v22, v22, 1.0
	v_rcp_f32_e32 v3, v2
	v_fma_f32 v23, -v2, v3, 1.0
	v_fmac_f32_e32 v3, v23, v3
	v_div_scale_f32 v23, vcc_lo, 1.0, v22, 1.0
	v_mul_f32_e32 v40, v23, v3
	v_fma_f32 v41, -v2, v40, v23
	v_fmac_f32_e32 v40, v41, v3
	v_fma_f32 v2, -v2, v40, v23
	v_div_fmas_f32 v23, v2, v3, v40
	v_add_co_u32 v2, vcc_lo, s4, v36
	s_clause 0x2
	global_load_dword v36, v[0:1], off
	global_load_dword v20, v[20:21], off
	;; [unrolled: 1-line block ×3, first 2 shown]
	s_clause 0x1
	global_load_dword v6, v[6:7], off
	global_load_dword v7, v[12:13], off
	v_add_co_ci_u32_e64 v3, null, s5, v37, vcc_lo
	v_add_co_u32 v0, vcc_lo, s2, v10
	v_add_co_ci_u32_e64 v1, null, s3, v11, vcc_lo
	s_clause 0x2
	global_load_dword v0, v[0:1], off
	global_load_dword v1, v[16:17], off
	global_load_dword v12, v[18:19], off
	s_waitcnt vmcnt(6)
	v_add_f32_e32 v13, v36, v20
	s_waitcnt vmcnt(5)
	v_add_f32_e32 v13, v13, v21
	;; [unrolled: 2-line block ×5, first 2 shown]
	v_div_fixup_f32 v6, v23, v22, 1.0
	s_waitcnt vmcnt(1)
	v_add_f32_e32 v0, v0, v1
	s_waitcnt vmcnt(0)
	v_add_f32_e32 v0, v0, v12
	v_mul_f32_e32 v0, v6, v0
	global_store_dword v[2:3], v0, off
	v_add_co_u32 v0, vcc_lo, s4, v94
	v_add_co_ci_u32_e64 v1, null, s5, v95, vcc_lo
	v_mul_f32_e32 v2, v6, v116
	global_store_dword v[0:1], v2, off
	v_lshlrev_b64 v[0:1], 2, v[8:9]
	v_add_nc_u32_e32 v8, s13, v8
	v_mad_u64_u32 v[2:3], null, s7, -10, v[8:9]
	v_mov_b32_e32 v3, v9
	v_lshlrev_b64 v[6:7], 2, v[8:9]
	v_add_nc_u32_e32 v8, s11, v2
	v_lshlrev_b64 v[2:3], 2, v[2:3]
	v_lshlrev_b64 v[20:21], 2, v[8:9]
	v_add_nc_u32_e32 v8, s10, v8
	v_add_co_u32 v12, vcc_lo, s2, v2
	v_add_co_ci_u32_e64 v13, null, s3, v3, vcc_lo
	v_add_co_u32 v2, vcc_lo, s0, v2
	v_add_co_ci_u32_e64 v3, null, s1, v3, vcc_lo
	;; [unrolled: 2-line block ×5, first 2 shown]
	s_clause 0x1
	global_load_dword v16, v[16:17], off
	global_load_dword v17, v[18:19], off
	v_lshlrev_b64 v[22:23], 2, v[8:9]
	v_add_nc_u32_e32 v8, s18, v8
	v_add_co_u32 v6, vcc_lo, s2, v6
	v_add_co_ci_u32_e64 v7, null, s3, v7, vcc_lo
	v_lshlrev_b64 v[38:39], 2, v[8:9]
	v_add_co_u32 v36, vcc_lo, s2, v22
	v_add_co_ci_u32_e64 v37, null, s3, v23, vcc_lo
	v_add_co_u32 v22, vcc_lo, s0, v22
	v_add_co_ci_u32_e64 v23, null, s1, v23, vcc_lo
	;; [unrolled: 2-line block ×4, first 2 shown]
	s_waitcnt vmcnt(1)
	v_add_f32_e32 v16, v16, v111
	s_waitcnt vmcnt(0)
	v_add_f32_e32 v16, v16, v17
	s_clause 0x2
	global_load_dword v17, v[12:13], off
	global_load_dword v18, v[36:37], off
	;; [unrolled: 1-line block ×3, first 2 shown]
	v_add_co_u32 v12, vcc_lo, s2, v20
	v_add_co_ci_u32_e64 v13, null, s3, v21, vcc_lo
	s_clause 0x1
	global_load_dword v36, v[12:13], off
	global_load_dword v67, v[12:13], off
	v_add_f32_e32 v16, v16, v110
	s_waitcnt vmcnt(4)
	v_add_f32_e32 v12, v16, v17
	s_waitcnt vmcnt(1)
	v_add_f32_e32 v12, v12, v36
	v_add_f32_e32 v12, v12, v18
	v_add_f32_e32 v12, v12, v117
	v_add_f32_e32 v36, v12, v19
	v_div_scale_f32 v12, null, v36, v36, 1.0
	v_rcp_f32_e32 v13, v12
	v_fma_f32 v16, -v12, v13, 1.0
	v_fmac_f32_e32 v13, v16, v13
	v_div_scale_f32 v16, vcc_lo, 1.0, v36, 1.0
	v_mul_f32_e32 v17, v16, v13
	v_fma_f32 v18, -v12, v17, v16
	v_fmac_f32_e32 v17, v18, v13
	v_fma_f32 v12, -v12, v17, v16
	v_div_fmas_f32 v37, v12, v13, v17
	v_add_co_u32 v12, vcc_lo, s4, v44
	v_add_co_ci_u32_e64 v13, null, s5, v45, vcc_lo
	v_add_co_u32 v16, vcc_lo, s0, v20
	v_add_co_ci_u32_e64 v17, null, s1, v21, vcc_lo
	global_load_dword v2, v[2:3], off
	s_clause 0x1
	global_load_dword v0, v[0:1], off
	global_load_dword v1, v[6:7], off
	s_clause 0x2
	global_load_dword v22, v[22:23], off
	global_load_dword v23, v[38:39], off
	;; [unrolled: 1-line block ×3, first 2 shown]
	s_waitcnt vmcnt(4)
	v_add_f32_e32 v0, v2, v0
	s_waitcnt vmcnt(3)
	v_add_f32_e32 v38, v0, v1
	v_mad_u64_u32 v[0:1], null, 0xffffffb9, s7, v[8:9]
	v_mov_b32_e32 v1, v9
	v_add_nc_u32_e32 v8, s17, v0
	v_lshlrev_b64 v[0:1], 2, v[0:1]
	v_add_co_u32 v2, vcc_lo, s0, v0
	v_add_co_ci_u32_e64 v3, null, s1, v1, vcc_lo
	global_load_dword v76, v[2:3], off
	v_lshlrev_b64 v[2:3], 2, v[8:9]
	v_add_nc_u32_e32 v8, s7, v8
	v_add_co_u32 v6, vcc_lo, s0, v2
	v_add_co_ci_u32_e64 v7, null, s1, v3, vcc_lo
	global_load_dword v77, v[6:7], off
	v_lshlrev_b64 v[6:7], 2, v[8:9]
	v_add_nc_u32_e32 v8, s13, v8
	;; [unrolled: 5-line block ×4, first 2 shown]
	v_add_co_u32 v20, vcc_lo, s0, v18
	v_add_co_ci_u32_e64 v21, null, s1, v19, vcc_lo
	global_load_dword v81, v[20:21], off
	s_waitcnt vmcnt(7)
	v_add_f32_e32 v20, v38, v22
	v_div_fixup_f32 v21, v37, v36, 1.0
	s_waitcnt vmcnt(6)
	v_add_f32_e32 v20, v20, v23
	v_mul_f32_e32 v20, v21, v20
	global_store_dword v[12:13], v20, off
	v_add_f32_e32 v20, v109, v108
	v_add_co_u32 v12, vcc_lo, s4, v34
	v_add_co_ci_u32_e64 v13, null, s5, v35, vcc_lo
	v_mul_f32_e32 v20, v21, v20
	global_store_dword v[12:13], v20, off
	v_add_co_u32 v12, vcc_lo, s4, v32
	v_add_co_ci_u32_e64 v13, null, s5, v33, vcc_lo
	v_mul_f32_e32 v20, v21, v115
	global_store_dword v[12:13], v20, off
	v_add_co_u32 v12, vcc_lo, s4, v14
	v_add_co_ci_u32_e64 v13, null, s5, v15, vcc_lo
	v_add_co_u32 v20, vcc_lo, s2, v0
	s_waitcnt vmcnt(5)
	v_mul_f32_e32 v14, v21, v75
	v_add_co_ci_u32_e64 v21, null, s3, v1, vcc_lo
	v_add_co_u32 v36, vcc_lo, s2, v2
	v_add_co_ci_u32_e64 v37, null, s3, v3, vcc_lo
	v_add_co_u32 v2, vcc_lo, s2, v6
	v_lshlrev_b64 v[0:1], 2, v[8:9]
	global_store_dword v[12:13], v14, off
	v_add_co_ci_u32_e64 v3, null, s3, v7, vcc_lo
	v_add_co_u32 v12, vcc_lo, s2, v16
	v_add_co_ci_u32_e64 v13, null, s3, v17, vcc_lo
	v_add_co_u32 v14, vcc_lo, s2, v18
	v_add_nc_u32_e32 v8, s7, v8
	v_add_co_ci_u32_e64 v15, null, s3, v19, vcc_lo
	v_add_co_u32 v62, vcc_lo, s0, v0
	v_add_co_ci_u32_e64 v63, null, s1, v1, vcc_lo
	v_add_co_u32 v16, vcc_lo, s2, v0
	v_add_co_ci_u32_e64 v17, null, s3, v1, vcc_lo
	v_lshlrev_b64 v[0:1], 2, v[8:9]
	v_add_nc_u32_e32 v8, s7, v8
	v_lshlrev_b64 v[32:33], 2, v[8:9]
	v_add_nc_u32_e32 v8, s13, v8
	v_add_co_u32 v68, vcc_lo, s0, v0
	v_add_co_ci_u32_e64 v69, null, s1, v1, vcc_lo
	v_lshlrev_b64 v[34:35], 2, v[8:9]
	v_add_nc_u32_e32 v8, s7, v8
	v_add_co_u32 v18, vcc_lo, s2, v0
	v_add_co_ci_u32_e64 v19, null, s3, v1, vcc_lo
	;; [unrolled: 4-line block ×3, first 2 shown]
	v_add_co_u32 v22, vcc_lo, s2, v0
	v_add_co_ci_u32_e64 v23, null, s3, v1, vcc_lo
	v_lshlrev_b64 v[0:1], 2, v[8:9]
	v_add_nc_u32_e32 v8, s7, v8
	v_add_co_u32 v73, vcc_lo, s0, v0
	v_add_co_ci_u32_e64 v74, null, s1, v1, vcc_lo
	v_add_co_u32 v38, vcc_lo, s2, v0
	v_add_co_ci_u32_e64 v39, null, s3, v1, vcc_lo
	v_lshlrev_b64 v[0:1], 2, v[8:9]
	v_add_nc_u32_e32 v8, s7, v8
	v_add_co_u32 v83, vcc_lo, s0, v0
	v_add_co_ci_u32_e64 v84, null, s1, v1, vcc_lo
	;; [unrolled: 6-line block ×8, first 2 shown]
	v_add_co_u32 v54, vcc_lo, s0, v0
	v_add_co_ci_u32_e64 v55, null, s1, v1, vcc_lo
	v_lshlrev_b64 v[0:1], 2, v[8:9]
	v_add_co_u32 v107, vcc_lo, s2, v0
	v_add_co_ci_u32_e64 v108, null, s3, v1, vcc_lo
	v_add_co_u32 v56, vcc_lo, s0, v0
	v_add_co_ci_u32_e64 v57, null, s1, v1, vcc_lo
	;; [unrolled: 2-line block ×3, first 2 shown]
	s_waitcnt vmcnt(3)
	v_add_f32_e32 v0, v76, v77
	s_waitcnt vmcnt(2)
	v_add_f32_e32 v0, v0, v79
	v_add_f32_e32 v0, v0, v75
	s_waitcnt vmcnt(1)
	v_add_f32_e32 v0, v0, v80
	s_waitcnt vmcnt(0)
	v_add_f32_e32 v80, v0, v81
	v_add_co_u32 v0, vcc_lo, s0, v34
	v_add_co_ci_u32_e64 v1, null, s1, v35, vcc_lo
	s_clause 0x5
	global_load_dword v81, v[62:63], off
	global_load_dword v82, v[68:69], off
	;; [unrolled: 1-line block ×6, first 2 shown]
	s_clause 0x5
	global_load_dword v68, v[87:88], off
	global_load_dword v69, v[89:90], off
	;; [unrolled: 1-line block ×6, first 2 shown]
	s_clause 0x1
	global_load_dword v83, v[0:1], off
	global_load_dword v62, v[0:1], off
	v_add_co_u32 v0, vcc_lo, s0, v32
	v_add_co_ci_u32_e64 v1, null, s1, v33, vcc_lo
	s_clause 0x1
	global_load_dword v84, v[0:1], off
	global_load_dword v63, v[0:1], off
	buffer_load_dword v1, off, s[20:23], 0 offset:12 ; 4-byte Folded Reload
	s_waitcnt vmcnt(16)
	v_add_f32_e32 v0, v80, v81
	s_waitcnt vmcnt(15)
	v_add_f32_e32 v0, v0, v82
	;; [unrolled: 2-line block ×3, first 2 shown]
	v_add_f32_e32 v0, v0, v66
	v_add_f32_e32 v0, v0, v83
	;; [unrolled: 1-line block ×6, first 2 shown]
	s_waitcnt vmcnt(0)
	v_add_f32_e32 v0, v0, v1
	v_add_f32_e32 v0, v0, v104
	;; [unrolled: 1-line block ×3, first 2 shown]
	s_clause 0x1
	global_load_dword v65, v[20:21], off
	global_load_dword v36, v[36:37], off
	v_add_f32_e32 v0, v0, v68
	v_add_f32_e32 v0, v0, v69
	;; [unrolled: 1-line block ×6, first 2 shown]
	v_div_scale_f32 v0, null, v37, v37, 1.0
	v_rcp_f32_e32 v1, v0
	v_fma_f32 v20, -v0, v1, 1.0
	v_fmac_f32_e32 v1, v20, v1
	v_div_scale_f32 v20, vcc_lo, 1.0, v37, 1.0
	v_mul_f32_e32 v21, v20, v1
	v_fma_f32 v66, -v0, v21, v20
	v_fmac_f32_e32 v21, v66, v1
	v_fma_f32 v0, -v0, v21, v20
	v_div_fmas_f32 v66, v0, v1, v21
	v_add_co_u32 v0, vcc_lo, s4, v4
	v_add_co_ci_u32_e64 v1, null, s5, v5, vcc_lo
	v_add_co_u32 v4, vcc_lo, s2, v32
	v_add_co_ci_u32_e64 v5, null, s3, v33, vcc_lo
	v_add_co_u32 v20, vcc_lo, s2, v34
	s_clause 0x8
	global_load_dword v2, v[2:3], off
	global_load_dword v3, v[12:13], off
	;; [unrolled: 1-line block ×9, first 2 shown]
	s_clause 0x5
	global_load_dword v19, v[44:45], off
	global_load_dword v22, v[48:49], off
	;; [unrolled: 1-line block ×6, first 2 shown]
	v_add_co_ci_u32_e64 v21, null, s3, v35, vcc_lo
	s_waitcnt vmcnt(15)
	v_add_f32_e32 v35, v65, v36
	s_waitcnt vmcnt(14)
	v_add_f32_e32 v2, v35, v2
	s_waitcnt vmcnt(13)
	v_add_f32_e32 v2, v2, v3
	s_clause 0x3
	global_load_dword v3, v[6:7], off
	global_load_dword v48, v[20:21], off
	;; [unrolled: 1-line block ×4, first 2 shown]
	buffer_load_dword v6, off, s[20:23], 0 offset:8 ; 4-byte Folded Reload
	s_waitcnt vmcnt(17)
	v_add_f32_e32 v2, v2, v12
	s_waitcnt vmcnt(16)
	v_add_f32_e32 v2, v2, v13
	s_waitcnt vmcnt(15)
	v_add_f32_e32 v2, v2, v14
	s_waitcnt vmcnt(14)
	v_add_f32_e32 v2, v2, v15
	v_add_f32_e32 v2, v2, v64
	s_waitcnt vmcnt(13)
	v_add_f32_e32 v2, v2, v16
	s_waitcnt vmcnt(12)
	;; [unrolled: 2-line block ×10, first 2 shown]
	v_add_f32_e32 v2, v2, v3
	v_div_fixup_f32 v3, v66, v37, 1.0
	v_mul_f32_e32 v2, v3, v2
	s_waitcnt vmcnt(0)
	v_mul_f32_e32 v6, v3, v6
	global_store_dword v[0:1], v2, off
	v_mad_u64_u32 v[0:1], null, 0xffffff92, s7, v[8:9]
	v_mov_b32_e32 v1, v9
	v_lshlrev_b64 v[1:2], 2, v[0:1]
	v_add_nc_u32_e32 v8, s7, v0
	v_add_co_u32 v1, vcc_lo, s4, v1
	v_add_co_ci_u32_e64 v2, null, s5, v2, vcc_lo
	global_store_dword v[1:2], v6, off
	v_lshlrev_b64 v[0:1], 2, v[8:9]
	v_mul_f32_e32 v2, v3, v103
	v_add_nc_u32_e32 v8, s16, v8
	v_add_co_u32 v0, vcc_lo, s4, v0
	v_add_co_ci_u32_e64 v1, null, s5, v1, vcc_lo
	global_store_dword v[0:1], v2, off
	v_add_f32_e32 v2, v93, v78
	v_add_co_u32 v0, vcc_lo, s4, v46
	v_add_co_ci_u32_e64 v1, null, s5, v47, vcc_lo
	v_mul_f32_e32 v2, v3, v2
	global_store_dword v[0:1], v2, off
	v_lshlrev_b64 v[0:1], 2, v[8:9]
	v_mul_f32_e32 v2, v3, v67
	v_add_nc_u32_e32 v8, s14, v8
	v_add_co_u32 v0, vcc_lo, s4, v0
	v_add_co_ci_u32_e64 v1, null, s5, v1, vcc_lo
	global_store_dword v[0:1], v2, off
	s_clause 0x1
	global_load_dword v2, v[4:5], off
	global_load_dword v4, v[20:21], off
	v_lshlrev_b64 v[0:1], 2, v[8:9]
	v_add_co_u32 v0, vcc_lo, s4, v0
	v_add_co_ci_u32_e64 v1, null, s5, v1, vcc_lo
	s_waitcnt vmcnt(0)
	v_add_f32_e32 v2, v2, v4
	v_mul_f32_e32 v2, v3, v2
	global_store_dword v[0:1], v2, off
	v_mad_u64_u32 v[0:1], null, 0x54, s7, v[8:9]
	v_add_nc_u32_e32 v8, s7, v0
	v_lshlrev_b64 v[12:13], 2, v[8:9]
	v_add_nc_u32_e32 v8, s7, v8
	v_lshlrev_b64 v[14:15], 2, v[8:9]
	;; [unrolled: 2-line block ×7, first 2 shown]
	v_add_nc_u32_e32 v8, s7, v8
	v_mad_u64_u32 v[1:2], null, 0xffffffac, s7, v[8:9]
	v_mov_b32_e32 v2, v9
	v_lshlrev_b64 v[34:35], 2, v[8:9]
	v_lshlrev_b64 v[2:3], 2, v[1:2]
	v_add_co_u32 v44, vcc_lo, s2, v2
	v_add_co_ci_u32_e64 v45, null, s3, v3, vcc_lo
	v_add_co_u32 v2, vcc_lo, s0, v2
	v_add_co_ci_u32_e64 v3, null, s1, v3, vcc_lo
	v_mad_u64_u32 v[36:37], null, s7, 62, v[1:2]
	v_mov_b32_e32 v37, v9
	v_mov_b32_e32 v1, v9
	v_lshlrev_b64 v[4:5], 2, v[36:37]
	v_lshlrev_b64 v[0:1], 2, v[0:1]
	v_mad_u64_u32 v[36:37], null, s7, 24, v[36:37]
	v_mov_b32_e32 v37, v9
	v_add_co_u32 v46, vcc_lo, s2, v4
	v_add_co_ci_u32_e64 v47, null, s3, v5, vcc_lo
	v_add_co_u32 v4, vcc_lo, s0, v4
	v_add_co_ci_u32_e64 v5, null, s1, v5, vcc_lo
	;; [unrolled: 2-line block ×19, first 2 shown]
	s_clause 0x8
	global_load_dword v51, v[51:52], off
	global_load_dword v0, v[0:1], off
	;; [unrolled: 1-line block ×9, first 2 shown]
	v_add_nc_u32_e32 v8, s7, v36
	v_lshlrev_b64 v[36:37], 2, v[36:37]
	v_add_co_u32 v34, vcc_lo, s2, v34
	v_add_co_ci_u32_e64 v35, null, s3, v35, vcc_lo
	v_lshlrev_b64 v[38:39], 2, v[8:9]
	v_add_nc_u32_e32 v8, s7, v8
	v_add_co_u32 v75, vcc_lo, s2, v36
	v_add_co_ci_u32_e64 v76, null, s3, v37, vcc_lo
	v_lshlrev_b64 v[40:41], 2, v[8:9]
	v_add_nc_u32_e32 v8, s13, v8
	v_add_co_u32 v36, vcc_lo, s0, v36
	v_add_co_ci_u32_e64 v37, null, s1, v37, vcc_lo
	v_add_co_u32 v77, vcc_lo, s2, v38
	v_add_co_ci_u32_e64 v78, null, s3, v39, vcc_lo
	v_add_co_u32 v38, vcc_lo, s0, v38
	v_lshlrev_b64 v[42:43], 2, v[8:9]
	v_add_co_ci_u32_e64 v39, null, s1, v39, vcc_lo
	v_add_co_u32 v79, vcc_lo, s2, v40
	v_add_co_ci_u32_e64 v80, null, s3, v41, vcc_lo
	v_add_co_u32 v40, vcc_lo, s0, v40
	;; [unrolled: 2-line block ×3, first 2 shown]
	v_add_co_ci_u32_e64 v82, null, s3, v43, vcc_lo
	v_add_nc_u32_e32 v8, s8, v8
	v_add_co_u32 v42, vcc_lo, s0, v42
	v_add_co_ci_u32_e64 v43, null, s1, v43, vcc_lo
	s_waitcnt vmcnt(7)
	v_add_f32_e32 v0, v51, v0
	global_load_dword v51, v[44:45], off
	s_waitcnt vmcnt(7)
	v_add_f32_e32 v0, v0, v1
	s_waitcnt vmcnt(6)
	v_add_f32_e32 v0, v0, v52
	global_load_dword v52, v[46:47], off
	s_waitcnt vmcnt(6)
	v_add_f32_e32 v0, v0, v53
	global_load_dword v53, v[75:76], off
	v_lshlrev_b64 v[44:45], 2, v[8:9]
	v_add_nc_u32_e32 v8, s13, v8
	s_waitcnt vmcnt(6)
	v_add_f32_e32 v0, v0, v54
	v_add_co_u32 v46, vcc_lo, s2, v44
	s_waitcnt vmcnt(5)
	v_add_f32_e32 v0, v0, v55
	v_add_co_ci_u32_e64 v47, null, s3, v45, vcc_lo
	s_waitcnt vmcnt(4)
	v_add_f32_e32 v0, v0, v56
	s_clause 0x4
	global_load_dword v55, v[77:78], off
	global_load_dword v56, v[79:80], off
	;; [unrolled: 1-line block ×5, first 2 shown]
	s_waitcnt vmcnt(8)
	v_add_f32_e32 v57, v0, v57
	s_waitcnt vmcnt(7)
	v_add_f32_e32 v0, v57, v51
	;; [unrolled: 2-line block ×3, first 2 shown]
	v_add_f32_e32 v0, v0, v61
	s_waitcnt vmcnt(5)
	v_add_f32_e32 v0, v0, v53
	s_waitcnt vmcnt(4)
	;; [unrolled: 2-line block ×3, first 2 shown]
	v_add_f32_e32 v0, v0, v56
	v_add_f32_e32 v0, v0, v100
	s_waitcnt vmcnt(2)
	v_add_f32_e32 v0, v0, v54
	s_waitcnt vmcnt(1)
	v_add_f32_e32 v56, v0, v64
	v_lshlrev_b64 v[0:1], 2, v[8:9]
	v_add_nc_u32_e32 v8, s14, v8
	v_lshlrev_b64 v[52:53], 2, v[8:9]
	v_add_nc_u32_e32 v8, s6, v8
	v_add_co_u32 v54, vcc_lo, s2, v52
	v_add_co_ci_u32_e64 v55, null, s3, v53, vcc_lo
	s_clause 0x1
	global_load_dword v57, v[54:55], off
	global_load_dword v46, v[54:55], off
	v_add_co_u32 v54, vcc_lo, s2, v0
	v_add_co_ci_u32_e64 v55, null, s3, v1, vcc_lo
	s_clause 0x1
	global_load_dword v61, v[54:55], off
	global_load_dword v51, v[54:55], off
	s_clause 0x1
	global_load_dword v2, v[2:3], off
	global_load_dword v3, v[4:5], off
	;; [unrolled: 3-line block ×3, first 2 shown]
	global_load_dword v6, v[14:15], off
	global_load_dword v7, v[16:17], off
	;; [unrolled: 1-line block ×7, first 2 shown]
	s_clause 0x3
	global_load_dword v17, v[36:37], off
	global_load_dword v18, v[38:39], off
	global_load_dword v19, v[40:41], off
	global_load_dword v20, v[42:43], off
	s_waitcnt vmcnt(13)
	v_add_f32_e32 v2, v2, v3
	s_waitcnt vmcnt(12)
	v_add_f32_e32 v2, v2, v4
	;; [unrolled: 2-line block ×3, first 2 shown]
	v_add_f32_e32 v54, v56, v61
	s_waitcnt vmcnt(10)
	v_add_f32_e32 v2, v2, v6
	v_add_f32_e32 v56, v54, v57
	s_waitcnt vmcnt(9)
	v_add_f32_e32 v2, v2, v7
	v_div_scale_f32 v54, null, v56, v56, 1.0
	s_waitcnt vmcnt(8)
	v_add_f32_e32 v2, v2, v12
	v_rcp_f32_e32 v55, v54
	s_waitcnt vmcnt(7)
	v_add_f32_e32 v2, v2, v13
	s_waitcnt vmcnt(6)
	v_add_f32_e32 v2, v2, v14
	v_fma_f32 v57, -v54, v55, 1.0
	s_waitcnt vmcnt(5)
	v_add_f32_e32 v2, v2, v15
	v_fmac_f32_e32 v55, v57, v55
	v_div_scale_f32 v57, vcc_lo, 1.0, v56, 1.0
	s_waitcnt vmcnt(4)
	v_add_f32_e32 v2, v2, v16
	v_mul_f32_e32 v61, v57, v55
	v_add_f32_e32 v2, v2, v60
	v_fma_f32 v64, -v54, v61, v57
	v_fmac_f32_e32 v61, v64, v55
	v_fma_f32 v54, -v54, v61, v57
	v_div_fmas_f32 v57, v54, v55, v61
	v_add_co_u32 v54, vcc_lo, s4, v123
	v_add_co_ci_u32_e64 v55, null, s5, v124, vcc_lo
	v_add_co_u32 v44, vcc_lo, s0, v44
	v_add_co_ci_u32_e64 v45, null, s1, v45, vcc_lo
	;; [unrolled: 2-line block ×3, first 2 shown]
	s_clause 0x2
	global_load_dword v60, v[44:45], off
	global_load_dword v4, v[0:1], off
	;; [unrolled: 1-line block ×3, first 2 shown]
	s_waitcnt vmcnt(6)
	v_add_f32_e32 v0, v2, v17
	v_div_fixup_f32 v6, v57, v56, 1.0
	s_waitcnt vmcnt(5)
	v_add_f32_e32 v0, v0, v18
	v_mul_f32_e32 v2, v6, v98
	v_mul_f32_e32 v7, v6, v92
	s_waitcnt vmcnt(4)
	v_add_f32_e32 v0, v0, v19
	s_waitcnt vmcnt(3)
	v_add_f32_e32 v0, v0, v20
	v_add_f32_e32 v0, v0, v59
	;; [unrolled: 1-line block ×3, first 2 shown]
	v_mul_f32_e32 v0, v6, v0
	global_store_dword v[54:55], v0, off
	v_add_co_u32 v0, vcc_lo, s4, v26
	v_add_co_ci_u32_e64 v1, null, s5, v27, vcc_lo
	global_store_dword v[0:1], v2, off
	v_add_co_u32 v0, vcc_lo, s0, v52
	v_add_co_ci_u32_e64 v1, null, s1, v53, vcc_lo
	v_add_co_u32 v2, vcc_lo, s4, v30
	v_add_co_ci_u32_e64 v3, null, s5, v31, vcc_lo
	global_load_dword v5, v[0:1], off
	global_store_dword v[2:3], v7, off
	s_waitcnt vmcnt(2)
	v_add_f32_e32 v4, v60, v4
	s_waitcnt vmcnt(0)
	v_add_f32_e32 v12, v4, v5
	v_lshlrev_b64 v[4:5], 2, v[8:9]
	v_add_nc_u32_e32 v8, s7, v8
	v_mul_f32_e32 v14, v6, v12
	v_add_co_u32 v6, vcc_lo, s4, v28
	v_lshlrev_b64 v[2:3], 2, v[8:9]
	v_add_nc_u32_e32 v8, s13, v8
	v_add_co_ci_u32_e64 v7, null, s5, v29, vcc_lo
	v_lshlrev_b64 v[12:13], 2, v[8:9]
	v_add_nc_u32_e32 v8, s7, v8
	global_store_dword v[6:7], v14, off
	v_lshlrev_b64 v[6:7], 2, v[8:9]
	v_add_nc_u32_e32 v8, s7, v8
	v_lshlrev_b64 v[14:15], 2, v[8:9]
	v_add_nc_u32_e32 v8, s7, v8
	;; [unrolled: 2-line block ×3, first 2 shown]
	v_mad_u64_u32 v[18:19], null, 0xffffffe4, s7, v[8:9]
	v_mov_b32_e32 v19, v9
	v_lshlrev_b64 v[38:39], 2, v[8:9]
	v_lshlrev_b64 v[19:20], 2, v[18:19]
	v_add_co_u32 v21, vcc_lo, s2, v19
	v_add_co_ci_u32_e64 v22, null, s3, v20, vcc_lo
	v_add_co_u32 v19, vcc_lo, s0, v19
	v_add_co_ci_u32_e64 v20, null, s1, v20, vcc_lo
	;; [unrolled: 2-line block ×15, first 2 shown]
	s_clause 0x6
	global_load_dword v8, v[26:27], off
	global_load_dword v23, v[28:29], off
	;; [unrolled: 1-line block ×9, first 2 shown]
	v_add_co_u32 v38, vcc_lo, s2, v38
	v_add_co_ci_u32_e64 v39, null, s3, v39, vcc_lo
	s_waitcnt vmcnt(7)
	v_add_f32_e32 v0, v8, v23
	v_add_f32_e32 v0, v0, v58
	s_waitcnt vmcnt(6)
	v_add_f32_e32 v0, v0, v26
	s_waitcnt vmcnt(5)
	;; [unrolled: 2-line block ×6, first 2 shown]
	v_add_f32_e32 v0, v0, v21
	v_add_f32_e32 v0, v0, v49
	;; [unrolled: 1-line block ×3, first 2 shown]
	v_div_scale_f32 v0, null, v54, v54, 1.0
	v_rcp_f32_e32 v1, v0
	v_fma_f32 v8, -v0, v1, 1.0
	v_fmac_f32_e32 v1, v8, v1
	v_div_scale_f32 v8, vcc_lo, 1.0, v54, 1.0
	v_mul_f32_e32 v21, v8, v1
	v_fma_f32 v22, -v0, v21, v8
	v_fmac_f32_e32 v21, v22, v1
	v_fma_f32 v0, -v0, v21, v8
	v_div_fmas_f32 v55, v0, v1, v21
	v_mad_u64_u32 v[0:1], null, 0xffffffe9, s7, v[18:19]
	v_mov_b32_e32 v1, v9
	v_mad_u64_u32 v[21:22], null, 0x61, s7, v[0:1]
	v_add_nc_u32_e32 v8, s13, v21
	v_lshlrev_b64 v[26:27], 2, v[8:9]
	v_add_nc_u32_e32 v8, s7, v8
	v_lshlrev_b64 v[28:29], 2, v[8:9]
	v_add_nc_u32_e32 v8, s13, v8
	v_mad_u64_u32 v[22:23], null, 0xffffffdc, s7, v[8:9]
	v_mov_b32_e32 v23, v9
	v_lshlrev_b64 v[30:31], 2, v[8:9]
	v_add_nc_u32_e32 v8, s10, v22
	v_lshlrev_b64 v[22:23], 2, v[22:23]
	v_add_co_u32 v32, vcc_lo, s2, v22
	v_add_co_ci_u32_e64 v33, null, s3, v23, vcc_lo
	v_add_co_u32 v34, vcc_lo, s0, v22
	v_add_co_ci_u32_e64 v35, null, s1, v23, vcc_lo
	v_lshlrev_b64 v[22:23], 2, v[8:9]
	v_add_co_u32 v36, vcc_lo, s2, v22
	v_add_co_ci_u32_e64 v37, null, s3, v23, vcc_lo
	v_add_co_u32 v40, vcc_lo, s0, v22
	v_mov_b32_e32 v22, v9
	v_add_co_ci_u32_e64 v41, null, s1, v23, vcc_lo
	v_lshlrev_b64 v[21:22], 2, v[21:22]
	v_add_co_u32 v42, vcc_lo, s0, v21
	v_add_co_ci_u32_e64 v43, null, s1, v22, vcc_lo
	v_add_co_u32 v21, vcc_lo, s2, v21
	v_add_co_ci_u32_e64 v22, null, s3, v22, vcc_lo
	;; [unrolled: 2-line block ×8, first 2 shown]
	s_clause 0x3
	global_load_dword v18, v[42:43], off
	global_load_dword v23, v[44:45], off
	;; [unrolled: 1-line block ×6, first 2 shown]
	s_clause 0x7
	global_load_dword v2, v[2:3], off
	global_load_dword v3, v[32:33], off
	;; [unrolled: 1-line block ×8, first 2 shown]
	s_clause 0x1
	global_load_dword v16, v[34:35], off
	global_load_dword v17, v[40:41], off
	s_clause 0x3
	global_load_dword v20, v[21:22], off
	global_load_dword v21, v[26:27], off
	;; [unrolled: 1-line block ×4, first 2 shown]
	s_waitcnt vmcnt(19)
	v_add_f32_e32 v18, v60, v18
	s_waitcnt vmcnt(15)
	v_add_f32_e32 v4, v19, v4
	v_add_f32_e32 v18, v18, v61
	s_waitcnt vmcnt(13)
	v_add_f32_e32 v2, v4, v2
	;; [unrolled: 3-line block ×5, first 2 shown]
	v_add_f32_e32 v5, v18, v5
	v_div_fixup_f32 v18, v55, v54, 1.0
	s_waitcnt vmcnt(7)
	v_add_f32_e32 v2, v2, v14
	v_add_f32_e32 v3, v5, v3
	s_waitcnt vmcnt(6)
	v_add_f32_e32 v2, v2, v15
	v_add_f32_e32 v13, v3, v13
	v_mul_f32_e32 v12, v18, v2
	v_div_scale_f32 v6, null, v13, v13, 1.0
	v_div_scale_f32 v14, vcc_lo, 1.0, v13, 1.0
	v_add_co_u32 v2, s0, s4, v10
	v_rcp_f32_e32 v7, v6
	v_mul_f32_e32 v10, v18, v72
	v_fma_f32 v3, -v6, v7, 1.0
	v_fmac_f32_e32 v7, v3, v7
	s_waitcnt vmcnt(4)
	v_add_f32_e32 v3, v16, v17
	v_mul_f32_e32 v15, v14, v7
	s_waitcnt vmcnt(3)
	v_add_f32_e32 v5, v3, v20
	v_add_co_ci_u32_e64 v3, null, s5, v11, s0
	v_fma_f32 v4, -v6, v15, v14
	s_waitcnt vmcnt(2)
	v_add_f32_e32 v11, v5, v21
	v_fmac_f32_e32 v15, v4, v7
	v_lshlrev_b64 v[4:5], 2, v[0:1]
	v_fma_f32 v0, -v6, v15, v14
	v_add_f32_e32 v6, v63, v62
	s_waitcnt vmcnt(1)
	v_add_f32_e32 v14, v11, v22
	v_div_fmas_f32 v7, v0, v7, v15
	v_mad_u64_u32 v[0:1], null, 0xffffffb0, s7, v[8:9]
	v_mov_b32_e32 v1, v9
	v_mul_f32_e32 v11, v18, v6
	v_div_fixup_f32 v13, v7, v13, 1.0
	v_add_co_u32 v4, vcc_lo, s4, v4
	v_add_co_ci_u32_e64 v5, null, s5, v5, vcc_lo
	v_lshlrev_b64 v[6:7], 2, v[0:1]
	v_add_f32_e32 v1, v47, v51
	v_add_nc_u32_e32 v8, s12, v0
	s_waitcnt vmcnt(0)
	v_add_f32_e32 v14, v14, v26
	v_add_co_u32 v15, vcc_lo, s4, v24
	v_add_f32_e32 v17, v1, v46
	v_lshlrev_b64 v[0:1], 2, v[8:9]
	v_add_co_ci_u32_e64 v16, null, s5, v25, vcc_lo
	v_add_co_u32 v6, vcc_lo, s4, v6
	v_add_co_ci_u32_e64 v7, null, s5, v7, vcc_lo
	v_add_co_u32 v0, vcc_lo, s4, v0
	v_mul_f32_e32 v14, v13, v14
	v_mul_f32_e32 v8, v13, v17
	v_add_co_ci_u32_e64 v1, null, s5, v1, vcc_lo
	global_store_dword v[2:3], v12, off
	global_store_dword v[4:5], v10, off
	;; [unrolled: 1-line block ×5, first 2 shown]
	s_endpgm
	.section	.rodata,"a",@progbits
	.p2align	6, 0x0
	.amdhsa_kernel _Z11qssa_kernelIfEvPT_S1_S1_
		.amdhsa_group_segment_fixed_size 0
		.amdhsa_private_segment_fixed_size 20
		.amdhsa_kernarg_size 280
		.amdhsa_user_sgpr_count 6
		.amdhsa_user_sgpr_private_segment_buffer 1
		.amdhsa_user_sgpr_dispatch_ptr 0
		.amdhsa_user_sgpr_queue_ptr 0
		.amdhsa_user_sgpr_kernarg_segment_ptr 1
		.amdhsa_user_sgpr_dispatch_id 0
		.amdhsa_user_sgpr_flat_scratch_init 0
		.amdhsa_user_sgpr_private_segment_size 0
		.amdhsa_wavefront_size32 1
		.amdhsa_uses_dynamic_stack 0
		.amdhsa_system_sgpr_private_segment_wavefront_offset 1
		.amdhsa_system_sgpr_workgroup_id_x 1
		.amdhsa_system_sgpr_workgroup_id_y 0
		.amdhsa_system_sgpr_workgroup_id_z 0
		.amdhsa_system_sgpr_workgroup_info 0
		.amdhsa_system_vgpr_workitem_id 0
		.amdhsa_next_free_vgpr 128
		.amdhsa_next_free_sgpr 24
		.amdhsa_reserve_vcc 1
		.amdhsa_reserve_flat_scratch 0
		.amdhsa_float_round_mode_32 0
		.amdhsa_float_round_mode_16_64 0
		.amdhsa_float_denorm_mode_32 3
		.amdhsa_float_denorm_mode_16_64 3
		.amdhsa_dx10_clamp 1
		.amdhsa_ieee_mode 1
		.amdhsa_fp16_overflow 0
		.amdhsa_workgroup_processor_mode 1
		.amdhsa_memory_ordered 1
		.amdhsa_forward_progress 1
		.amdhsa_shared_vgpr_count 0
		.amdhsa_exception_fp_ieee_invalid_op 0
		.amdhsa_exception_fp_denorm_src 0
		.amdhsa_exception_fp_ieee_div_zero 0
		.amdhsa_exception_fp_ieee_overflow 0
		.amdhsa_exception_fp_ieee_underflow 0
		.amdhsa_exception_fp_ieee_inexact 0
		.amdhsa_exception_int_div_zero 0
	.end_amdhsa_kernel
	.section	.text._Z11qssa_kernelIfEvPT_S1_S1_,"axG",@progbits,_Z11qssa_kernelIfEvPT_S1_S1_,comdat
.Lfunc_end16:
	.size	_Z11qssa_kernelIfEvPT_S1_S1_, .Lfunc_end16-_Z11qssa_kernelIfEvPT_S1_S1_
                                        ; -- End function
	.set _Z11qssa_kernelIfEvPT_S1_S1_.num_vgpr, 128
	.set _Z11qssa_kernelIfEvPT_S1_S1_.num_agpr, 0
	.set _Z11qssa_kernelIfEvPT_S1_S1_.numbered_sgpr, 24
	.set _Z11qssa_kernelIfEvPT_S1_S1_.num_named_barrier, 0
	.set _Z11qssa_kernelIfEvPT_S1_S1_.private_seg_size, 20
	.set _Z11qssa_kernelIfEvPT_S1_S1_.uses_vcc, 1
	.set _Z11qssa_kernelIfEvPT_S1_S1_.uses_flat_scratch, 0
	.set _Z11qssa_kernelIfEvPT_S1_S1_.has_dyn_sized_stack, 0
	.set _Z11qssa_kernelIfEvPT_S1_S1_.has_recursion, 0
	.set _Z11qssa_kernelIfEvPT_S1_S1_.has_indirect_call, 0
	.section	.AMDGPU.csdata,"",@progbits
; Kernel info:
; codeLenInByte = 14080
; TotalNumSgprs: 26
; NumVgprs: 128
; ScratchSize: 20
; MemoryBound: 0
; FloatMode: 240
; IeeeMode: 1
; LDSByteSize: 0 bytes/workgroup (compile time only)
; SGPRBlocks: 0
; VGPRBlocks: 15
; NumSGPRsForWavesPerEU: 26
; NumVGPRsForWavesPerEU: 128
; Occupancy: 8
; WaveLimiterHint : 0
; COMPUTE_PGM_RSRC2:SCRATCH_EN: 1
; COMPUTE_PGM_RSRC2:USER_SGPR: 6
; COMPUTE_PGM_RSRC2:TRAP_HANDLER: 0
; COMPUTE_PGM_RSRC2:TGID_X_EN: 1
; COMPUTE_PGM_RSRC2:TGID_Y_EN: 0
; COMPUTE_PGM_RSRC2:TGID_Z_EN: 0
; COMPUTE_PGM_RSRC2:TIDIG_COMP_CNT: 0
	.section	.text._Z12qssab_kernelIfEvPT_S1_S1_,"axG",@progbits,_Z12qssab_kernelIfEvPT_S1_S1_,comdat
	.protected	_Z12qssab_kernelIfEvPT_S1_S1_ ; -- Begin function _Z12qssab_kernelIfEvPT_S1_S1_
	.globl	_Z12qssab_kernelIfEvPT_S1_S1_
	.p2align	8
	.type	_Z12qssab_kernelIfEvPT_S1_S1_,@function
_Z12qssab_kernelIfEvPT_S1_S1_:          ; @_Z12qssab_kernelIfEvPT_S1_S1_
; %bb.0:
	s_clause 0x1
	s_load_dword s0, s[4:5], 0x24
	s_load_dword s2, s[4:5], 0x18
	v_mov_b32_e32 v13, 0
	s_waitcnt lgkmcnt(0)
	s_and_b32 s3, s0, 0xffff
	s_load_dwordx2 s[0:1], s[4:5], 0x10
	s_mul_i32 s2, s2, s3
	s_mul_i32 s6, s6, s3
	;; [unrolled: 1-line block ×4, first 2 shown]
	v_add3_u32 v12, s3, s6, v0
	s_mul_i32 s8, s2, 5
	s_mul_i32 s4, s2, 3
	s_lshl_b32 s3, s2, 1
	s_mul_i32 s9, s2, 7
	v_mad_u64_u32 v[0:1], null, s2, 10, v[12:13]
	v_mov_b32_e32 v1, v13
	v_lshlrev_b64 v[2:3], 2, v[12:13]
	s_mul_i32 s6, s2, 9
	s_mul_i32 s7, s2, -3
	v_mad_u64_u32 v[4:5], null, s2, 12, v[0:1]
	v_mov_b32_e32 v5, v13
	v_lshlrev_b64 v[0:1], 2, v[0:1]
	s_waitcnt lgkmcnt(0)
	v_add_co_u32 v18, vcc_lo, s0, v2
	v_add_co_ci_u32_e64 v19, null, s1, v3, vcc_lo
	v_lshlrev_b64 v[2:3], 2, v[4:5]
	v_add_co_u32 v0, vcc_lo, s0, v0
	v_add_co_ci_u32_e64 v1, null, s1, v1, vcc_lo
	v_lshl_add_u32 v12, s2, 3, v4
	v_add_co_u32 v2, vcc_lo, s0, v2
	v_add_co_ci_u32_e64 v3, null, s1, v3, vcc_lo
	s_clause 0x2
	global_load_dword v5, v[18:19], off
	global_load_dword v6, v[0:1], off
	;; [unrolled: 1-line block ×3, first 2 shown]
	v_lshlrev_b64 v[2:3], 2, v[12:13]
	v_add_co_u32 v2, vcc_lo, s0, v2
	v_add_co_ci_u32_e64 v3, null, s1, v3, vcc_lo
	s_waitcnt vmcnt(0)
	v_fmac_f32_e32 v5, v6, v7
	global_store_dword v[18:19], v5, off
	s_clause 0x1
	global_load_dword v0, v[0:1], off
	global_load_dword v1, v[2:3], off
	s_waitcnt vmcnt(0)
	v_fma_f32 v2, -v0, v1, 1.0
	v_div_scale_f32 v0, null, v2, v2, 1.0
	v_div_scale_f32 v4, vcc_lo, 1.0, v2, 1.0
	v_rcp_f32_e32 v3, v0
	v_fma_f32 v1, -v0, v3, 1.0
	v_fmac_f32_e32 v3, v1, v3
	v_mul_f32_e32 v6, v4, v3
	v_fma_f32 v1, -v0, v6, v4
	v_fmac_f32_e32 v6, v1, v3
	v_fma_f32 v4, -v0, v6, v4
	v_mad_u64_u32 v[0:1], null, 0xffffffe6, s2, v[12:13]
	v_mov_b32_e32 v1, v13
	v_div_fmas_f32 v3, v4, v3, v6
	v_subrev_nc_u32_e32 v12, s2, v0
	v_div_fixup_f32 v8, v3, v2, 1.0
	v_lshlrev_b64 v[1:2], 2, v[0:1]
	v_mul_f32_e32 v3, v5, v8
	v_add_co_u32 v28, vcc_lo, s0, v1
	v_add_co_ci_u32_e64 v29, null, s1, v2, vcc_lo
	global_store_dword v[18:19], v3, off
	v_lshlrev_b64 v[0:1], 2, v[12:13]
	v_add_nc_u32_e32 v12, s5, v12
	global_load_dword v2, v[28:29], off
	v_add_co_u32 v30, vcc_lo, s0, v0
	v_add_co_ci_u32_e64 v31, null, s1, v1, vcc_lo
	v_lshlrev_b64 v[0:1], 2, v[12:13]
	v_add_nc_u32_e32 v12, s8, v12
	v_lshlrev_b64 v[4:5], 2, v[12:13]
	v_add_co_u32 v0, vcc_lo, s0, v0
	v_add_co_ci_u32_e64 v1, null, s1, v1, vcc_lo
	s_waitcnt vmcnt(0)
	v_mul_f32_e32 v2, v2, v8
	global_store_dword v[28:29], v2, off
	global_load_dword v9, v[30:31], off
	v_mad_u64_u32 v[2:3], null, s2, 17, v[12:13]
	v_mov_b32_e32 v3, v13
	v_lshlrev_b64 v[6:7], 2, v[2:3]
	v_add_co_u32 v3, vcc_lo, s0, v4
	v_add_co_ci_u32_e64 v4, null, s1, v5, vcc_lo
	v_add_nc_u32_e32 v12, s4, v2
	v_add_co_u32 v5, vcc_lo, s0, v6
	v_add_co_ci_u32_e64 v6, null, s1, v7, vcc_lo
	s_waitcnt vmcnt(0)
	v_mul_f32_e32 v8, v8, v9
	global_store_dword v[30:31], v8, off
	s_clause 0x2
	global_load_dword v7, v[0:1], off
	global_load_dword v8, v[3:4], off
	global_load_dword v9, v[5:6], off
	v_lshlrev_b64 v[5:6], 2, v[12:13]
	v_add_co_u32 v5, vcc_lo, s0, v5
	v_add_co_ci_u32_e64 v6, null, s1, v6, vcc_lo
	s_waitcnt vmcnt(0)
	v_fmac_f32_e32 v7, v8, v9
	global_store_dword v[0:1], v7, off
	s_clause 0x1
	global_load_dword v2, v[3:4], off
	global_load_dword v3, v[5:6], off
	s_waitcnt vmcnt(0)
	v_fma_f32 v2, -v2, v3, 1.0
	v_div_scale_f32 v3, null, v2, v2, 1.0
	v_div_scale_f32 v5, vcc_lo, 1.0, v2, 1.0
	v_rcp_f32_e32 v6, v3
	v_fma_f32 v4, -v3, v6, 1.0
	v_fmac_f32_e32 v6, v4, v6
	v_mul_f32_e32 v8, v5, v6
	v_fma_f32 v4, -v3, v8, v5
	v_fmac_f32_e32 v8, v4, v6
	v_fma_f32 v3, -v3, v8, v5
	v_mad_u64_u32 v[4:5], null, 0xffffffeb, s2, v[12:13]
	v_mov_b32_e32 v5, v13
	v_div_fmas_f32 v3, v3, v6, v8
	v_subrev_nc_u32_e32 v12, s3, v4
	v_div_fixup_f32 v22, v3, v2, 1.0
	v_lshlrev_b64 v[2:3], 2, v[4:5]
	v_mul_f32_e32 v5, v7, v22
	v_add_co_u32 v2, vcc_lo, s0, v2
	v_add_co_ci_u32_e64 v3, null, s1, v3, vcc_lo
	global_store_dword v[0:1], v5, off
	v_lshlrev_b64 v[4:5], 2, v[12:13]
	v_subrev_nc_u32_e32 v12, s2, v12
	global_load_dword v6, v[2:3], off
	s_waitcnt vmcnt(0)
	v_mul_f32_e32 v8, v6, v22
	v_add_co_u32 v6, vcc_lo, s0, v4
	v_add_co_ci_u32_e64 v7, null, s1, v5, vcc_lo
	global_store_dword v[2:3], v8, off
	v_lshlrev_b64 v[4:5], 2, v[12:13]
	v_add_nc_u32_e32 v12, s9, v12
	global_load_dword v8, v[6:7], off
	v_add_co_u32 v20, vcc_lo, s0, v4
	v_add_co_ci_u32_e64 v21, null, s1, v5, vcc_lo
	v_lshlrev_b64 v[4:5], 2, v[12:13]
	v_subrev_nc_u32_e32 v12, s3, v12
	v_add_co_u32 v34, vcc_lo, s0, v4
	v_add_co_ci_u32_e64 v35, null, s1, v5, vcc_lo
	v_lshlrev_b64 v[4:5], 2, v[12:13]
	v_add_nc_u32_e32 v12, s8, v12
	v_add_co_u32 v32, vcc_lo, s0, v4
	v_add_co_ci_u32_e64 v33, null, s1, v5, vcc_lo
	v_lshlrev_b64 v[4:5], 2, v[12:13]
	v_add_nc_u32_e32 v12, s6, v12
	v_lshlrev_b64 v[10:11], 2, v[12:13]
	v_add_co_u32 v4, vcc_lo, s0, v4
	v_add_co_ci_u32_e64 v5, null, s1, v5, vcc_lo
	v_add_co_u32 v16, vcc_lo, s0, v10
	v_add_co_ci_u32_e64 v17, null, s1, v11, vcc_lo
	s_waitcnt vmcnt(0)
	v_mul_f32_e32 v8, v22, v8
	global_store_dword v[6:7], v8, off
	global_load_dword v8, v[20:21], off
	s_waitcnt vmcnt(0)
	v_mul_f32_e32 v8, v22, v8
	global_store_dword v[20:21], v8, off
	global_load_dword v8, v[34:35], off
	;; [unrolled: 4-line block ×3, first 2 shown]
	v_mad_u64_u32 v[8:9], null, s2, 46, v[12:13]
	v_mov_b32_e32 v9, v13
	v_lshlrev_b64 v[14:15], 2, v[8:9]
	v_add_co_u32 v24, vcc_lo, s0, v14
	v_add_co_ci_u32_e64 v25, null, s1, v15, vcc_lo
	s_waitcnt vmcnt(0)
	v_mul_f32_e32 v9, v22, v23
	global_store_dword v[32:33], v9, off
	s_clause 0x2
	global_load_dword v12, v[4:5], off
	global_load_dword v26, v[16:17], off
	;; [unrolled: 1-line block ×3, first 2 shown]
	v_mad_u64_u32 v[8:9], null, 0xffffffd0, s2, v[8:9]
	v_mov_b32_e32 v9, v13
	v_mad_u64_u32 v[14:15], null, s2, 55, v[8:9]
	v_mov_b32_e32 v15, v13
	v_lshlrev_b64 v[8:9], 2, v[8:9]
	v_lshlrev_b64 v[22:23], 2, v[14:15]
	v_add_co_u32 v10, vcc_lo, s0, v8
	v_add_co_ci_u32_e64 v11, null, s1, v9, vcc_lo
	s_waitcnt vmcnt(0)
	v_fmac_f32_e32 v12, v26, v27
	v_add_co_u32 v26, vcc_lo, s0, v22
	v_add_co_ci_u32_e64 v27, null, s1, v23, vcc_lo
	global_store_dword v[4:5], v12, off
	s_clause 0x2
	global_load_dword v15, v[10:11], off
	global_load_dword v22, v[26:27], off
	;; [unrolled: 1-line block ×3, first 2 shown]
	v_add_nc_u32_e32 v12, s7, v14
	v_lshlrev_b64 v[8:9], 2, v[12:13]
	v_add_co_u32 v36, vcc_lo, s0, v8
	v_add_co_ci_u32_e64 v37, null, s1, v9, vcc_lo
	s_waitcnt vmcnt(0)
	v_fmac_f32_e32 v15, v23, v22
	global_store_dword v[10:11], v15, off
	s_clause 0x2
	global_load_dword v8, v[16:17], off
	global_load_dword v9, v[36:37], off
	;; [unrolled: 1-line block ×3, first 2 shown]
	s_waitcnt vmcnt(1)
	v_fma_f32 v8, -v8, v9, 1.0
	v_div_scale_f32 v9, null, v8, v8, 1.0
	v_div_scale_f32 v15, vcc_lo, 1.0, v8, 1.0
	v_rcp_f32_e32 v17, v9
	v_fma_f32 v14, -v9, v17, 1.0
	v_fmac_f32_e32 v17, v14, v17
	v_mul_f32_e32 v22, v15, v17
	v_fma_f32 v14, -v9, v22, v15
	v_fmac_f32_e32 v22, v14, v17
	v_fma_f32 v9, -v9, v22, v15
	v_mad_u64_u32 v[14:15], null, 0xffffffc8, s2, v[12:13]
	v_mov_b32_e32 v15, v13
	v_div_fmas_f32 v9, v9, v17, v22
	v_div_fixup_f32 v40, v9, v8, 1.0
	v_lshlrev_b64 v[8:9], 2, v[14:15]
	s_waitcnt vmcnt(0)
	v_mul_f32_e32 v12, v16, v40
	v_add_co_u32 v8, vcc_lo, s0, v8
	v_add_co_ci_u32_e64 v9, null, s1, v9, vcc_lo
	global_store_dword v[4:5], v12, off
	global_load_dword v12, v[8:9], off
	s_waitcnt vmcnt(0)
	v_mul_f32_e32 v12, v12, v40
	global_store_dword v[8:9], v12, off
	global_load_dword v16, v[10:11], off
	v_subrev_nc_u32_e32 v12, s2, v14
	v_lshlrev_b64 v[14:15], 2, v[12:13]
	v_subrev_nc_u32_e32 v12, s2, v12
	v_add_co_u32 v22, vcc_lo, s0, v14
	v_add_co_ci_u32_e64 v23, null, s1, v15, vcc_lo
	v_lshlrev_b64 v[14:15], 2, v[12:13]
	v_add_nc_u32_e32 v12, s9, v12
	v_add_co_u32 v38, vcc_lo, s0, v14
	v_add_co_ci_u32_e64 v39, null, s1, v15, vcc_lo
	v_lshlrev_b64 v[14:15], 2, v[12:13]
	v_add_co_u32 v48, vcc_lo, s0, v14
	v_add_co_ci_u32_e64 v49, null, s1, v15, vcc_lo
	v_mad_u64_u32 v[14:15], null, s2, 25, v[12:13]
	v_mov_b32_e32 v15, v13
	v_add_nc_u32_e32 v12, s6, v14
	v_lshlrev_b64 v[14:15], 2, v[14:15]
	s_mul_i32 s6, s2, -5
	v_add_co_u32 v14, vcc_lo, s0, v14
	v_add_co_ci_u32_e64 v15, null, s1, v15, vcc_lo
	s_waitcnt vmcnt(0)
	v_mul_f32_e32 v16, v40, v16
	global_store_dword v[10:11], v16, off
	global_load_dword v16, v[22:23], off
	s_waitcnt vmcnt(0)
	v_mul_f32_e32 v16, v40, v16
	global_store_dword v[22:23], v16, off
	global_load_dword v16, v[38:39], off
	;; [unrolled: 4-line block ×3, first 2 shown]
	v_lshlrev_b64 v[16:17], 2, v[12:13]
	v_add_nc_u32_e32 v12, s6, v12
	s_waitcnt vmcnt(0)
	v_mul_f32_e32 v42, v40, v41
	v_add_co_u32 v40, vcc_lo, s0, v16
	v_add_co_ci_u32_e64 v41, null, s1, v17, vcc_lo
	global_store_dword v[48:49], v42, off
	s_clause 0x2
	global_load_dword v42, v[14:15], off
	global_load_dword v43, v[40:41], off
	;; [unrolled: 1-line block ×3, first 2 shown]
	v_lshlrev_b64 v[16:17], 2, v[12:13]
	v_subrev_nc_u32_e32 v12, s3, v12
	v_add_co_u32 v16, vcc_lo, s0, v16
	v_add_co_ci_u32_e64 v17, null, s1, v17, vcc_lo
	s_waitcnt vmcnt(0)
	v_fmac_f32_e32 v42, v43, v24
	global_store_dword v[14:15], v42, off
	s_clause 0x2
	global_load_dword v24, v[16:17], off
	global_load_dword v25, v[40:41], off
	;; [unrolled: 1-line block ×3, first 2 shown]
	s_waitcnt vmcnt(0)
	v_fmac_f32_e32 v24, v25, v36
	global_store_dword v[16:17], v24, off
	s_clause 0x2
	global_load_dword v24, v[40:41], off
	global_load_dword v25, v[26:27], off
	;; [unrolled: 1-line block ×3, first 2 shown]
	s_waitcnt vmcnt(1)
	v_fma_f32 v24, -v24, v25, 1.0
	v_div_scale_f32 v25, null, v24, v24, 1.0
	v_div_scale_f32 v37, vcc_lo, 1.0, v24, 1.0
	v_rcp_f32_e32 v27, v25
	v_fma_f32 v36, -v25, v27, 1.0
	v_fmac_f32_e32 v27, v36, v27
	v_mul_f32_e32 v36, v37, v27
	v_fma_f32 v40, -v25, v36, v37
	v_fmac_f32_e32 v36, v40, v27
	v_fma_f32 v25, -v25, v36, v37
	v_div_fmas_f32 v25, v25, v27, v36
	v_div_fixup_f32 v44, v25, v24, 1.0
	s_waitcnt vmcnt(0)
	v_mul_f32_e32 v24, v26, v44
	global_store_dword v[14:15], v24, off
	global_load_dword v26, v[16:17], off
	v_lshlrev_b64 v[24:25], 2, v[12:13]
	v_subrev_nc_u32_e32 v12, s2, v12
	v_add_co_u32 v24, vcc_lo, s0, v24
	v_add_co_ci_u32_e64 v25, null, s1, v25, vcc_lo
	s_waitcnt vmcnt(0)
	v_mul_f32_e32 v26, v26, v44
	global_store_dword v[16:17], v26, off
	global_load_dword v36, v[24:25], off
	v_lshlrev_b64 v[26:27], 2, v[12:13]
	v_add_nc_u32_e32 v12, s8, v12
	s_waitcnt vmcnt(0)
	v_mul_f32_e32 v40, v44, v36
	v_add_co_u32 v36, vcc_lo, s0, v26
	v_add_co_ci_u32_e64 v37, null, s1, v27, vcc_lo
	global_store_dword v[24:25], v40, off
	v_lshlrev_b64 v[26:27], 2, v[12:13]
	global_load_dword v40, v[36:37], off
	s_waitcnt vmcnt(0)
	v_mul_f32_e32 v42, v44, v40
	v_add_co_u32 v40, vcc_lo, s0, v26
	v_add_co_ci_u32_e64 v41, null, s1, v27, vcc_lo
	global_store_dword v[36:37], v42, off
	v_mad_u64_u32 v[26:27], null, 0xffffffef, s2, v[12:13]
	global_load_dword v45, v[40:41], off
	v_mov_b32_e32 v27, v13
	v_lshlrev_b64 v[42:43], 2, v[26:27]
	v_add_co_u32 v42, vcc_lo, s0, v42
	v_add_co_ci_u32_e64 v43, null, s1, v43, vcc_lo
	s_waitcnt vmcnt(0)
	v_mul_f32_e32 v12, v44, v45
	global_store_dword v[40:41], v12, off
	s_clause 0x2
	global_load_dword v44, v[0:1], off
	global_load_dword v45, v[32:33], off
	;; [unrolled: 1-line block ×3, first 2 shown]
	v_add_nc_u32_e32 v12, s9, v26
	v_lshlrev_b64 v[26:27], 2, v[12:13]
	s_waitcnt vmcnt(0)
	v_fmac_f32_e32 v44, v45, v46
	v_add_co_u32 v46, vcc_lo, s0, v26
	v_add_co_ci_u32_e64 v47, null, s1, v27, vcc_lo
	global_store_dword v[0:1], v44, off
	s_clause 0x1
	global_load_dword v52, v[32:33], off
	global_load_dword v53, v[46:47], off
	v_mad_u64_u32 v[26:27], null, 0xffffffdf, s2, v[12:13]
	v_mov_b32_e32 v27, v13
	v_mad_u64_u32 v[44:45], null, s2, 28, v[26:27]
	v_mov_b32_e32 v45, v13
	v_lshlrev_b64 v[26:27], 2, v[26:27]
	v_lshlrev_b64 v[50:51], 2, v[44:45]
	v_add_co_u32 v26, vcc_lo, s0, v26
	v_add_co_ci_u32_e64 v27, null, s1, v27, vcc_lo
	v_add_co_u32 v50, vcc_lo, s0, v50
	v_add_co_ci_u32_e64 v51, null, s1, v51, vcc_lo
	s_waitcnt vmcnt(0)
	v_mul_f32_e32 v12, v52, v53
	global_store_dword v[26:27], v12, off
	s_clause 0x2
	global_load_dword v52, v[6:7], off
	global_load_dword v53, v[32:33], off
	;; [unrolled: 1-line block ×3, first 2 shown]
	v_add_nc_u32_e32 v12, s2, v44
	v_lshlrev_b64 v[44:45], 2, v[12:13]
	v_add_co_u32 v44, vcc_lo, s0, v44
	v_add_co_ci_u32_e64 v45, null, s1, v45, vcc_lo
	s_waitcnt vmcnt(0)
	v_fmac_f32_e32 v52, v53, v54
	global_store_dword v[6:7], v52, off
	s_clause 0x2
	global_load_dword v32, v[32:33], off
	global_load_dword v33, v[44:45], off
	;; [unrolled: 1-line block ×3, first 2 shown]
	s_waitcnt vmcnt(1)
	v_fma_f32 v32, -v32, v33, 1.0
	v_div_scale_f32 v33, null, v32, v32, 1.0
	v_div_scale_f32 v55, vcc_lo, 1.0, v32, 1.0
	v_rcp_f32_e32 v53, v33
	v_fma_f32 v54, -v33, v53, 1.0
	v_fmac_f32_e32 v53, v54, v53
	v_mul_f32_e32 v54, v55, v53
	v_fma_f32 v56, -v33, v54, v55
	v_fmac_f32_e32 v54, v56, v53
	v_fma_f32 v33, -v33, v54, v55
	v_div_fmas_f32 v33, v33, v53, v54
	v_div_fixup_f32 v32, v33, v32, 1.0
	s_waitcnt vmcnt(0)
	v_mul_f32_e32 v33, v52, v32
	global_store_dword v[0:1], v33, off
	global_load_dword v33, v[2:3], off
	s_waitcnt vmcnt(0)
	v_mul_f32_e32 v33, v33, v32
	global_store_dword v[2:3], v33, off
	global_load_dword v33, v[26:27], off
	;; [unrolled: 4-line block ×5, first 2 shown]
	s_waitcnt vmcnt(0)
	v_mul_f32_e32 v32, v32, v33
	global_store_dword v[34:35], v32, off
	s_clause 0x2
	global_load_dword v32, v[14:15], off
	global_load_dword v33, v[40:41], off
	;; [unrolled: 1-line block ×3, first 2 shown]
	s_waitcnt vmcnt(0)
	v_fmac_f32_e32 v32, v33, v52
	v_mad_u64_u32 v[52:53], null, s2, 11, v[12:13]
	v_mov_b32_e32 v53, v13
	global_store_dword v[14:15], v32, off
	s_clause 0x1
	global_load_dword v54, v[40:41], off
	global_load_dword v55, v[44:45], off
	v_lshlrev_b64 v[32:33], 2, v[52:53]
	v_add_co_u32 v32, vcc_lo, s0, v32
	v_add_co_ci_u32_e64 v33, null, s1, v33, vcc_lo
	s_waitcnt vmcnt(0)
	v_mul_f32_e32 v12, v54, v55
	global_store_dword v[32:33], v12, off
	s_clause 0x2
	global_load_dword v12, v[24:25], off
	global_load_dword v53, v[40:41], off
	;; [unrolled: 1-line block ×3, first 2 shown]
	s_waitcnt vmcnt(0)
	v_fmac_f32_e32 v12, v53, v54
	global_store_dword v[24:25], v12, off
	s_clause 0x2
	global_load_dword v12, v[40:41], off
	global_load_dword v40, v[46:47], off
	;; [unrolled: 1-line block ×3, first 2 shown]
	s_waitcnt vmcnt(1)
	v_fma_f32 v12, -v12, v40, 1.0
	v_div_scale_f32 v40, null, v12, v12, 1.0
	v_div_scale_f32 v55, vcc_lo, 1.0, v12, 1.0
	v_rcp_f32_e32 v53, v40
	v_fma_f32 v54, -v40, v53, 1.0
	v_fmac_f32_e32 v53, v54, v53
	v_mul_f32_e32 v54, v55, v53
	v_fma_f32 v56, -v40, v54, v55
	v_fmac_f32_e32 v54, v56, v53
	v_fma_f32 v40, -v40, v54, v55
	v_div_fmas_f32 v40, v40, v53, v54
	v_div_fixup_f32 v55, v40, v12, 1.0
	s_waitcnt vmcnt(0)
	v_mul_f32_e32 v12, v41, v55
	global_store_dword v[14:15], v12, off
	global_load_dword v12, v[16:17], off
	s_waitcnt vmcnt(0)
	v_mul_f32_e32 v12, v12, v55
	global_store_dword v[16:17], v12, off
	global_load_dword v12, v[32:33], off
	;; [unrolled: 4-line block ×4, first 2 shown]
	v_add_nc_u32_e32 v12, s5, v52
	s_lshl_b32 s5, s2, 2
	v_mad_u64_u32 v[52:53], null, s2, 6, v[12:13]
	v_mov_b32_e32 v53, v13
	v_lshlrev_b64 v[40:41], 2, v[12:13]
	v_lshlrev_b64 v[53:54], 2, v[52:53]
	v_add_co_u32 v40, vcc_lo, s0, v40
	v_add_co_ci_u32_e64 v41, null, s1, v41, vcc_lo
	v_add_co_u32 v53, vcc_lo, s0, v53
	v_add_co_ci_u32_e64 v54, null, s1, v54, vcc_lo
	s_waitcnt vmcnt(0)
	v_mul_f32_e32 v12, v55, v56
	global_store_dword v[36:37], v12, off
	s_clause 0x2
	global_load_dword v55, v[40:41], off
	global_load_dword v56, v[53:54], off
	;; [unrolled: 1-line block ×3, first 2 shown]
	v_add_nc_u32_e32 v12, s7, v52
	v_lshlrev_b64 v[42:43], 2, v[12:13]
	v_add_nc_u32_e32 v12, s5, v12
	v_add_co_u32 v42, vcc_lo, s0, v42
	v_add_co_ci_u32_e64 v43, null, s1, v43, vcc_lo
	s_waitcnt vmcnt(0)
	v_fmac_f32_e32 v55, v56, v57
	global_store_dword v[40:41], v55, off
	s_clause 0x2
	global_load_dword v52, v[42:43], off
	global_load_dword v55, v[53:54], off
	;; [unrolled: 1-line block ×3, first 2 shown]
	v_lshlrev_b64 v[44:45], 2, v[12:13]
	v_add_nc_u32_e32 v12, s7, v12
	v_add_co_u32 v44, vcc_lo, s0, v44
	v_add_co_ci_u32_e64 v45, null, s1, v45, vcc_lo
	s_waitcnt vmcnt(0)
	v_fmac_f32_e32 v52, v55, v56
	global_store_dword v[42:43], v52, off
	s_clause 0x2
	global_load_dword v52, v[44:45], off
	global_load_dword v55, v[53:54], off
	;; [unrolled: 1-line block ×3, first 2 shown]
	s_waitcnt vmcnt(0)
	v_fmac_f32_e32 v52, v55, v46
	global_store_dword v[44:45], v52, off
	s_clause 0x2
	global_load_dword v46, v[53:54], off
	global_load_dword v47, v[50:51], off
	;; [unrolled: 1-line block ×3, first 2 shown]
	s_waitcnt vmcnt(1)
	v_fma_f32 v46, -v46, v47, 1.0
	v_div_scale_f32 v47, null, v46, v46, 1.0
	v_div_scale_f32 v53, vcc_lo, 1.0, v46, 1.0
	v_rcp_f32_e32 v51, v47
	v_fma_f32 v52, -v47, v51, 1.0
	v_fmac_f32_e32 v51, v52, v51
	v_mul_f32_e32 v52, v53, v51
	v_fma_f32 v54, -v47, v52, v53
	v_fmac_f32_e32 v52, v54, v51
	v_fma_f32 v47, -v47, v52, v53
	v_div_fmas_f32 v47, v47, v51, v52
	v_div_fixup_f32 v52, v47, v46, 1.0
	v_lshlrev_b64 v[46:47], 2, v[12:13]
	v_add_nc_u32_e32 v12, s7, v12
	s_waitcnt vmcnt(0)
	v_mul_f32_e32 v50, v50, v52
	v_add_co_u32 v46, vcc_lo, s0, v46
	v_add_co_ci_u32_e64 v47, null, s1, v47, vcc_lo
	global_store_dword v[40:41], v50, off
	global_load_dword v50, v[46:47], off
	s_waitcnt vmcnt(0)
	v_mul_f32_e32 v50, v50, v52
	global_store_dword v[46:47], v50, off
	global_load_dword v50, v[42:43], off
	s_waitcnt vmcnt(0)
	v_mul_f32_e32 v50, v52, v50
	global_store_dword v[42:43], v50, off
	global_load_dword v53, v[44:45], off
	v_lshlrev_b64 v[50:51], 2, v[12:13]
	v_add_co_u32 v50, vcc_lo, s0, v50
	v_add_co_ci_u32_e64 v51, null, s1, v51, vcc_lo
	s_waitcnt vmcnt(0)
	v_mul_f32_e32 v53, v52, v53
	global_store_dword v[44:45], v53, off
	global_load_dword v53, v[50:51], off
	s_waitcnt vmcnt(0)
	v_mul_f32_e32 v52, v52, v53
	global_store_dword v[50:51], v52, off
	s_clause 0x2
	global_load_dword v52, v[4:5], off
	global_load_dword v53, v[48:49], off
	global_load_dword v54, v[18:19], off
	s_waitcnt vmcnt(0)
	v_fmac_f32_e32 v52, v53, v54
	global_store_dword v[4:5], v52, off
	s_clause 0x2
	global_load_dword v52, v[8:9], off
	global_load_dword v53, v[48:49], off
	;; [unrolled: 1-line block ×3, first 2 shown]
	s_waitcnt vmcnt(0)
	v_fmac_f32_e32 v52, v53, v54
	global_store_dword v[8:9], v52, off
	s_clause 0x2
	global_load_dword v48, v[48:49], off
	global_load_dword v49, v[28:29], off
	;; [unrolled: 1-line block ×3, first 2 shown]
	s_waitcnt vmcnt(1)
	v_fma_f32 v48, -v48, v49, 1.0
	v_div_scale_f32 v49, null, v48, v48, 1.0
	v_div_scale_f32 v55, vcc_lo, 1.0, v48, 1.0
	v_rcp_f32_e32 v53, v49
	v_fma_f32 v54, -v49, v53, 1.0
	v_fmac_f32_e32 v53, v54, v53
	v_mul_f32_e32 v54, v55, v53
	v_fma_f32 v56, -v49, v54, v55
	v_fmac_f32_e32 v54, v56, v53
	v_fma_f32 v49, -v49, v54, v55
	v_div_fmas_f32 v49, v49, v53, v54
	v_div_fixup_f32 v48, v49, v48, 1.0
	s_waitcnt vmcnt(0)
	v_mul_f32_e32 v49, v52, v48
	global_store_dword v[4:5], v49, off
	global_load_dword v49, v[8:9], off
	s_waitcnt vmcnt(0)
	v_mul_f32_e32 v49, v49, v48
	global_store_dword v[8:9], v49, off
	global_load_dword v49, v[10:11], off
	;; [unrolled: 4-line block ×4, first 2 shown]
	s_waitcnt vmcnt(0)
	v_mul_f32_e32 v48, v48, v49
	global_store_dword v[38:39], v48, off
	s_clause 0x2
	global_load_dword v48, v[0:1], off
	global_load_dword v49, v[34:35], off
	;; [unrolled: 1-line block ×3, first 2 shown]
	s_waitcnt vmcnt(0)
	v_fmac_f32_e32 v48, v49, v18
	global_store_dword v[0:1], v48, off
	s_clause 0x2
	global_load_dword v18, v[2:3], off
	global_load_dword v19, v[34:35], off
	;; [unrolled: 1-line block ×3, first 2 shown]
	s_waitcnt vmcnt(0)
	v_fmac_f32_e32 v18, v19, v28
	global_store_dword v[2:3], v18, off
	s_clause 0x2
	global_load_dword v18, v[34:35], off
	global_load_dword v19, v[30:31], off
	;; [unrolled: 1-line block ×3, first 2 shown]
	s_waitcnt vmcnt(1)
	v_fma_f32 v18, -v18, v19, 1.0
	v_div_scale_f32 v19, null, v18, v18, 1.0
	v_div_scale_f32 v31, vcc_lo, 1.0, v18, 1.0
	v_rcp_f32_e32 v29, v19
	v_fma_f32 v30, -v19, v29, 1.0
	v_fmac_f32_e32 v29, v30, v29
	v_mul_f32_e32 v30, v31, v29
	v_fma_f32 v34, -v19, v30, v31
	v_fmac_f32_e32 v30, v34, v29
	v_fma_f32 v19, -v19, v30, v31
	v_div_fmas_f32 v19, v19, v29, v30
	v_div_fixup_f32 v30, v19, v18, 1.0
	s_waitcnt vmcnt(0)
	v_mul_f32_e32 v18, v28, v30
	global_store_dword v[0:1], v18, off
	global_load_dword v18, v[2:3], off
	s_waitcnt vmcnt(0)
	v_mul_f32_e32 v18, v18, v30
	global_store_dword v[2:3], v18, off
	global_load_dword v18, v[26:27], off
	;; [unrolled: 4-line block ×4, first 2 shown]
	v_mad_u64_u32 v[18:19], null, s2, -12, v[12:13]
	v_mov_b32_e32 v19, v13
	v_lshlrev_b64 v[28:29], 2, v[18:19]
	v_add_co_u32 v28, vcc_lo, s0, v28
	v_add_co_ci_u32_e64 v29, null, s1, v29, vcc_lo
	s_waitcnt vmcnt(0)
	v_mul_f32_e32 v12, v30, v31
	global_store_dword v[20:21], v12, off
	s_clause 0x2
	global_load_dword v30, v[4:5], off
	global_load_dword v31, v[38:39], off
	;; [unrolled: 1-line block ×3, first 2 shown]
	v_add_nc_u32_e32 v12, s4, v18
	v_lshlrev_b64 v[18:19], 2, v[12:13]
	v_add_nc_u32_e32 v12, s5, v12
	v_add_co_u32 v18, vcc_lo, s0, v18
	v_add_co_ci_u32_e64 v19, null, s1, v19, vcc_lo
	s_waitcnt vmcnt(0)
	v_fmac_f32_e32 v30, v31, v34
	global_store_dword v[4:5], v30, off
	s_clause 0x2
	global_load_dword v34, v[8:9], off
	global_load_dword v35, v[38:39], off
	;; [unrolled: 1-line block ×3, first 2 shown]
	v_lshlrev_b64 v[30:31], 2, v[12:13]
	v_add_nc_u32_e32 v12, s6, v12
	v_add_co_u32 v30, vcc_lo, s0, v30
	v_add_co_ci_u32_e64 v31, null, s1, v31, vcc_lo
	s_waitcnt vmcnt(0)
	v_fmac_f32_e32 v34, v35, v48
	global_store_dword v[8:9], v34, off
	s_clause 0x2
	global_load_dword v48, v[10:11], off
	global_load_dword v49, v[38:39], off
	;; [unrolled: 1-line block ×3, first 2 shown]
	v_lshlrev_b64 v[34:35], 2, v[12:13]
	v_add_nc_u32_e32 v12, s3, v12
	v_add_co_u32 v34, vcc_lo, s0, v34
	v_add_co_ci_u32_e64 v35, null, s1, v35, vcc_lo
	v_lshlrev_b64 v[12:13], 2, v[12:13]
	v_add_co_u32 v12, vcc_lo, s0, v12
	v_add_co_ci_u32_e64 v13, null, s1, v13, vcc_lo
	s_waitcnt vmcnt(0)
	v_fmac_f32_e32 v48, v49, v52
	global_store_dword v[10:11], v48, off
	s_clause 0x2
	global_load_dword v48, v[22:23], off
	global_load_dword v49, v[38:39], off
	global_load_dword v52, v[34:35], off
	s_waitcnt vmcnt(0)
	v_fmac_f32_e32 v48, v49, v52
	global_store_dword v[22:23], v48, off
	s_clause 0x2
	global_load_dword v38, v[38:39], off
	global_load_dword v39, v[12:13], off
	global_load_dword v48, v[4:5], off
	s_waitcnt vmcnt(1)
	v_fma_f32 v38, -v38, v39, 1.0
	v_div_scale_f32 v39, null, v38, v38, 1.0
	v_div_scale_f32 v53, vcc_lo, 1.0, v38, 1.0
	v_rcp_f32_e32 v49, v39
	v_fma_f32 v52, -v39, v49, 1.0
	v_fmac_f32_e32 v49, v52, v49
	v_mul_f32_e32 v52, v53, v49
	v_fma_f32 v54, -v39, v52, v53
	v_fmac_f32_e32 v52, v54, v49
	v_fma_f32 v39, -v39, v52, v53
	v_div_fmas_f32 v39, v39, v49, v52
	v_div_fixup_f32 v38, v39, v38, 1.0
	s_waitcnt vmcnt(0)
	v_mul_f32_e32 v39, v48, v38
	global_store_dword v[4:5], v39, off
	global_load_dword v39, v[8:9], off
	s_waitcnt vmcnt(0)
	v_mul_f32_e32 v39, v39, v38
	global_store_dword v[8:9], v39, off
	global_load_dword v39, v[10:11], off
	s_waitcnt vmcnt(0)
	v_mul_f32_e32 v39, v38, v39
	global_store_dword v[10:11], v39, off
	global_load_dword v39, v[22:23], off
	s_waitcnt vmcnt(0)
	v_mul_f32_e32 v38, v38, v39
	global_store_dword v[22:23], v38, off
	s_clause 0x2
	global_load_dword v38, v[0:1], off
	global_load_dword v39, v[20:21], off
	global_load_dword v48, v[28:29], off
	s_waitcnt vmcnt(0)
	v_fmac_f32_e32 v38, v39, v48
	global_store_dword v[0:1], v38, off
	s_clause 0x2
	global_load_dword v38, v[2:3], off
	global_load_dword v39, v[20:21], off
	global_load_dword v48, v[12:13], off
	s_waitcnt vmcnt(0)
	v_fmac_f32_e32 v38, v39, v48
	global_store_dword v[2:3], v38, off
	s_clause 0x2
	global_load_dword v38, v[26:27], off
	global_load_dword v39, v[30:31], off
	global_load_dword v48, v[20:21], off
	s_waitcnt vmcnt(0)
	v_fmac_f32_e32 v38, v48, v39
	global_store_dword v[26:27], v38, off
	s_clause 0x2
	global_load_dword v38, v[6:7], off
	global_load_dword v39, v[20:21], off
	global_load_dword v48, v[34:35], off
	s_waitcnt vmcnt(0)
	v_fmac_f32_e32 v38, v39, v48
	global_store_dword v[6:7], v38, off
	s_clause 0x2
	global_load_dword v20, v[20:21], off
	global_load_dword v21, v[18:19], off
	global_load_dword v38, v[0:1], off
	s_waitcnt vmcnt(1)
	v_fma_f32 v20, -v20, v21, 1.0
	v_div_scale_f32 v21, null, v20, v20, 1.0
	v_div_scale_f32 v49, vcc_lo, 1.0, v20, 1.0
	v_rcp_f32_e32 v39, v21
	v_fma_f32 v48, -v21, v39, 1.0
	v_fmac_f32_e32 v39, v48, v39
	v_mul_f32_e32 v48, v49, v39
	v_fma_f32 v52, -v21, v48, v49
	v_fmac_f32_e32 v48, v52, v39
	v_fma_f32 v21, -v21, v48, v49
	v_div_fmas_f32 v21, v21, v39, v48
	v_div_fixup_f32 v20, v21, v20, 1.0
	s_waitcnt vmcnt(0)
	v_mul_f32_e32 v21, v38, v20
	global_store_dword v[0:1], v21, off
	global_load_dword v21, v[2:3], off
	s_waitcnt vmcnt(0)
	v_mul_f32_e32 v21, v21, v20
	global_store_dword v[2:3], v21, off
	global_load_dword v21, v[26:27], off
	s_waitcnt vmcnt(0)
	v_mul_f32_e32 v21, v20, v21
	global_store_dword v[26:27], v21, off
	global_load_dword v21, v[6:7], off
	s_waitcnt vmcnt(0)
	v_mul_f32_e32 v20, v20, v21
	global_store_dword v[6:7], v20, off
	s_clause 0x2
	global_load_dword v20, v[14:15], off
	global_load_dword v21, v[36:37], off
	global_load_dword v38, v[28:29], off
	s_waitcnt vmcnt(0)
	v_fmac_f32_e32 v20, v21, v38
	global_store_dword v[14:15], v20, off
	s_clause 0x2
	global_load_dword v20, v[16:17], off
	global_load_dword v21, v[36:37], off
	global_load_dword v38, v[12:13], off
	s_waitcnt vmcnt(0)
	v_fmac_f32_e32 v20, v21, v38
	global_store_dword v[16:17], v20, off
	s_clause 0x2
	global_load_dword v20, v[32:33], off
	global_load_dword v21, v[18:19], off
	global_load_dword v38, v[36:37], off
	;; [unrolled: 60-line block ×4, first 2 shown]
	s_waitcnt vmcnt(0)
	v_fmac_f32_e32 v12, v13, v18
	global_store_dword v[10:11], v12, off
	s_clause 0x2
	global_load_dword v12, v[22:23], off
	global_load_dword v13, v[46:47], off
	global_load_dword v18, v[4:5], off
	s_waitcnt vmcnt(1)
	v_fma_f32 v12, -v12, v13, 1.0
	v_div_scale_f32 v13, null, v12, v12, 1.0
	v_div_scale_f32 v21, vcc_lo, 1.0, v12, 1.0
	v_rcp_f32_e32 v19, v13
	v_fma_f32 v20, -v13, v19, 1.0
	v_fmac_f32_e32 v19, v20, v19
	v_mul_f32_e32 v20, v21, v19
	v_fma_f32 v22, -v13, v20, v21
	v_fmac_f32_e32 v20, v22, v19
	v_fma_f32 v13, -v13, v20, v21
	v_div_fmas_f32 v13, v13, v19, v20
	v_div_fixup_f32 v12, v13, v12, 1.0
	s_waitcnt vmcnt(0)
	v_mul_f32_e32 v13, v18, v12
	global_store_dword v[4:5], v13, off
	global_load_dword v13, v[8:9], off
	s_waitcnt vmcnt(0)
	v_mul_f32_e32 v13, v13, v12
	global_store_dword v[8:9], v13, off
	global_load_dword v13, v[10:11], off
	s_waitcnt vmcnt(0)
	v_mul_f32_e32 v12, v12, v13
	global_store_dword v[10:11], v12, off
	s_clause 0x2
	global_load_dword v12, v[0:1], off
	global_load_dword v13, v[6:7], off
	global_load_dword v18, v[40:41], off
	s_waitcnt vmcnt(0)
	v_fmac_f32_e32 v12, v13, v18
	global_store_dword v[0:1], v12, off
	s_clause 0x2
	global_load_dword v12, v[2:3], off
	global_load_dword v13, v[6:7], off
	global_load_dword v18, v[46:47], off
	s_waitcnt vmcnt(0)
	v_fmac_f32_e32 v12, v13, v18
	global_store_dword v[2:3], v12, off
	s_clause 0x2
	global_load_dword v12, v[26:27], off
	global_load_dword v13, v[44:45], off
	global_load_dword v18, v[6:7], off
	s_waitcnt vmcnt(0)
	v_fmac_f32_e32 v12, v18, v13
	global_store_dword v[26:27], v12, off
	s_clause 0x2
	global_load_dword v6, v[6:7], off
	global_load_dword v7, v[42:43], off
	global_load_dword v12, v[0:1], off
	s_waitcnt vmcnt(1)
	v_fma_f32 v6, -v6, v7, 1.0
	v_div_scale_f32 v7, null, v6, v6, 1.0
	v_div_scale_f32 v19, vcc_lo, 1.0, v6, 1.0
	v_rcp_f32_e32 v13, v7
	v_fma_f32 v18, -v7, v13, 1.0
	v_fmac_f32_e32 v13, v18, v13
	v_mul_f32_e32 v18, v19, v13
	v_fma_f32 v20, -v7, v18, v19
	v_fmac_f32_e32 v18, v20, v13
	v_fma_f32 v7, -v7, v18, v19
	v_div_fmas_f32 v7, v7, v13, v18
	v_div_fixup_f32 v6, v7, v6, 1.0
	s_waitcnt vmcnt(0)
	v_mul_f32_e32 v7, v12, v6
	global_store_dword v[0:1], v7, off
	global_load_dword v7, v[2:3], off
	s_waitcnt vmcnt(0)
	v_mul_f32_e32 v7, v7, v6
	global_store_dword v[2:3], v7, off
	global_load_dword v7, v[26:27], off
	s_waitcnt vmcnt(0)
	v_mul_f32_e32 v6, v6, v7
	global_store_dword v[26:27], v6, off
	s_clause 0x2
	global_load_dword v6, v[14:15], off
	global_load_dword v7, v[24:25], off
	global_load_dword v12, v[40:41], off
	s_waitcnt vmcnt(0)
	v_fmac_f32_e32 v6, v7, v12
	global_store_dword v[14:15], v6, off
	s_clause 0x2
	global_load_dword v6, v[16:17], off
	global_load_dword v7, v[24:25], off
	global_load_dword v12, v[46:47], off
	s_waitcnt vmcnt(0)
	v_fmac_f32_e32 v6, v7, v12
	global_store_dword v[16:17], v6, off
	s_clause 0x2
	global_load_dword v6, v[32:33], off
	global_load_dword v7, v[42:43], off
	global_load_dword v12, v[24:25], off
	;; [unrolled: 49-line block ×3, first 2 shown]
	s_waitcnt vmcnt(1)
	v_fma_f32 v6, -v6, v7, 1.0
	v_div_scale_f32 v7, null, v6, v6, 1.0
	v_div_scale_f32 v13, vcc_lo, 1.0, v6, 1.0
	v_rcp_f32_e32 v11, v7
	v_fma_f32 v12, -v7, v11, 1.0
	v_fmac_f32_e32 v11, v12, v11
	v_mul_f32_e32 v12, v13, v11
	v_fma_f32 v18, -v7, v12, v13
	v_fmac_f32_e32 v12, v18, v11
	v_fma_f32 v7, -v7, v12, v13
	v_div_fmas_f32 v7, v7, v11, v12
	v_div_fixup_f32 v6, v7, v6, 1.0
	s_waitcnt vmcnt(0)
	v_mul_f32_e32 v7, v10, v6
	global_store_dword v[4:5], v7, off
	global_load_dword v7, v[8:9], off
	s_waitcnt vmcnt(0)
	v_mul_f32_e32 v6, v7, v6
	global_store_dword v[8:9], v6, off
	s_clause 0x2
	global_load_dword v6, v[0:1], off
	global_load_dword v7, v[26:27], off
	;; [unrolled: 1-line block ×3, first 2 shown]
	s_waitcnt vmcnt(0)
	v_fmac_f32_e32 v6, v7, v10
	global_store_dword v[0:1], v6, off
	s_clause 0x2
	global_load_dword v6, v[2:3], off
	global_load_dword v7, v[26:27], off
	;; [unrolled: 1-line block ×3, first 2 shown]
	s_waitcnt vmcnt(0)
	v_fmac_f32_e32 v6, v7, v10
	global_store_dword v[2:3], v6, off
	s_clause 0x2
	global_load_dword v6, v[26:27], off
	global_load_dword v7, v[32:33], off
	;; [unrolled: 1-line block ×3, first 2 shown]
	s_waitcnt vmcnt(1)
	v_fma_f32 v6, -v6, v7, 1.0
	v_div_scale_f32 v7, null, v6, v6, 1.0
	v_div_scale_f32 v13, vcc_lo, 1.0, v6, 1.0
	v_rcp_f32_e32 v11, v7
	v_fma_f32 v12, -v7, v11, 1.0
	v_fmac_f32_e32 v11, v12, v11
	v_mul_f32_e32 v12, v13, v11
	v_fma_f32 v14, -v7, v12, v13
	v_fmac_f32_e32 v12, v14, v11
	v_fma_f32 v7, -v7, v12, v13
	v_div_fmas_f32 v7, v7, v11, v12
	v_div_fixup_f32 v6, v7, v6, 1.0
	s_waitcnt vmcnt(0)
	v_mul_f32_e32 v7, v10, v6
	global_store_dword v[0:1], v7, off
	global_load_dword v7, v[2:3], off
	s_waitcnt vmcnt(0)
	v_mul_f32_e32 v6, v7, v6
	global_store_dword v[2:3], v6, off
	s_clause 0x2
	global_load_dword v6, v[4:5], off
	global_load_dword v7, v[8:9], off
	global_load_dword v0, v[0:1], off
	s_waitcnt vmcnt(0)
	v_fmac_f32_e32 v6, v7, v0
	global_store_dword v[4:5], v6, off
	s_clause 0x1
	global_load_dword v0, v[8:9], off
	global_load_dword v1, v[2:3], off
	s_waitcnt vmcnt(0)
	v_fma_f32 v0, -v0, v1, 1.0
	v_div_scale_f32 v1, null, v0, v0, 1.0
	v_rcp_f32_e32 v2, v1
	v_fma_f32 v3, -v1, v2, 1.0
	v_fmac_f32_e32 v2, v3, v2
	v_div_scale_f32 v3, vcc_lo, 1.0, v0, 1.0
	v_mul_f32_e32 v7, v3, v2
	v_fma_f32 v8, -v1, v7, v3
	v_fmac_f32_e32 v7, v8, v2
	v_fma_f32 v1, -v1, v7, v3
	v_div_fmas_f32 v1, v1, v2, v7
	v_div_fixup_f32 v0, v1, v0, 1.0
	v_mul_f32_e32 v0, v6, v0
	global_store_dword v[4:5], v0, off
	s_endpgm
	.section	.rodata,"a",@progbits
	.p2align	6, 0x0
	.amdhsa_kernel _Z12qssab_kernelIfEvPT_S1_S1_
		.amdhsa_group_segment_fixed_size 0
		.amdhsa_private_segment_fixed_size 0
		.amdhsa_kernarg_size 280
		.amdhsa_user_sgpr_count 6
		.amdhsa_user_sgpr_private_segment_buffer 1
		.amdhsa_user_sgpr_dispatch_ptr 0
		.amdhsa_user_sgpr_queue_ptr 0
		.amdhsa_user_sgpr_kernarg_segment_ptr 1
		.amdhsa_user_sgpr_dispatch_id 0
		.amdhsa_user_sgpr_flat_scratch_init 0
		.amdhsa_user_sgpr_private_segment_size 0
		.amdhsa_wavefront_size32 1
		.amdhsa_uses_dynamic_stack 0
		.amdhsa_system_sgpr_private_segment_wavefront_offset 0
		.amdhsa_system_sgpr_workgroup_id_x 1
		.amdhsa_system_sgpr_workgroup_id_y 0
		.amdhsa_system_sgpr_workgroup_id_z 0
		.amdhsa_system_sgpr_workgroup_info 0
		.amdhsa_system_vgpr_workitem_id 0
		.amdhsa_next_free_vgpr 58
		.amdhsa_next_free_sgpr 10
		.amdhsa_reserve_vcc 1
		.amdhsa_reserve_flat_scratch 0
		.amdhsa_float_round_mode_32 0
		.amdhsa_float_round_mode_16_64 0
		.amdhsa_float_denorm_mode_32 3
		.amdhsa_float_denorm_mode_16_64 3
		.amdhsa_dx10_clamp 1
		.amdhsa_ieee_mode 1
		.amdhsa_fp16_overflow 0
		.amdhsa_workgroup_processor_mode 1
		.amdhsa_memory_ordered 1
		.amdhsa_forward_progress 1
		.amdhsa_shared_vgpr_count 0
		.amdhsa_exception_fp_ieee_invalid_op 0
		.amdhsa_exception_fp_denorm_src 0
		.amdhsa_exception_fp_ieee_div_zero 0
		.amdhsa_exception_fp_ieee_overflow 0
		.amdhsa_exception_fp_ieee_underflow 0
		.amdhsa_exception_fp_ieee_inexact 0
		.amdhsa_exception_int_div_zero 0
	.end_amdhsa_kernel
	.section	.text._Z12qssab_kernelIfEvPT_S1_S1_,"axG",@progbits,_Z12qssab_kernelIfEvPT_S1_S1_,comdat
.Lfunc_end17:
	.size	_Z12qssab_kernelIfEvPT_S1_S1_, .Lfunc_end17-_Z12qssab_kernelIfEvPT_S1_S1_
                                        ; -- End function
	.set _Z12qssab_kernelIfEvPT_S1_S1_.num_vgpr, 58
	.set _Z12qssab_kernelIfEvPT_S1_S1_.num_agpr, 0
	.set _Z12qssab_kernelIfEvPT_S1_S1_.numbered_sgpr, 10
	.set _Z12qssab_kernelIfEvPT_S1_S1_.num_named_barrier, 0
	.set _Z12qssab_kernelIfEvPT_S1_S1_.private_seg_size, 0
	.set _Z12qssab_kernelIfEvPT_S1_S1_.uses_vcc, 1
	.set _Z12qssab_kernelIfEvPT_S1_S1_.uses_flat_scratch, 0
	.set _Z12qssab_kernelIfEvPT_S1_S1_.has_dyn_sized_stack, 0
	.set _Z12qssab_kernelIfEvPT_S1_S1_.has_recursion, 0
	.set _Z12qssab_kernelIfEvPT_S1_S1_.has_indirect_call, 0
	.section	.AMDGPU.csdata,"",@progbits
; Kernel info:
; codeLenInByte = 7516
; TotalNumSgprs: 12
; NumVgprs: 58
; ScratchSize: 0
; MemoryBound: 1
; FloatMode: 240
; IeeeMode: 1
; LDSByteSize: 0 bytes/workgroup (compile time only)
; SGPRBlocks: 0
; VGPRBlocks: 7
; NumSGPRsForWavesPerEU: 12
; NumVGPRsForWavesPerEU: 58
; Occupancy: 16
; WaveLimiterHint : 1
; COMPUTE_PGM_RSRC2:SCRATCH_EN: 0
; COMPUTE_PGM_RSRC2:USER_SGPR: 6
; COMPUTE_PGM_RSRC2:TRAP_HANDLER: 0
; COMPUTE_PGM_RSRC2:TGID_X_EN: 1
; COMPUTE_PGM_RSRC2:TGID_Y_EN: 0
; COMPUTE_PGM_RSRC2:TGID_Z_EN: 0
; COMPUTE_PGM_RSRC2:TIDIG_COMP_CNT: 0
	.section	.text._Z12qssa2_kernelIfEvPT_S1_PKS0_,"axG",@progbits,_Z12qssa2_kernelIfEvPT_S1_PKS0_,comdat
	.protected	_Z12qssa2_kernelIfEvPT_S1_PKS0_ ; -- Begin function _Z12qssa2_kernelIfEvPT_S1_PKS0_
	.globl	_Z12qssa2_kernelIfEvPT_S1_PKS0_
	.p2align	8
	.type	_Z12qssa2_kernelIfEvPT_S1_PKS0_,@function
_Z12qssa2_kernelIfEvPT_S1_PKS0_:        ; @_Z12qssa2_kernelIfEvPT_S1_PKS0_
; %bb.0:
	s_clause 0x1
	s_load_dword s0, s[4:5], 0x24
	s_load_dword s8, s[4:5], 0x18
	v_mov_b32_e32 v1, 0
	s_waitcnt lgkmcnt(0)
	s_and_b32 s0, s0, 0xffff
	s_mul_i32 s8, s8, s0
	s_mul_i32 s6, s6, s0
	;; [unrolled: 1-line block ×3, first 2 shown]
	s_lshl_b32 s9, s8, 2
	v_add3_u32 v0, s0, s6, v0
	s_mul_i32 s10, s8, -5
	s_clause 0x1
	s_load_dwordx2 s[6:7], s[4:5], 0x10
	s_load_dwordx4 s[0:3], s[4:5], 0x0
	s_mul_i32 s5, s8, 3
	v_mad_u64_u32 v[2:3], null, s8, -11, v[0:1]
	v_lshlrev_b64 v[33:34], 2, v[0:1]
	v_mov_b32_e32 v3, v1
	s_lshl_b32 s4, s8, 1
	v_add_nc_u32_e32 v0, s9, v2
	v_lshlrev_b64 v[2:3], 2, v[2:3]
	v_mad_u64_u32 v[10:11], null, s8, 40, v[0:1]
	v_lshlrev_b64 v[35:36], 2, v[0:1]
	v_mov_b32_e32 v11, v1
	s_waitcnt lgkmcnt(0)
	v_add_co_u32 v37, vcc_lo, s6, v33
	v_add_co_ci_u32_e64 v38, null, s7, v34, vcc_lo
	v_add_nc_u32_e32 v0, s9, v10
	v_lshlrev_b64 v[25:26], 2, v[10:11]
	v_add_co_u32 v2, vcc_lo, s6, v2
	v_add_co_ci_u32_e64 v3, null, s7, v3, vcc_lo
	v_lshlrev_b64 v[4:5], 2, v[0:1]
	v_subrev_nc_u32_e32 v0, s8, v0
	v_add_co_u32 v48, vcc_lo, s6, v35
	v_add_co_ci_u32_e64 v49, null, s7, v36, vcc_lo
	v_mad_u64_u32 v[16:17], null, 0xffffffc6, s8, v[0:1]
	v_lshlrev_b64 v[6:7], 2, v[0:1]
	v_mov_b32_e32 v17, v1
	v_add_co_u32 v50, vcc_lo, s6, v25
	v_add_co_ci_u32_e64 v51, null, s7, v26, vcc_lo
	v_add_nc_u32_e32 v0, s9, v16
	v_lshlrev_b64 v[16:17], 2, v[16:17]
	v_add_co_u32 v54, vcc_lo, s6, v4
	v_add_co_ci_u32_e64 v55, null, s7, v5, vcc_lo
	v_lshlrev_b64 v[18:19], 2, v[0:1]
	v_subrev_nc_u32_e32 v0, s8, v0
	v_add_co_u32 v56, vcc_lo, s6, v6
	v_add_co_ci_u32_e64 v57, null, s7, v7, vcc_lo
	v_lshlrev_b64 v[22:23], 2, v[0:1]
	v_add_nc_u32_e32 v0, s9, v0
	v_add_co_u32 v58, vcc_lo, s6, v16
	v_add_co_ci_u32_e64 v59, null, s7, v17, vcc_lo
	v_mad_u64_u32 v[27:28], null, 0xffffffee, s8, v[0:1]
	v_lshlrev_b64 v[29:30], 2, v[0:1]
	v_add_co_u32 v60, vcc_lo, s6, v18
	v_add_co_ci_u32_e64 v61, null, s7, v19, vcc_lo
	v_mov_b32_e32 v28, v1
	v_add_nc_u32_e32 v0, s9, v27
	v_lshlrev_b64 v[39:40], 2, v[0:1]
	v_subrev_nc_u32_e32 v0, s8, v0
	v_lshlrev_b64 v[41:42], 2, v[0:1]
	v_add_nc_u32_e32 v0, s9, v0
	v_lshlrev_b64 v[43:44], 2, v[0:1]
	v_add_nc_u32_e32 v0, s10, v0
	v_mad_u64_u32 v[45:46], null, 0x4b, s8, v[0:1]
	v_lshlrev_b64 v[46:47], 2, v[0:1]
	v_add_nc_u32_e32 v0, s9, v45
	v_lshlrev_b64 v[8:9], 2, v[0:1]
	v_subrev_nc_u32_e32 v0, s8, v0
	v_mad_u64_u32 v[31:32], null, 0xffffffe7, s8, v[0:1]
	v_lshlrev_b64 v[10:11], 2, v[0:1]
	s_clause 0x7
	global_load_dword v52, v[37:38], off
	global_load_dword v53, v[2:3], off
	global_load_dword v32, v[48:49], off
	global_load_dword v50, v[50:51], off
	global_load_dword v55, v[54:55], off
	global_load_dword v56, v[56:57], off
	global_load_dword v54, v[58:59], off
	global_load_dword v57, v[60:61], off
	v_add_co_u32 v48, vcc_lo, s6, v22
	v_add_co_ci_u32_e64 v49, null, s7, v23, vcc_lo
	v_add_nc_u32_e32 v0, s5, v31
	v_lshlrev_b64 v[12:13], 2, v[0:1]
	v_add_nc_u32_e32 v0, s9, v0
	v_lshlrev_b64 v[14:15], 2, v[0:1]
	v_add_nc_u32_e32 v0, s10, v0
	v_mad_u64_u32 v[20:21], null, s8, 31, v[0:1]
	v_lshlrev_b64 v[16:17], 2, v[0:1]
	v_lshlrev_b64 v[21:22], 2, v[27:28]
	v_add_co_u32 v27, vcc_lo, s6, v29
	v_add_co_ci_u32_e64 v28, null, s7, v30, vcc_lo
	v_add_nc_u32_e32 v0, s9, v20
	v_add_co_u32 v29, vcc_lo, s6, v21
	v_add_co_ci_u32_e64 v30, null, s7, v22, vcc_lo
	v_lshlrev_b64 v[18:19], 2, v[0:1]
	v_add_nc_u32_e32 v0, s5, v0
	v_mad_u64_u32 v[37:38], null, 0xffffffcd, s8, v[0:1]
	v_lshlrev_b64 v[2:3], 2, v[0:1]
	v_add_co_u32 v38, vcc_lo, s6, v39
	v_add_co_ci_u32_e64 v39, null, s7, v40, vcc_lo
	v_add_co_u32 v40, vcc_lo, s6, v41
	v_add_nc_u32_e32 v0, s5, v37
	v_add_co_ci_u32_e64 v41, null, s7, v42, vcc_lo
	v_mad_u64_u32 v[21:22], null, s8, 52, v[0:1]
	v_lshlrev_b64 v[23:24], 2, v[0:1]
	s_clause 0x3
	global_load_dword v22, v[48:49], off
	global_load_dword v48, v[29:30], off
	;; [unrolled: 1-line block ×4, first 2 shown]
	v_add_co_u32 v29, vcc_lo, s6, v43
	v_add_co_ci_u32_e64 v30, null, s7, v44, vcc_lo
	v_lshl_add_u32 v0, s8, 3, v21
	v_add_co_u32 v40, vcc_lo, s6, v46
	v_add_co_ci_u32_e64 v41, null, s7, v47, vcc_lo
	v_mad_u64_u32 v[38:39], null, 0xffffffac, s8, v[0:1]
	v_mov_b32_e32 v39, v1
	s_clause 0x2
	global_load_dword v44, v[27:28], off
	global_load_dword v47, v[29:30], off
	;; [unrolled: 1-line block ×3, first 2 shown]
	v_mov_b32_e32 v46, v1
	v_lshlrev_b64 v[42:43], 2, v[38:39]
	v_lshlrev_b64 v[29:30], 2, v[45:46]
	v_add_co_u32 v39, vcc_lo, s0, v42
	v_add_co_ci_u32_e64 v40, null, s1, v43, vcc_lo
	v_add_co_u32 v27, vcc_lo, s6, v29
	v_add_co_ci_u32_e64 v28, null, s7, v30, vcc_lo
	global_load_dword v42, v[39:40], off
	global_load_dword v51, v[27:28], off
	v_lshlrev_b64 v[27:28], 2, v[0:1]
	v_add_nc_u32_e32 v0, s8, v38
	s_waitcnt vmcnt(14)
	v_fmac_f32_e32 v53, v52, v32
	s_waitcnt vmcnt(12)
	v_fmac_f32_e32 v50, v52, v55
	;; [unrolled: 2-line block ×3, first 2 shown]
	v_fmac_f32_e32 v50, v53, v56
	s_waitcnt vmcnt(8)
	v_fmac_f32_e32 v54, v53, v22
	s_waitcnt vmcnt(6)
	;; [unrolled: 2-line block ×5, first 2 shown]
	v_fmac_f32_e32 v48, v50, v47
	v_lshlrev_b64 v[44:45], 2, v[0:1]
	v_add_nc_u32_e32 v0, s8, v0
	s_waitcnt vmcnt(2)
	v_fmac_f32_e32 v48, v54, v41
	v_add_co_u32 v41, vcc_lo, s0, v44
	v_lshlrev_b64 v[46:47], 2, v[0:1]
	v_add_nc_u32_e32 v0, s4, v0
	s_waitcnt vmcnt(1)
	v_mul_f32_e32 v22, v48, v42
	v_add_co_ci_u32_e64 v42, null, s1, v45, vcc_lo
	v_add_co_u32 v38, vcc_lo, s0, v46
	global_store_dword v[39:40], v22, off
	global_load_dword v22, v[41:42], off
	v_add_co_ci_u32_e64 v39, null, s1, v47, vcc_lo
	v_add_co_u32 v35, vcc_lo, s0, v35
	v_add_co_ci_u32_e64 v36, null, s1, v36, vcc_lo
	s_waitcnt vmcnt(0)
	v_mul_f32_e32 v22, v48, v22
	global_store_dword v[41:42], v22, off
	global_load_dword v22, v[38:39], off
	s_waitcnt vmcnt(0)
	v_mul_f32_e32 v22, v48, v22
	global_store_dword v[38:39], v22, off
	global_load_dword v22, v[35:36], off
	v_lshlrev_b64 v[39:40], 2, v[0:1]
	v_add_nc_u32_e32 v0, s8, v0
	v_mov_b32_e32 v38, v1
	v_add_co_u32 v41, vcc_lo, s0, v39
	v_add_co_ci_u32_e64 v42, null, s1, v40, vcc_lo
	s_waitcnt vmcnt(0)
	v_mul_f32_e32 v22, v48, v22
	global_store_dword v[35:36], v22, off
	global_load_dword v22, v[41:42], off
	v_lshlrev_b64 v[35:36], 2, v[0:1]
	v_add_nc_u32_e32 v0, s8, v0
	v_add_co_u32 v55, vcc_lo, s0, v35
	v_add_co_ci_u32_e64 v56, null, s1, v36, vcc_lo
	v_lshlrev_b64 v[35:36], 2, v[0:1]
	v_add_nc_u32_e32 v0, s8, v0
	s_waitcnt vmcnt(0)
	v_mul_f32_e32 v22, v48, v22
	global_store_dword v[41:42], v22, off
	global_load_dword v22, v[55:56], off
	v_add_co_u32 v41, vcc_lo, s0, v35
	v_add_co_ci_u32_e64 v42, null, s1, v36, vcc_lo
	s_waitcnt vmcnt(0)
	v_mul_f32_e32 v22, v48, v22
	global_store_dword v[55:56], v22, off
	global_load_dword v22, v[41:42], off
	v_lshlrev_b64 v[55:56], 2, v[0:1]
	v_add_nc_u32_e32 v0, s8, v0
	v_add_co_u32 v55, vcc_lo, s0, v55
	v_add_co_ci_u32_e64 v56, null, s1, v56, vcc_lo
	s_waitcnt vmcnt(0)
	v_mul_f32_e32 v22, v48, v22
	global_store_dword v[41:42], v22, off
	global_load_dword v22, v[55:56], off
	v_lshlrev_b64 v[41:42], 2, v[0:1]
	v_add_nc_u32_e32 v0, s8, v0
	;; [unrolled: 8-line block ×3, first 2 shown]
	v_add_co_u32 v55, vcc_lo, s0, v55
	v_add_co_ci_u32_e64 v56, null, s1, v56, vcc_lo
	v_add_co_u32 v32, vcc_lo, s0, v33
	v_add_co_ci_u32_e64 v33, null, s1, v34, vcc_lo
	s_waitcnt vmcnt(0)
	v_mul_f32_e32 v22, v52, v22
	global_store_dword v[41:42], v22, off
	global_load_dword v22, v[55:56], off
	v_lshlrev_b64 v[41:42], 2, v[0:1]
	v_add_nc_u32_e32 v0, s8, v0
	v_add_co_u32 v41, vcc_lo, s0, v41
	v_add_co_ci_u32_e64 v42, null, s1, v42, vcc_lo
	s_waitcnt vmcnt(0)
	v_mul_f32_e32 v22, v52, v22
	global_store_dword v[55:56], v22, off
	global_load_dword v22, v[32:33], off
	s_waitcnt vmcnt(0)
	v_mul_f32_e32 v22, v52, v22
	global_store_dword v[32:33], v22, off
	global_load_dword v22, v[41:42], off
	v_lshlrev_b64 v[32:33], 2, v[0:1]
	v_add_nc_u32_e32 v0, s8, v0
	v_add_co_u32 v32, vcc_lo, s0, v32
	v_add_co_ci_u32_e64 v33, null, s1, v33, vcc_lo
	s_waitcnt vmcnt(0)
	v_mul_f32_e32 v22, v52, v22
	global_store_dword v[41:42], v22, off
	global_load_dword v22, v[32:33], off
	v_lshlrev_b64 v[41:42], 2, v[0:1]
	v_add_nc_u32_e32 v0, s8, v0
	v_add_co_u32 v41, vcc_lo, s0, v41
	v_add_co_ci_u32_e64 v42, null, s1, v42, vcc_lo
	;; [unrolled: 8-line block ×5, first 2 shown]
	v_lshlrev_b64 v[57:58], 2, v[0:1]
	v_add_nc_u32_e32 v0, s8, v0
	s_waitcnt vmcnt(0)
	v_mul_f32_e32 v22, v54, v22
	global_store_dword v[41:42], v22, off
	global_load_dword v22, v[55:56], off
	v_add_co_u32 v41, vcc_lo, s0, v57
	v_add_co_ci_u32_e64 v42, null, s1, v58, vcc_lo
	s_waitcnt vmcnt(0)
	v_mul_f32_e32 v22, v54, v22
	global_store_dword v[55:56], v22, off
	global_load_dword v22, v[41:42], off
	v_lshlrev_b64 v[55:56], 2, v[0:1]
	v_add_nc_u32_e32 v0, s8, v0
	v_add_co_u32 v55, vcc_lo, s0, v55
	v_add_co_ci_u32_e64 v56, null, s1, v56, vcc_lo
	s_waitcnt vmcnt(0)
	v_mul_f32_e32 v22, v54, v22
	global_store_dword v[41:42], v22, off
	global_load_dword v22, v[55:56], off
	v_lshlrev_b64 v[41:42], 2, v[0:1]
	v_add_nc_u32_e32 v0, s8, v0
	;; [unrolled: 8-line block ×3, first 2 shown]
	v_add_co_u32 v59, vcc_lo, s0, v55
	v_add_co_ci_u32_e64 v60, null, s1, v56, vcc_lo
	s_waitcnt vmcnt(0)
	v_mul_f32_e32 v22, v54, v22
	global_store_dword v[41:42], v22, off
	global_load_dword v22, v[59:60], off
	v_lshlrev_b64 v[42:43], 2, v[37:38]
	v_add_co_u32 v37, vcc_lo, s0, v42
	v_add_co_ci_u32_e64 v38, null, s1, v43, vcc_lo
	v_add_co_u32 v44, vcc_lo, s2, v44
	v_add_co_ci_u32_e64 v45, null, s3, v45, vcc_lo
	;; [unrolled: 2-line block ×3, first 2 shown]
	s_waitcnt vmcnt(0)
	v_mul_f32_e32 v22, v54, v22
	global_store_dword v[59:60], v22, off
	global_load_dword v22, v[37:38], off
	s_waitcnt vmcnt(0)
	v_mul_f32_e32 v22, v54, v22
	global_store_dword v[37:38], v22, off
	v_lshlrev_b64 v[37:38], 2, v[0:1]
	v_add_nc_u32_e32 v0, s5, v0
	v_add_co_u32 v37, vcc_lo, s0, v37
	v_add_co_ci_u32_e64 v38, null, s1, v38, vcc_lo
	global_load_dword v22, v[44:45], off
	global_load_dword v34, v[37:38], off
	s_waitcnt vmcnt(1)
	v_mul_f32_e32 v22, v52, v22
	global_store_dword v[44:45], v22, off
	v_lshlrev_b64 v[44:45], 2, v[0:1]
	s_waitcnt vmcnt(0)
	v_mul_f32_e32 v22, v54, v34
	global_load_dword v34, v[46:47], off
	v_add_nc_u32_e32 v0, s8, v0
	global_store_dword v[37:38], v22, off
	v_add_co_u32 v37, vcc_lo, s0, v44
	v_add_co_ci_u32_e64 v38, null, s1, v45, vcc_lo
	global_load_dword v22, v[37:38], off
	s_waitcnt vmcnt(1)
	v_mul_f32_e32 v34, v54, v34
	global_store_dword v[46:47], v34, off
	v_lshlrev_b64 v[46:47], 2, v[0:1]
	v_add_nc_u32_e32 v0, s8, v0
	s_waitcnt vmcnt(0)
	v_mul_f32_e32 v22, v53, v22
	global_store_dword v[37:38], v22, off
	v_add_co_u32 v37, vcc_lo, s0, v46
	v_add_co_ci_u32_e64 v38, null, s1, v47, vcc_lo
	v_add_co_u32 v39, vcc_lo, s2, v39
	v_add_co_ci_u32_e64 v40, null, s3, v40, vcc_lo
	global_load_dword v22, v[37:38], off
	s_waitcnt vmcnt(0)
	v_mul_f32_e32 v22, v53, v22
	global_store_dword v[37:38], v22, off
	v_lshlrev_b64 v[37:38], 2, v[0:1]
	v_add_nc_u32_e32 v0, s8, v0
	v_add_co_u32 v37, vcc_lo, s0, v37
	v_add_co_ci_u32_e64 v38, null, s1, v38, vcc_lo
	global_load_dword v22, v[39:40], off
	global_load_dword v34, v[37:38], off
	s_waitcnt vmcnt(1)
	v_mul_f32_e32 v22, v52, v22
	global_store_dword v[39:40], v22, off
	v_lshlrev_b64 v[39:40], 2, v[0:1]
	s_waitcnt vmcnt(0)
	v_mul_f32_e32 v22, v53, v34
	v_add_nc_u32_e32 v0, s8, v0
	global_store_dword v[37:38], v22, off
	v_add_co_u32 v37, vcc_lo, s0, v39
	v_add_co_ci_u32_e64 v38, null, s1, v40, vcc_lo
	global_load_dword v22, v[37:38], off
	s_waitcnt vmcnt(0)
	v_mul_f32_e32 v22, v53, v22
	global_store_dword v[37:38], v22, off
	v_lshlrev_b64 v[37:38], 2, v[0:1]
	v_add_nc_u32_e32 v0, s8, v0
	v_add_co_u32 v37, vcc_lo, s0, v37
	v_add_co_ci_u32_e64 v38, null, s1, v38, vcc_lo
	global_load_dword v22, v[37:38], off
	s_waitcnt vmcnt(0)
	v_mul_f32_e32 v22, v53, v22
	global_store_dword v[37:38], v22, off
	v_lshlrev_b64 v[37:38], 2, v[0:1]
	v_add_nc_u32_e32 v0, s8, v0
	v_add_co_u32 v37, vcc_lo, s0, v37
	v_add_co_ci_u32_e64 v38, null, s1, v38, vcc_lo
	v_add_co_u32 v34, vcc_lo, s2, v35
	v_add_co_ci_u32_e64 v35, null, s3, v36, vcc_lo
	global_load_dword v22, v[37:38], off
	v_add_co_u32 v59, vcc_lo, s2, v32
	v_add_co_ci_u32_e64 v60, null, s3, v33, vcc_lo
	v_mov_b32_e32 v32, v1
	v_lshlrev_b64 v[31:32], 2, v[31:32]
	s_waitcnt vmcnt(0)
	v_mul_f32_e32 v22, v53, v22
	global_store_dword v[37:38], v22, off
	v_lshlrev_b64 v[36:37], 2, v[0:1]
	v_add_nc_u32_e32 v0, s4, v0
	v_add_co_u32 v36, vcc_lo, s0, v36
	v_add_co_ci_u32_e64 v37, null, s1, v37, vcc_lo
	global_load_dword v22, v[34:35], off
	global_load_dword v33, v[36:37], off
	s_waitcnt vmcnt(1)
	v_mul_f32_e32 v22, v52, v22
	global_store_dword v[34:35], v22, off
	s_waitcnt vmcnt(0)
	v_mul_f32_e32 v35, v53, v33
	v_add_co_u32 v33, vcc_lo, s0, v31
	global_load_dword v22, v[59:60], off
	v_add_co_ci_u32_e64 v34, null, s1, v32, vcc_lo
	global_store_dword v[36:37], v35, off
	v_add_co_u32 v35, vcc_lo, s2, v57
	global_load_dword v37, v[33:34], off
	v_add_co_ci_u32_e64 v36, null, s3, v58, vcc_lo
	v_lshlrev_b64 v[57:58], 2, v[0:1]
	v_add_nc_u32_e32 v0, s5, v0
	s_waitcnt vmcnt(1)
	v_mul_f32_e32 v22, v52, v22
	global_store_dword v[59:60], v22, off
	s_waitcnt vmcnt(0)
	v_mul_f32_e32 v41, v53, v37
	v_add_co_u32 v37, vcc_lo, s0, v57
	global_load_dword v22, v[35:36], off
	v_add_co_ci_u32_e64 v38, null, s1, v58, vcc_lo
	global_store_dword v[33:34], v41, off
	v_add_co_u32 v33, vcc_lo, s2, v55
	global_load_dword v41, v[37:38], off
	v_add_co_ci_u32_e64 v34, null, s3, v56, vcc_lo
	s_waitcnt vmcnt(1)
	v_mul_f32_e32 v22, v52, v22
	global_store_dword v[35:36], v22, off
	v_add_co_u32 v35, vcc_lo, s0, v16
	global_load_dword v22, v[33:34], off
	s_waitcnt vmcnt(1)
	v_mul_f32_e32 v41, v53, v41
	v_add_co_ci_u32_e64 v36, null, s1, v17, vcc_lo
	global_store_dword v[37:38], v41, off
	global_load_dword v41, v[35:36], off
	v_add_co_u32 v37, vcc_lo, s2, v44
	v_add_co_ci_u32_e64 v38, null, s3, v45, vcc_lo
	v_lshlrev_b64 v[44:45], 2, v[0:1]
	v_add_nc_u32_e32 v0, s8, v0
	s_waitcnt vmcnt(1)
	v_mul_f32_e32 v22, v48, v22
	global_store_dword v[33:34], v22, off
	v_add_co_u32 v33, vcc_lo, s0, v12
	global_load_dword v22, v[37:38], off
	s_waitcnt vmcnt(1)
	v_mul_f32_e32 v41, v53, v41
	v_add_co_ci_u32_e64 v34, null, s1, v13, vcc_lo
	global_store_dword v[35:36], v41, off
	global_load_dword v41, v[33:34], off
	v_add_co_u32 v35, vcc_lo, s2, v46
	v_add_co_ci_u32_e64 v36, null, s3, v47, vcc_lo
	v_lshlrev_b64 v[46:47], 2, v[0:1]
	v_add_nc_u32_e32 v0, s8, v0
	s_waitcnt vmcnt(1)
	v_mul_f32_e32 v22, v54, v22
	global_store_dword v[37:38], v22, off
	v_add_co_u32 v37, vcc_lo, s0, v44
	s_waitcnt vmcnt(0)
	v_mul_f32_e32 v41, v53, v41
	global_load_dword v22, v[35:36], off
	v_add_co_ci_u32_e64 v38, null, s1, v45, vcc_lo
	v_lshlrev_b64 v[44:45], 2, v[0:1]
	global_store_dword v[33:34], v41, off
	v_add_co_u32 v33, vcc_lo, s2, v39
	global_load_dword v41, v[37:38], off
	v_add_co_ci_u32_e64 v34, null, s3, v40, vcc_lo
	v_add_co_u32 v25, vcc_lo, s0, v25
	v_add_co_ci_u32_e64 v26, null, s1, v26, vcc_lo
	v_add_nc_u32_e32 v0, s4, v0
	s_waitcnt vmcnt(1)
	v_mul_f32_e32 v22, v48, v22
	global_store_dword v[35:36], v22, off
	global_load_dword v22, v[33:34], off
	s_waitcnt vmcnt(1)
	v_mul_f32_e32 v35, v53, v41
	v_lshlrev_b64 v[40:41], 2, v[0:1]
	v_add_nc_u32_e32 v0, s8, v0
	global_store_dword v[37:38], v35, off
	global_load_dword v49, v[25:26], off
	v_lshlrev_b64 v[38:39], 2, v[0:1]
	v_add_nc_u32_e32 v0, s8, v0
	v_mad_u64_u32 v[35:36], null, s8, 6, v[0:1]
	v_lshlrev_b64 v[36:37], 2, v[0:1]
	v_add_nc_u32_e32 v0, s5, v35
	s_waitcnt vmcnt(1)
	v_mul_f32_e32 v22, v52, v22
	global_store_dword v[33:34], v22, off
	v_lshlrev_b64 v[33:34], 2, v[0:1]
	s_waitcnt vmcnt(0)
	v_mul_f32_e32 v22, v48, v49
	v_add_nc_u32_e32 v0, s4, v0
	global_store_dword v[25:26], v22, off
	v_lshlrev_b64 v[25:26], 2, v[0:1]
	v_add_nc_u32_e32 v0, s4, v0
	v_add_co_u32 v55, vcc_lo, s0, v25
	v_add_co_ci_u32_e64 v56, null, s1, v26, vcc_lo
	v_add_co_u32 v29, vcc_lo, s0, v29
	v_add_co_ci_u32_e64 v30, null, s1, v30, vcc_lo
	global_load_dword v22, v[55:56], off
	v_add_co_u32 v42, vcc_lo, s6, v42
	v_add_co_ci_u32_e64 v43, null, s7, v43, vcc_lo
	s_waitcnt vmcnt(0)
	v_mul_f32_e32 v22, v48, v22
	global_store_dword v[55:56], v22, off
	global_load_dword v22, v[29:30], off
	v_add_co_u32 v55, vcc_lo, s2, v57
	v_add_co_ci_u32_e64 v56, null, s3, v58, vcc_lo
	s_waitcnt vmcnt(0)
	v_mul_f32_e32 v22, v52, v22
	global_store_dword v[29:30], v22, off
	v_lshlrev_b64 v[29:30], 2, v[0:1]
	v_add_nc_u32_e32 v0, s8, v0
	v_add_co_u32 v29, vcc_lo, s0, v29
	v_add_co_ci_u32_e64 v30, null, s1, v30, vcc_lo
	global_load_dword v22, v[55:56], off
	global_load_dword v49, v[29:30], off
	s_waitcnt vmcnt(1)
	v_mul_f32_e32 v22, v54, v22
	global_store_dword v[55:56], v22, off
	v_add_co_u32 v55, vcc_lo, s2, v16
	v_add_co_ci_u32_e64 v56, null, s3, v17, vcc_lo
	s_waitcnt vmcnt(0)
	v_mul_f32_e32 v22, v52, v49
	global_load_dword v49, v[55:56], off
	global_store_dword v[29:30], v22, off
	v_add_co_u32 v29, vcc_lo, s0, v10
	v_add_co_ci_u32_e64 v30, null, s1, v11, vcc_lo
	v_add_co_u32 v57, vcc_lo, s2, v12
	v_add_co_ci_u32_e64 v58, null, s3, v13, vcc_lo
	global_load_dword v22, v[29:30], off
	v_add_co_u32 v59, vcc_lo, s0, v8
	v_add_co_ci_u32_e64 v60, null, s1, v9, vcc_lo
	s_waitcnt vmcnt(1)
	v_mul_f32_e32 v49, v54, v49
	global_store_dword v[55:56], v49, off
	global_load_dword v49, v[57:58], off
	global_load_dword v56, v[42:43], off
	v_add_co_u32 v42, vcc_lo, s6, v23
	v_add_co_ci_u32_e64 v43, null, s7, v24, vcc_lo
	s_waitcnt vmcnt(2)
	v_mul_f32_e32 v22, v54, v22
	global_load_dword v61, v[42:43], off
	global_store_dword v[29:30], v22, off
	global_load_dword v55, v[59:60], off
	v_mov_b32_e32 v22, v1
	v_lshlrev_b64 v[21:22], 2, v[21:22]
	v_add_co_u32 v21, vcc_lo, s6, v21
	v_add_co_ci_u32_e64 v22, null, s7, v22, vcc_lo
	global_load_dword v22, v[21:22], off
	s_waitcnt vmcnt(4)
	v_mul_f32_e32 v29, v54, v49
	global_store_dword v[57:58], v29, off
	v_lshlrev_b64 v[29:30], 2, v[0:1]
	v_add_nc_u32_e32 v0, s9, v0
	s_waitcnt vmcnt(2)
	v_fmac_f32_e32 v56, v53, v61
	v_lshlrev_b64 v[23:24], 2, v[0:1]
	v_add_nc_u32_e32 v0, s4, v0
	s_waitcnt vmcnt(1)
	v_mul_f32_e32 v49, v53, v55
	v_lshlrev_b64 v[42:43], 2, v[0:1]
	global_store_dword v[59:60], v49, off
	v_add_nc_u32_e32 v0, s8, v0
	v_add_co_u32 v42, vcc_lo, s0, v42
	v_add_co_ci_u32_e64 v43, null, s1, v43, vcc_lo
	v_add_co_u32 v27, vcc_lo, s6, v27
	v_lshlrev_b64 v[57:58], 2, v[0:1]
	global_load_dword v49, v[42:43], off
	v_add_co_ci_u32_e64 v28, null, s7, v28, vcc_lo
	v_add_nc_u32_e32 v0, s8, v0
	v_add_co_u32 v57, vcc_lo, s0, v57
	global_load_dword v55, v[27:28], off
	v_add_co_ci_u32_e64 v58, null, s1, v58, vcc_lo
	v_lshlrev_b64 v[27:28], 2, v[0:1]
	v_add_nc_u32_e32 v0, s4, v0
	s_waitcnt vmcnt(1)
	v_mul_f32_e32 v21, v56, v49
	global_store_dword v[42:43], v21, off
	global_load_dword v21, v[57:58], off
	v_lshlrev_b64 v[42:43], 2, v[0:1]
	v_add_nc_u32_e32 v0, s8, v0
	v_add_co_u32 v42, vcc_lo, s0, v42
	v_add_co_ci_u32_e64 v43, null, s1, v43, vcc_lo
	s_waitcnt vmcnt(0)
	v_mul_f32_e32 v21, v56, v21
	global_store_dword v[57:58], v21, off
	v_add_co_u32 v57, vcc_lo, s0, v27
	v_add_co_ci_u32_e64 v58, null, s1, v28, vcc_lo
	v_mov_b32_e32 v21, v1
	global_load_dword v49, v[57:58], off
	v_lshlrev_b64 v[59:60], 2, v[20:21]
	v_add_co_u32 v20, vcc_lo, s0, v59
	v_add_co_ci_u32_e64 v21, null, s1, v60, vcc_lo
	s_waitcnt vmcnt(0)
	v_mul_f32_e32 v49, v56, v49
	global_store_dword v[57:58], v49, off
	global_load_dword v49, v[20:21], off
	s_waitcnt vmcnt(0)
	v_mul_f32_e32 v49, v56, v49
	global_store_dword v[20:21], v49, off
	global_load_dword v49, v[42:43], off
	v_lshlrev_b64 v[20:21], 2, v[0:1]
	v_add_nc_u32_e32 v0, s9, v0
	v_add_co_u32 v20, vcc_lo, s0, v20
	v_add_co_ci_u32_e64 v21, null, s1, v21, vcc_lo
	s_waitcnt vmcnt(0)
	v_mul_f32_e32 v49, v56, v49
	global_store_dword v[42:43], v49, off
	global_load_dword v49, v[20:21], off
	v_lshlrev_b64 v[42:43], 2, v[0:1]
	v_add_nc_u32_e32 v0, s4, v0
	v_add_co_u32 v42, vcc_lo, s0, v42
	v_add_co_ci_u32_e64 v43, null, s1, v43, vcc_lo
	s_waitcnt vmcnt(0)
	v_mul_f32_e32 v49, v56, v49
	global_store_dword v[20:21], v49, off
	global_load_dword v20, v[42:43], off
	s_waitcnt vmcnt(0)
	v_mul_f32_e32 v49, v48, v20
	v_add_co_u32 v20, vcc_lo, s0, v2
	v_add_co_ci_u32_e64 v21, null, s1, v3, vcc_lo
	global_store_dword v[42:43], v49, off
	global_load_dword v42, v[20:21], off
	s_waitcnt vmcnt(0)
	v_mul_f32_e32 v49, v54, v42
	v_add_co_u32 v42, vcc_lo, s2, v46
	v_add_co_ci_u32_e64 v43, null, s3, v47, vcc_lo
	v_lshlrev_b64 v[46:47], 2, v[0:1]
	global_store_dword v[20:21], v49, off
	v_add_nc_u32_e32 v0, s8, v0
	global_load_dword v49, v[42:43], off
	v_add_co_u32 v20, vcc_lo, s0, v46
	v_add_co_ci_u32_e64 v21, null, s1, v47, vcc_lo
	v_add_co_u32 v44, vcc_lo, s2, v44
	v_add_co_ci_u32_e64 v45, null, s3, v45, vcc_lo
	global_load_dword v46, v[20:21], off
	s_waitcnt vmcnt(1)
	v_mul_f32_e32 v47, v56, v49
	global_store_dword v[42:43], v47, off
	v_lshlrev_b64 v[42:43], 2, v[0:1]
	v_add_nc_u32_e32 v0, s5, v0
	s_waitcnt vmcnt(0)
	v_mul_f32_e32 v49, v53, v46
	v_lshlrev_b64 v[46:47], 2, v[0:1]
	v_add_nc_u32_e32 v0, s8, v0
	global_store_dword v[20:21], v49, off
	global_load_dword v49, v[44:45], off
	v_add_co_u32 v20, vcc_lo, s0, v46
	v_add_co_ci_u32_e64 v21, null, s1, v47, vcc_lo
	global_load_dword v46, v[20:21], off
	s_waitcnt vmcnt(1)
	v_mul_f32_e32 v47, v52, v49
	global_store_dword v[44:45], v47, off
	v_add_co_u32 v44, vcc_lo, s2, v14
	s_waitcnt vmcnt(0)
	v_mul_f32_e32 v46, v48, v46
	v_lshlrev_b64 v[48:49], 2, v[0:1]
	v_add_co_ci_u32_e64 v45, null, s3, v15, vcc_lo
	v_add_nc_u32_e32 v0, s4, v0
	global_store_dword v[20:21], v46, off
	v_add_co_u32 v20, vcc_lo, s0, v48
	global_load_dword v47, v[44:45], off
	v_add_co_ci_u32_e64 v21, null, s1, v49, vcc_lo
	global_load_dword v46, v[20:21], off
	s_waitcnt vmcnt(1)
	v_mul_f32_e32 v47, v52, v47
	global_store_dword v[44:45], v47, off
	v_lshlrev_b64 v[44:45], 2, v[0:1]
	s_waitcnt vmcnt(0)
	v_mul_f32_e32 v46, v54, v46
	v_add_nc_u32_e32 v0, s8, v0
	global_store_dword v[20:21], v46, off
	v_lshlrev_b64 v[20:21], 2, v[0:1]
	v_add_nc_u32_e32 v0, s4, v0
	v_add_co_u32 v20, vcc_lo, s0, v20
	v_add_co_ci_u32_e64 v21, null, s1, v21, vcc_lo
	global_load_dword v46, v[20:21], off
	s_waitcnt vmcnt(0)
	v_mul_f32_e32 v46, v50, v46
	global_store_dword v[20:21], v46, off
	v_lshlrev_b64 v[46:47], 2, v[0:1]
	v_add_nc_u32_e32 v0, s5, v0
	v_lshlrev_b64 v[20:21], 2, v[0:1]
	v_add_nc_u32_e32 v0, s4, v0
	v_add_co_u32 v57, vcc_lo, s0, v20
	v_add_co_ci_u32_e64 v58, null, s1, v21, vcc_lo
	v_add_co_u32 v31, vcc_lo, s6, v31
	v_add_co_ci_u32_e64 v32, null, s7, v32, vcc_lo
	global_load_dword v61, v[57:58], off
	v_add_co_u32 v12, vcc_lo, s6, v12
	v_add_co_ci_u32_e64 v13, null, s7, v13, vcc_lo
	v_add_co_u32 v14, vcc_lo, s6, v14
	v_add_co_ci_u32_e64 v15, null, s7, v15, vcc_lo
	;; [unrolled: 2-line block ×3, first 2 shown]
	s_waitcnt vmcnt(0)
	v_mul_f32_e32 v61, v52, v61
	global_store_dword v[57:58], v61, off
	v_add_co_u32 v57, vcc_lo, s6, v59
	v_add_co_ci_u32_e64 v58, null, s7, v60, vcc_lo
	v_add_co_u32 v59, vcc_lo, s6, v18
	v_add_co_ci_u32_e64 v60, null, s7, v19, vcc_lo
	v_lshlrev_b64 v[18:19], 2, v[0:1]
	v_add_co_u32 v40, vcc_lo, s2, v40
	v_add_co_ci_u32_e64 v41, null, s3, v41, vcc_lo
	v_add_nc_u32_e32 v0, s8, v0
	v_add_co_u32 v61, vcc_lo, s0, v18
	v_add_co_ci_u32_e64 v62, null, s1, v19, vcc_lo
	s_clause 0x2
	global_load_dword v18, v[31:32], off
	global_load_dword v12, v[12:13], off
	;; [unrolled: 1-line block ×6, first 2 shown]
	s_clause 0x1
	global_load_dword v19, v[57:58], off
	global_load_dword v31, v[59:60], off
	s_waitcnt vmcnt(6)
	v_fmac_f32_e32 v18, v53, v12
	s_waitcnt vmcnt(4)
	v_mul_f32_e32 v32, v52, v14
	v_add_co_u32 v14, vcc_lo, s2, v38
	v_fmac_f32_e32 v18, v50, v13
	v_lshlrev_b64 v[12:13], 2, v[0:1]
	v_add_co_ci_u32_e64 v15, null, s3, v39, vcc_lo
	global_store_dword v[40:41], v32, off
	s_waitcnt vmcnt(3)
	v_fmac_f32_e32 v18, v54, v16
	v_add_nc_u32_e32 v0, s8, v0
	v_add_co_u32 v16, vcc_lo, s0, v12
	global_load_dword v32, v[14:15], off
	s_waitcnt vmcnt(3)
	v_mul_f32_e32 v38, v18, v17
	v_add_co_ci_u32_e64 v17, null, s1, v13, vcc_lo
	v_add_co_u32 v36, vcc_lo, s2, v36
	global_store_dword v[61:62], v38, off
	global_load_dword v40, v[16:17], off
	v_lshlrev_b64 v[38:39], 2, v[0:1]
	v_add_co_ci_u32_e64 v37, null, s3, v37, vcc_lo
	v_add_nc_u32_e32 v0, s8, v0
	s_waitcnt vmcnt(2)
	v_fmac_f32_e32 v19, v52, v31
	v_add_co_u32 v38, vcc_lo, s0, v38
	v_add_co_ci_u32_e64 v39, null, s1, v39, vcc_lo
	s_waitcnt vmcnt(1)
	v_mul_f32_e32 v32, v52, v32
	global_store_dword v[14:15], v32, off
	global_load_dword v32, v[36:37], off
	s_waitcnt vmcnt(1)
	v_mul_f32_e32 v14, v18, v40
	v_add_co_u32 v40, vcc_lo, s2, v4
	v_add_co_ci_u32_e64 v41, null, s3, v5, vcc_lo
	global_store_dword v[16:17], v14, off
	global_load_dword v57, v[38:39], off
	v_lshlrev_b64 v[16:17], 2, v[0:1]
	v_add_nc_u32_e32 v0, s8, v0
	v_add_co_u32 v6, vcc_lo, s2, v6
	v_add_co_ci_u32_e64 v7, null, s3, v7, vcc_lo
	v_lshlrev_b64 v[14:15], 2, v[0:1]
	v_add_nc_u32_e32 v0, s9, v0
	v_lshlrev_b64 v[4:5], 2, v[0:1]
	v_add_nc_u32_e32 v0, s4, v0
	s_waitcnt vmcnt(1)
	v_mul_f32_e32 v32, v52, v32
	global_store_dword v[36:37], v32, off
	v_lshlrev_b64 v[36:37], 2, v[0:1]
	s_waitcnt vmcnt(0)
	v_mul_f32_e32 v32, v18, v57
	v_add_co_u32 v57, vcc_lo, s0, v16
	v_add_co_ci_u32_e64 v58, null, s1, v17, vcc_lo
	global_store_dword v[38:39], v32, off
	global_load_dword v32, v[6:7], off
	v_add_co_u32 v38, vcc_lo, s0, v36
	global_load_dword v36, v[57:58], off
	v_add_co_ci_u32_e64 v39, null, s1, v37, vcc_lo
	v_add_nc_u32_e32 v0, s8, v0
	s_waitcnt vmcnt(1)
	v_mul_f32_e32 v32, v54, v32
	s_waitcnt vmcnt(0)
	v_mul_f32_e32 v36, v18, v36
	global_store_dword v[6:7], v32, off
	global_load_dword v32, v[40:41], off
	global_store_dword v[57:58], v36, off
	global_load_dword v37, v[38:39], off
	v_mov_b32_e32 v36, v1
	v_lshlrev_b64 v[6:7], 2, v[35:36]
	v_lshlrev_b64 v[35:36], 2, v[0:1]
	v_add_nc_u32_e32 v0, s8, v0
	v_add_co_u32 v57, vcc_lo, s2, v6
	v_add_co_ci_u32_e64 v58, null, s3, v7, vcc_lo
	v_add_co_u32 v35, vcc_lo, s0, v35
	v_add_co_ci_u32_e64 v36, null, s1, v36, vcc_lo
	s_waitcnt vmcnt(1)
	v_mul_f32_e32 v6, v53, v32
	v_add_co_u32 v32, vcc_lo, s2, v33
	s_waitcnt vmcnt(0)
	v_mul_f32_e32 v7, v50, v37
	v_add_co_ci_u32_e64 v33, null, s3, v34, vcc_lo
	global_store_dword v[40:41], v6, off
	global_load_dword v37, v[57:58], off
	global_store_dword v[38:39], v7, off
	global_load_dword v38, v[35:36], off
	v_lshlrev_b64 v[6:7], 2, v[0:1]
	v_add_nc_u32_e32 v0, s8, v0
	s_waitcnt vmcnt(1)
	v_mul_f32_e32 v34, v56, v37
	v_add_co_u32 v37, vcc_lo, s0, v6
	s_waitcnt vmcnt(0)
	v_mul_f32_e32 v39, v50, v38
	v_add_co_ci_u32_e64 v38, null, s1, v7, vcc_lo
	global_store_dword v[57:58], v34, off
	global_load_dword v40, v[32:33], off
	global_store_dword v[35:36], v39, off
	global_load_dword v36, v[37:38], off
	v_lshlrev_b64 v[34:35], 2, v[0:1]
	v_add_co_u32 v25, vcc_lo, s2, v25
	v_add_co_ci_u32_e64 v26, null, s3, v26, vcc_lo
	v_add_nc_u32_e32 v0, s8, v0
	v_add_co_u32 v34, vcc_lo, s0, v34
	v_add_co_ci_u32_e64 v35, null, s1, v35, vcc_lo
	v_add_co_u32 v29, vcc_lo, s2, v29
	v_add_co_ci_u32_e64 v30, null, s3, v30, vcc_lo
	s_waitcnt vmcnt(1)
	v_mul_f32_e32 v39, v56, v40
	s_waitcnt vmcnt(0)
	v_mul_f32_e32 v36, v50, v36
	global_store_dword v[32:33], v39, off
	global_load_dword v39, v[25:26], off
	global_store_dword v[37:38], v36, off
	global_load_dword v36, v[34:35], off
	v_lshlrev_b64 v[32:33], 2, v[0:1]
	v_add_nc_u32_e32 v0, s8, v0
	v_add_co_u32 v32, vcc_lo, s0, v32
	v_add_co_ci_u32_e64 v33, null, s1, v33, vcc_lo
	v_add_co_u32 v8, vcc_lo, s6, v8
	v_add_co_ci_u32_e64 v9, null, s7, v9, vcc_lo
	;; [unrolled: 2-line block ×3, first 2 shown]
	s_waitcnt vmcnt(1)
	v_mul_f32_e32 v37, v50, v39
	s_waitcnt vmcnt(0)
	v_mul_f32_e32 v36, v50, v36
	global_store_dword v[25:26], v37, off
	global_load_dword v25, v[29:30], off
	global_store_dword v[34:35], v36, off
	global_load_dword v26, v[32:33], off
	s_clause 0x1
	global_load_dword v34, v[8:9], off
	global_load_dword v35, v[10:11], off
	v_lshlrev_b64 v[8:9], 2, v[0:1]
	v_add_co_u32 v10, vcc_lo, s2, v23
	v_add_co_ci_u32_e64 v11, null, s3, v24, vcc_lo
	v_add_nc_u32_e32 v0, s8, v0
	v_add_co_u32 v8, vcc_lo, s0, v8
	v_add_co_ci_u32_e64 v9, null, s1, v9, vcc_lo
	s_waitcnt vmcnt(3)
	v_mul_f32_e32 v23, v52, v25
	v_add_co_u32 v25, vcc_lo, s2, v27
	s_waitcnt vmcnt(2)
	v_mul_f32_e32 v24, v50, v26
	s_waitcnt vmcnt(1)
	v_fmac_f32_e32 v51, v52, v34
	global_store_dword v[29:30], v23, off
	global_load_dword v29, v[10:11], off
	v_add_co_ci_u32_e64 v26, null, s3, v28, vcc_lo
	global_store_dword v[32:33], v24, off
	global_load_dword v30, v[8:9], off
	v_lshlrev_b64 v[23:24], 2, v[0:1]
	s_waitcnt vmcnt(2)
	v_fmac_f32_e32 v51, v53, v35
	v_add_nc_u32_e32 v0, s8, v0
	v_add_co_u32 v23, vcc_lo, s0, v23
	v_add_co_ci_u32_e64 v24, null, s1, v24, vcc_lo
	v_fmac_f32_e32 v22, v51, v55
	s_waitcnt vmcnt(1)
	v_mul_f32_e32 v27, v51, v29
	s_waitcnt vmcnt(0)
	v_mul_f32_e32 v28, v50, v30
	global_store_dword v[10:11], v27, off
	global_load_dword v27, v[25:26], off
	v_add_co_u32 v10, vcc_lo, s2, v42
	global_store_dword v[8:9], v28, off
	global_load_dword v28, v[23:24], off
	v_lshlrev_b64 v[8:9], 2, v[0:1]
	v_add_co_ci_u32_e64 v11, null, s3, v43, vcc_lo
	v_add_nc_u32_e32 v0, s8, v0
	s_waitcnt vmcnt(1)
	v_mul_f32_e32 v29, v53, v27
	v_add_co_u32 v27, vcc_lo, s0, v8
	s_waitcnt vmcnt(0)
	v_mul_f32_e32 v30, v50, v28
	v_add_co_ci_u32_e64 v28, null, s1, v9, vcc_lo
	global_store_dword v[25:26], v29, off
	global_load_dword v29, v[10:11], off
	global_store_dword v[23:24], v30, off
	global_load_dword v30, v[27:28], off
	v_lshlrev_b64 v[23:24], 2, v[0:1]
	v_add_co_u32 v25, vcc_lo, s2, v48
	v_add_co_ci_u32_e64 v26, null, s3, v49, vcc_lo
	v_add_nc_u32_e32 v0, s8, v0
	s_waitcnt vmcnt(1)
	v_mul_f32_e32 v32, v53, v29
	v_add_co_u32 v29, vcc_lo, s0, v23
	s_waitcnt vmcnt(0)
	v_mul_f32_e32 v33, v50, v30
	v_add_co_ci_u32_e64 v30, null, s1, v24, vcc_lo
	global_store_dword v[10:11], v32, off
	global_load_dword v32, v[25:26], off
	global_store_dword v[27:28], v33, off
	global_load_dword v33, v[29:30], off
	v_lshlrev_b64 v[10:11], 2, v[0:1]
	v_add_co_u32 v27, vcc_lo, s2, v44
	;; [unrolled: 14-line block ×3, first 2 shown]
	v_add_co_ci_u32_e64 v30, null, s3, v47, vcc_lo
	v_add_nc_u32_e32 v0, s4, v0
	v_add_co_u32 v25, vcc_lo, s0, v25
	v_add_co_ci_u32_e64 v26, null, s1, v26, vcc_lo
	v_add_co_u32 v20, vcc_lo, s2, v20
	v_add_co_ci_u32_e64 v21, null, s3, v21, vcc_lo
	s_waitcnt vmcnt(1)
	v_mul_f32_e32 v34, v18, v34
	s_waitcnt vmcnt(0)
	v_mul_f32_e32 v35, v50, v35
	global_store_dword v[27:28], v34, off
	global_load_dword v34, v[29:30], off
	global_store_dword v[32:33], v35, off
	global_load_dword v32, v[25:26], off
	v_lshlrev_b64 v[27:28], 2, v[0:1]
	v_add_nc_u32_e32 v0, s8, v0
	v_add_co_u32 v27, vcc_lo, s0, v27
	v_add_co_ci_u32_e64 v28, null, s1, v28, vcc_lo
	v_add_co_u32 v12, vcc_lo, s2, v12
	v_add_co_ci_u32_e64 v13, null, s3, v13, vcc_lo
	s_waitcnt vmcnt(1)
	v_mul_f32_e32 v33, v54, v34
	s_waitcnt vmcnt(0)
	v_mul_f32_e32 v32, v50, v32
	global_store_dword v[29:30], v33, off
	global_load_dword v29, v[20:21], off
	global_store_dword v[25:26], v32, off
	global_load_dword v30, v[27:28], off
	v_lshlrev_b64 v[25:26], 2, v[0:1]
	;; [unrolled: 14-line block ×3, first 2 shown]
	v_add_nc_u32_e32 v0, s8, v0
	v_add_co_u32 v20, vcc_lo, s0, v20
	v_add_co_ci_u32_e64 v21, null, s1, v21, vcc_lo
	v_add_co_u32 v2, vcc_lo, s6, v2
	v_add_co_ci_u32_e64 v3, null, s7, v3, vcc_lo
	s_waitcnt vmcnt(1)
	v_mul_f32_e32 v28, v54, v29
	s_waitcnt vmcnt(0)
	v_mul_f32_e32 v27, v50, v27
	global_store_dword v[12:13], v28, off
	global_load_dword v28, v[16:17], off
	global_store_dword v[25:26], v27, off
	global_load_dword v25, v[20:21], off
	global_load_dword v26, v[2:3], off
	v_lshlrev_b64 v[2:3], 2, v[0:1]
	v_add_co_u32 v12, vcc_lo, s2, v14
	v_add_co_ci_u32_e64 v13, null, s3, v15, vcc_lo
	v_add_nc_u32_e32 v0, s8, v0
	v_add_co_u32 v2, vcc_lo, s0, v2
	v_add_co_ci_u32_e64 v3, null, s1, v3, vcc_lo
	v_add_co_u32 v4, vcc_lo, s2, v4
	v_add_co_ci_u32_e64 v5, null, s3, v5, vcc_lo
	s_waitcnt vmcnt(2)
	v_mul_f32_e32 v14, v54, v28
	s_waitcnt vmcnt(1)
	v_mul_f32_e32 v15, v50, v25
	s_waitcnt vmcnt(0)
	v_fmac_f32_e32 v19, v50, v26
	global_store_dword v[16:17], v14, off
	global_load_dword v16, v[12:13], off
	global_store_dword v[20:21], v15, off
	global_load_dword v17, v[2:3], off
	v_lshlrev_b64 v[14:15], 2, v[0:1]
	v_add_nc_u32_e32 v0, s8, v0
	v_add_co_u32 v14, vcc_lo, s0, v14
	v_add_co_ci_u32_e64 v15, null, s1, v15, vcc_lo
	v_add_co_u32 v6, vcc_lo, s2, v6
	v_add_co_ci_u32_e64 v7, null, s3, v7, vcc_lo
	s_waitcnt vmcnt(1)
	v_mul_f32_e32 v16, v19, v16
	s_waitcnt vmcnt(0)
	v_mul_f32_e32 v17, v19, v17
	global_store_dword v[12:13], v16, off
	global_load_dword v12, v[4:5], off
	global_store_dword v[2:3], v17, off
	global_load_dword v13, v[14:15], off
	v_lshlrev_b64 v[2:3], 2, v[0:1]
	v_add_nc_u32_e32 v0, s8, v0
	s_waitcnt vmcnt(1)
	v_mul_f32_e32 v16, v54, v12
	v_add_co_u32 v12, vcc_lo, s0, v2
	s_waitcnt vmcnt(0)
	v_mul_f32_e32 v17, v19, v13
	v_add_co_ci_u32_e64 v13, null, s1, v3, vcc_lo
	global_store_dword v[4:5], v16, off
	global_load_dword v16, v[6:7], off
	global_store_dword v[14:15], v17, off
	global_load_dword v14, v[12:13], off
	v_lshlrev_b64 v[4:5], 2, v[0:1]
	v_add_co_u32 v8, vcc_lo, s2, v8
	v_add_co_ci_u32_e64 v9, null, s3, v9, vcc_lo
	v_add_nc_u32_e32 v0, s8, v0
	v_add_co_u32 v4, vcc_lo, s0, v4
	v_add_co_ci_u32_e64 v5, null, s1, v5, vcc_lo
	s_waitcnt vmcnt(1)
	v_mul_f32_e32 v15, v18, v16
	s_waitcnt vmcnt(0)
	v_mul_f32_e32 v14, v19, v14
	global_store_dword v[6:7], v15, off
	global_load_dword v15, v[8:9], off
	global_store_dword v[12:13], v14, off
	global_load_dword v14, v[4:5], off
	v_lshlrev_b64 v[6:7], 2, v[0:1]
	v_add_co_u32 v12, vcc_lo, s2, v23
	v_add_co_ci_u32_e64 v13, null, s3, v24, vcc_lo
	v_add_nc_u32_e32 v0, s8, v0
	v_add_co_u32 v6, vcc_lo, s0, v6
	v_add_co_ci_u32_e64 v7, null, s1, v7, vcc_lo
	s_waitcnt vmcnt(1)
	v_mul_f32_e32 v15, v19, v15
	s_waitcnt vmcnt(0)
	v_mul_f32_e32 v14, v19, v14
	global_store_dword v[8:9], v15, off
	global_load_dword v15, v[12:13], off
	global_store_dword v[4:5], v14, off
	global_load_dword v14, v[6:7], off
	v_lshlrev_b64 v[4:5], 2, v[0:1]
	v_add_co_u32 v8, vcc_lo, s2, v10
	v_add_co_ci_u32_e64 v9, null, s3, v11, vcc_lo
	v_add_nc_u32_e32 v0, s8, v0
	v_add_co_u32 v4, vcc_lo, s0, v4
	v_add_co_ci_u32_e64 v5, null, s1, v5, vcc_lo
	v_add_co_u32 v2, vcc_lo, s2, v2
	v_add_co_ci_u32_e64 v3, null, s3, v3, vcc_lo
	s_waitcnt vmcnt(1)
	v_mul_f32_e32 v10, v52, v15
	s_waitcnt vmcnt(0)
	v_mul_f32_e32 v11, v19, v14
	global_store_dword v[12:13], v10, off
	global_load_dword v10, v[8:9], off
	global_store_dword v[6:7], v11, off
	global_load_dword v11, v[4:5], off
	v_lshlrev_b64 v[6:7], 2, v[0:1]
	v_add_nc_u32_e32 v0, s8, v0
	v_add_co_u32 v6, vcc_lo, s0, v6
	v_add_co_ci_u32_e64 v7, null, s1, v7, vcc_lo
	s_waitcnt vmcnt(1)
	v_mul_f32_e32 v10, v19, v10
	s_waitcnt vmcnt(0)
	v_mul_f32_e32 v11, v19, v11
	global_store_dword v[8:9], v10, off
	global_load_dword v10, v[2:3], off
	global_store_dword v[4:5], v11, off
	global_load_dword v11, v[6:7], off
	v_lshlrev_b64 v[4:5], 2, v[0:1]
	v_add_nc_u32_e32 v0, s8, v0
	v_lshlrev_b64 v[8:9], 2, v[0:1]
	v_add_nc_u32_e32 v0, s8, v0
	v_add_co_u32 v8, vcc_lo, s2, v8
	v_add_co_ci_u32_e64 v9, null, s3, v9, vcc_lo
	v_add_co_u32 v4, vcc_lo, s0, v4
	v_add_co_ci_u32_e64 v5, null, s1, v5, vcc_lo
	s_waitcnt vmcnt(1)
	v_mul_f32_e32 v10, v52, v10
	s_waitcnt vmcnt(0)
	v_mul_f32_e32 v11, v19, v11
	global_store_dword v[2:3], v10, off
	global_load_dword v25, v[8:9], off
	global_store_dword v[6:7], v11, off
	global_load_dword v26, v[4:5], off
	v_lshlrev_b64 v[2:3], 2, v[0:1]
	v_add_nc_u32_e32 v0, s8, v0
	v_lshlrev_b64 v[6:7], 2, v[0:1]
	v_add_nc_u32_e32 v0, s8, v0
	v_add_co_u32 v2, vcc_lo, s2, v2
	v_add_co_ci_u32_e64 v3, null, s3, v3, vcc_lo
	v_lshlrev_b64 v[10:11], 2, v[0:1]
	v_add_nc_u32_e32 v0, s8, v0
	v_lshlrev_b64 v[12:13], 2, v[0:1]
	v_add_nc_u32_e32 v0, s8, v0
	;; [unrolled: 2-line block ×6, first 2 shown]
	s_waitcnt vmcnt(1)
	v_mul_f32_e32 v27, v18, v25
	v_add_co_u32 v25, vcc_lo, s0, v23
	s_waitcnt vmcnt(0)
	v_mul_f32_e32 v19, v19, v26
	v_add_co_ci_u32_e64 v26, null, s1, v24, vcc_lo
	global_store_dword v[8:9], v27, off
	global_load_dword v8, v[2:3], off
	global_store_dword v[4:5], v19, off
	global_load_dword v9, v[25:26], off
	v_lshlrev_b64 v[4:5], 2, v[0:1]
	v_add_co_u32 v6, vcc_lo, s2, v6
	v_add_co_ci_u32_e64 v7, null, s3, v7, vcc_lo
	v_add_nc_u32_e32 v0, s8, v0
	v_add_co_u32 v4, vcc_lo, s0, v4
	v_add_co_ci_u32_e64 v5, null, s1, v5, vcc_lo
	s_waitcnt vmcnt(1)
	v_mul_f32_e32 v8, v51, v8
	s_waitcnt vmcnt(0)
	v_mul_f32_e32 v9, v52, v9
	global_store_dword v[2:3], v8, off
	global_load_dword v19, v[6:7], off
	global_store_dword v[25:26], v9, off
	global_load_dword v25, v[4:5], off
	v_lshlrev_b64 v[2:3], 2, v[0:1]
	v_add_co_u32 v8, vcc_lo, s2, v10
	v_add_co_ci_u32_e64 v9, null, s3, v11, vcc_lo
	v_add_nc_u32_e32 v0, s8, v0
	v_add_co_u32 v10, vcc_lo, s0, v2
	v_add_co_ci_u32_e64 v11, null, s1, v3, vcc_lo
	s_waitcnt vmcnt(1)
	v_mul_f32_e32 v19, v50, v19
	s_waitcnt vmcnt(0)
	v_mul_f32_e32 v25, v54, v25
	global_store_dword v[6:7], v19, off
	global_load_dword v19, v[8:9], off
	global_store_dword v[4:5], v25, off
	global_load_dword v25, v[10:11], off
	v_lshlrev_b64 v[4:5], 2, v[0:1]
	v_add_co_u32 v6, vcc_lo, s2, v12
	v_add_co_ci_u32_e64 v7, null, s3, v13, vcc_lo
	v_add_nc_u32_e32 v0, s8, v0
	v_add_co_u32 v4, vcc_lo, s0, v4
	v_add_co_ci_u32_e64 v5, null, s1, v5, vcc_lo
	v_add_co_u32 v14, vcc_lo, s2, v14
	v_add_co_ci_u32_e64 v15, null, s3, v15, vcc_lo
	s_waitcnt vmcnt(1)
	v_mul_f32_e32 v12, v50, v19
	s_waitcnt vmcnt(0)
	v_mul_f32_e32 v13, v53, v25
	global_store_dword v[8:9], v12, off
	global_load_dword v19, v[6:7], off
	global_store_dword v[10:11], v13, off
	global_load_dword v25, v[4:5], off
	v_lshlrev_b64 v[8:9], 2, v[0:1]
	v_add_nc_u32_e32 v0, s8, v0
	v_lshlrev_b64 v[10:11], 2, v[0:1]
	v_add_nc_u32_e32 v0, s8, v0
	;; [unrolled: 2-line block ×3, first 2 shown]
	v_add_co_u32 v12, vcc_lo, s0, v12
	v_add_co_ci_u32_e64 v13, null, s1, v13, vcc_lo
	s_waitcnt vmcnt(1)
	v_mul_f32_e32 v19, v52, v19
	s_waitcnt vmcnt(0)
	v_mul_f32_e32 v25, v53, v25
	global_store_dword v[6:7], v19, off
	global_load_dword v19, v[14:15], off
	global_store_dword v[4:5], v25, off
	global_load_dword v25, v[12:13], off
	v_lshlrev_b64 v[4:5], 2, v[0:1]
	v_add_co_u32 v6, vcc_lo, s2, v16
	v_add_co_ci_u32_e64 v7, null, s3, v17, vcc_lo
	v_add_nc_u32_e32 v0, s8, v0
	v_add_co_u32 v4, vcc_lo, s0, v4
	v_add_co_ci_u32_e64 v5, null, s1, v5, vcc_lo
	s_waitcnt vmcnt(1)
	v_mul_f32_e32 v16, v54, v19
	s_waitcnt vmcnt(0)
	v_mul_f32_e32 v17, v51, v25
	global_store_dword v[14:15], v16, off
	global_load_dword v16, v[6:7], off
	global_store_dword v[12:13], v17, off
	global_load_dword v17, v[4:5], off
	v_lshlrev_b64 v[12:13], 2, v[0:1]
	v_add_co_u32 v14, vcc_lo, s2, v20
	v_add_co_ci_u32_e64 v15, null, s3, v21, vcc_lo
	v_add_nc_u32_e32 v0, s8, v0
	;; [unrolled: 14-line block ×3, first 2 shown]
	v_add_co_u32 v4, vcc_lo, s0, v4
	v_add_co_ci_u32_e64 v5, null, s1, v5, vcc_lo
	v_add_co_u32 v2, vcc_lo, s2, v2
	v_add_co_ci_u32_e64 v3, null, s3, v3, vcc_lo
	s_waitcnt vmcnt(1)
	v_mul_f32_e32 v16, v50, v16
	s_waitcnt vmcnt(0)
	v_mul_f32_e32 v17, v51, v17
	global_store_dword v[14:15], v16, off
	global_load_dword v14, v[6:7], off
	global_store_dword v[12:13], v17, off
	global_load_dword v15, v[4:5], off
	v_lshlrev_b64 v[12:13], 2, v[0:1]
	v_add_nc_u32_e32 v0, s8, v0
	v_add_co_u32 v12, vcc_lo, s0, v12
	v_add_co_ci_u32_e64 v13, null, s1, v13, vcc_lo
	s_waitcnt vmcnt(1)
	v_mul_f32_e32 v14, v51, v14
	s_waitcnt vmcnt(0)
	v_mul_f32_e32 v15, v51, v15
	global_store_dword v[6:7], v14, off
	global_load_dword v14, v[2:3], off
	global_store_dword v[4:5], v15, off
	global_load_dword v15, v[12:13], off
	v_lshlrev_b64 v[4:5], 2, v[0:1]
	v_add_co_u32 v6, vcc_lo, s2, v8
	v_add_co_ci_u32_e64 v7, null, s3, v9, vcc_lo
	v_add_nc_u32_e32 v0, s8, v0
	v_add_co_u32 v4, vcc_lo, s0, v4
	v_add_co_ci_u32_e64 v5, null, s1, v5, vcc_lo
	s_waitcnt vmcnt(1)
	v_mul_f32_e32 v8, v18, v14
	s_waitcnt vmcnt(0)
	v_mul_f32_e32 v9, v51, v15
	global_store_dword v[2:3], v8, off
	global_load_dword v14, v[6:7], off
	global_store_dword v[12:13], v9, off
	global_load_dword v12, v[4:5], off
	v_lshlrev_b64 v[2:3], 2, v[0:1]
	v_add_co_u32 v8, vcc_lo, s2, v10
	v_add_co_ci_u32_e64 v9, null, s3, v11, vcc_lo
	v_add_nc_u32_e32 v0, s8, v0
	v_add_co_u32 v2, vcc_lo, s0, v2
	v_add_co_ci_u32_e64 v3, null, s1, v3, vcc_lo
	s_waitcnt vmcnt(1)
	v_mul_f32_e32 v10, v50, v14
	s_waitcnt vmcnt(0)
	v_mul_f32_e32 v11, v51, v12
	global_store_dword v[6:7], v10, off
	global_load_dword v12, v[8:9], off
	global_store_dword v[4:5], v11, off
	global_load_dword v13, v[2:3], off
	v_lshlrev_b64 v[4:5], 2, v[0:1]
	v_add_nc_u32_e32 v0, s8, v0
	v_lshlrev_b64 v[6:7], 2, v[0:1]
	v_add_nc_u32_e32 v0, s4, v0
	;; [unrolled: 2-line block ×3, first 2 shown]
	v_add_co_u32 v10, vcc_lo, s2, v10
	v_add_co_ci_u32_e64 v11, null, s3, v11, vcc_lo
	v_add_co_u32 v4, vcc_lo, s0, v4
	v_add_co_ci_u32_e64 v5, null, s1, v5, vcc_lo
	s_waitcnt vmcnt(1)
	v_mul_f32_e32 v12, v22, v12
	s_waitcnt vmcnt(0)
	v_mul_f32_e32 v13, v51, v13
	global_store_dword v[8:9], v12, off
	global_load_dword v8, v[10:11], off
	global_store_dword v[2:3], v13, off
	global_load_dword v9, v[4:5], off
	v_lshlrev_b64 v[2:3], 2, v[0:1]
	v_add_nc_u32_e32 v0, s8, v0
	v_add_co_u32 v2, vcc_lo, s2, v2
	v_add_co_ci_u32_e64 v3, null, s3, v3, vcc_lo
	v_add_co_u32 v6, vcc_lo, s0, v6
	v_add_co_ci_u32_e64 v7, null, s1, v7, vcc_lo
	s_waitcnt vmcnt(1)
	v_mul_f32_e32 v8, v51, v8
	s_waitcnt vmcnt(0)
	v_mul_f32_e32 v9, v51, v9
	global_store_dword v[10:11], v8, off
	global_load_dword v10, v[2:3], off
	global_store_dword v[4:5], v9, off
	global_load_dword v11, v[6:7], off
	v_lshlrev_b64 v[4:5], 2, v[0:1]
	v_add_nc_u32_e32 v0, s8, v0
	v_lshlrev_b64 v[8:9], 2, v[0:1]
	v_add_co_u32 v4, vcc_lo, s2, v4
	v_add_co_ci_u32_e64 v5, null, s3, v5, vcc_lo
	v_add_nc_u32_e32 v0, s8, v0
	s_waitcnt vmcnt(1)
	v_mul_f32_e32 v12, v51, v10
	v_add_co_u32 v10, vcc_lo, s0, v8
	s_waitcnt vmcnt(0)
	v_mul_f32_e32 v13, v51, v11
	v_add_co_ci_u32_e64 v11, null, s1, v9, vcc_lo
	global_store_dword v[2:3], v12, off
	global_load_dword v16, v[4:5], off
	global_store_dword v[6:7], v13, off
	global_load_dword v17, v[10:11], off
	v_lshlrev_b64 v[2:3], 2, v[0:1]
	v_add_nc_u32_e32 v0, s4, v0
	v_add_co_u32 v8, vcc_lo, s2, v8
	v_add_co_ci_u32_e64 v9, null, s3, v9, vcc_lo
	v_lshlrev_b64 v[6:7], 2, v[0:1]
	v_add_nc_u32_e32 v0, s4, v0
	v_lshlrev_b64 v[12:13], 2, v[0:1]
	v_add_nc_u32_e32 v0, s8, v0
	;; [unrolled: 2-line block ×3, first 2 shown]
	v_add_co_u32 v14, vcc_lo, s0, v14
	v_add_co_ci_u32_e64 v15, null, s1, v15, vcc_lo
	v_add_co_u32 v2, vcc_lo, s2, v2
	v_add_co_ci_u32_e64 v3, null, s3, v3, vcc_lo
	s_waitcnt vmcnt(1)
	v_mul_f32_e32 v16, v51, v16
	s_waitcnt vmcnt(0)
	v_mul_f32_e32 v17, v53, v17
	global_store_dword v[4:5], v16, off
	global_load_dword v16, v[8:9], off
	global_store_dword v[10:11], v17, off
	global_load_dword v17, v[14:15], off
	v_mad_u64_u32 v[4:5], null, s8, 9, v[0:1]
	v_mov_b32_e32 v5, v1
	v_lshlrev_b64 v[10:11], 2, v[4:5]
	s_waitcnt vmcnt(1)
	v_mul_f32_e32 v5, v51, v16
	v_add_co_u32 v16, vcc_lo, s0, v10
	s_waitcnt vmcnt(0)
	v_mul_f32_e32 v19, v52, v17
	v_add_co_ci_u32_e64 v17, null, s1, v11, vcc_lo
	global_store_dword v[8:9], v5, off
	global_load_dword v20, v[2:3], off
	global_store_dword v[14:15], v19, off
	global_load_dword v14, v[16:17], off
	v_lshlrev_b64 v[8:9], 2, v[0:1]
	v_add_nc_u32_e32 v0, s8, v4
	v_add_co_u32 v6, vcc_lo, s2, v6
	v_add_co_ci_u32_e64 v7, null, s3, v7, vcc_lo
	v_lshlrev_b64 v[4:5], 2, v[0:1]
	v_add_nc_u32_e32 v0, s8, v0
	v_add_co_u32 v4, vcc_lo, s0, v4
	v_add_co_ci_u32_e64 v5, null, s1, v5, vcc_lo
	v_add_co_u32 v12, vcc_lo, s2, v12
	v_add_co_ci_u32_e64 v13, null, s3, v13, vcc_lo
	s_waitcnt vmcnt(1)
	v_mul_f32_e32 v15, v51, v20
	s_waitcnt vmcnt(0)
	v_mul_f32_e32 v14, v22, v14
	global_store_dword v[2:3], v15, off
	global_load_dword v15, v[6:7], off
	global_store_dword v[16:17], v14, off
	global_load_dword v14, v[4:5], off
	v_lshlrev_b64 v[2:3], 2, v[0:1]
	v_add_nc_u32_e32 v0, s8, v0
	s_waitcnt vmcnt(1)
	v_mul_f32_e32 v16, v18, v15
	s_waitcnt vmcnt(0)
	v_mul_f32_e32 v17, v22, v14
	v_add_co_u32 v14, vcc_lo, s0, v2
	v_add_co_ci_u32_e64 v15, null, s1, v3, vcc_lo
	global_store_dword v[6:7], v16, off
	global_load_dword v16, v[12:13], off
	global_store_dword v[4:5], v17, off
	global_load_dword v17, v[14:15], off
	v_lshlrev_b64 v[4:5], 2, v[0:1]
	v_add_co_u32 v6, vcc_lo, s2, v8
	v_add_co_ci_u32_e64 v7, null, s3, v9, vcc_lo
	v_add_nc_u32_e32 v0, s8, v0
	v_add_co_u32 v4, vcc_lo, s0, v4
	v_add_co_ci_u32_e64 v5, null, s1, v5, vcc_lo
	v_add_co_u32 v10, vcc_lo, s2, v10
	v_add_co_ci_u32_e64 v11, null, s3, v11, vcc_lo
	s_waitcnt vmcnt(1)
	v_mul_f32_e32 v8, v50, v16
	s_waitcnt vmcnt(0)
	v_mul_f32_e32 v9, v22, v17
	global_store_dword v[12:13], v8, off
	global_load_dword v12, v[6:7], off
	global_store_dword v[14:15], v9, off
	global_load_dword v13, v[4:5], off
	v_lshlrev_b64 v[8:9], 2, v[0:1]
	v_add_nc_u32_e32 v0, s8, v0
	v_add_co_u32 v8, vcc_lo, s0, v8
	v_add_co_ci_u32_e64 v9, null, s1, v9, vcc_lo
	v_add_co_u32 v2, vcc_lo, s2, v2
	v_add_co_ci_u32_e64 v3, null, s3, v3, vcc_lo
	s_waitcnt vmcnt(1)
	v_mul_f32_e32 v12, v22, v12
	s_waitcnt vmcnt(0)
	v_mul_f32_e32 v13, v22, v13
	global_store_dword v[6:7], v12, off
	global_load_dword v6, v[10:11], off
	global_store_dword v[4:5], v13, off
	global_load_dword v7, v[8:9], off
	v_lshlrev_b64 v[4:5], 2, v[0:1]
	v_add_nc_u32_e32 v0, s8, v0
	v_lshlrev_b64 v[0:1], 2, v[0:1]
	s_waitcnt vmcnt(1)
	v_mul_f32_e32 v12, v51, v6
	v_add_co_u32 v6, vcc_lo, s0, v4
	s_waitcnt vmcnt(0)
	v_mul_f32_e32 v13, v22, v7
	v_add_co_ci_u32_e64 v7, null, s1, v5, vcc_lo
	global_store_dword v[10:11], v12, off
	global_load_dword v10, v[2:3], off
	global_store_dword v[8:9], v13, off
	global_load_dword v8, v[6:7], off
	v_add_co_u32 v4, vcc_lo, s2, v4
	v_add_co_ci_u32_e64 v5, null, s3, v5, vcc_lo
	v_add_co_u32 v0, vcc_lo, s0, v0
	v_add_co_ci_u32_e64 v1, null, s1, v1, vcc_lo
	s_waitcnt vmcnt(1)
	v_mul_f32_e32 v9, v51, v10
	s_waitcnt vmcnt(0)
	v_mul_f32_e32 v8, v22, v8
	global_store_dword v[2:3], v9, off
	global_store_dword v[6:7], v8, off
	global_load_dword v2, v[4:5], off
	global_load_dword v3, v[0:1], off
	s_waitcnt vmcnt(1)
	v_mul_f32_e32 v2, v51, v2
	s_waitcnt vmcnt(0)
	v_mul_f32_e32 v3, v22, v3
	global_store_dword v[4:5], v2, off
	global_store_dword v[0:1], v3, off
	s_endpgm
	.section	.rodata,"a",@progbits
	.p2align	6, 0x0
	.amdhsa_kernel _Z12qssa2_kernelIfEvPT_S1_PKS0_
		.amdhsa_group_segment_fixed_size 0
		.amdhsa_private_segment_fixed_size 0
		.amdhsa_kernarg_size 280
		.amdhsa_user_sgpr_count 6
		.amdhsa_user_sgpr_private_segment_buffer 1
		.amdhsa_user_sgpr_dispatch_ptr 0
		.amdhsa_user_sgpr_queue_ptr 0
		.amdhsa_user_sgpr_kernarg_segment_ptr 1
		.amdhsa_user_sgpr_dispatch_id 0
		.amdhsa_user_sgpr_flat_scratch_init 0
		.amdhsa_user_sgpr_private_segment_size 0
		.amdhsa_wavefront_size32 1
		.amdhsa_uses_dynamic_stack 0
		.amdhsa_system_sgpr_private_segment_wavefront_offset 0
		.amdhsa_system_sgpr_workgroup_id_x 1
		.amdhsa_system_sgpr_workgroup_id_y 0
		.amdhsa_system_sgpr_workgroup_id_z 0
		.amdhsa_system_sgpr_workgroup_info 0
		.amdhsa_system_vgpr_workitem_id 0
		.amdhsa_next_free_vgpr 63
		.amdhsa_next_free_sgpr 11
		.amdhsa_reserve_vcc 1
		.amdhsa_reserve_flat_scratch 0
		.amdhsa_float_round_mode_32 0
		.amdhsa_float_round_mode_16_64 0
		.amdhsa_float_denorm_mode_32 3
		.amdhsa_float_denorm_mode_16_64 3
		.amdhsa_dx10_clamp 1
		.amdhsa_ieee_mode 1
		.amdhsa_fp16_overflow 0
		.amdhsa_workgroup_processor_mode 1
		.amdhsa_memory_ordered 1
		.amdhsa_forward_progress 1
		.amdhsa_shared_vgpr_count 0
		.amdhsa_exception_fp_ieee_invalid_op 0
		.amdhsa_exception_fp_denorm_src 0
		.amdhsa_exception_fp_ieee_div_zero 0
		.amdhsa_exception_fp_ieee_overflow 0
		.amdhsa_exception_fp_ieee_underflow 0
		.amdhsa_exception_fp_ieee_inexact 0
		.amdhsa_exception_int_div_zero 0
	.end_amdhsa_kernel
	.section	.text._Z12qssa2_kernelIfEvPT_S1_PKS0_,"axG",@progbits,_Z12qssa2_kernelIfEvPT_S1_PKS0_,comdat
.Lfunc_end18:
	.size	_Z12qssa2_kernelIfEvPT_S1_PKS0_, .Lfunc_end18-_Z12qssa2_kernelIfEvPT_S1_PKS0_
                                        ; -- End function
	.set _Z12qssa2_kernelIfEvPT_S1_PKS0_.num_vgpr, 63
	.set _Z12qssa2_kernelIfEvPT_S1_PKS0_.num_agpr, 0
	.set _Z12qssa2_kernelIfEvPT_S1_PKS0_.numbered_sgpr, 11
	.set _Z12qssa2_kernelIfEvPT_S1_PKS0_.num_named_barrier, 0
	.set _Z12qssa2_kernelIfEvPT_S1_PKS0_.private_seg_size, 0
	.set _Z12qssa2_kernelIfEvPT_S1_PKS0_.uses_vcc, 1
	.set _Z12qssa2_kernelIfEvPT_S1_PKS0_.uses_flat_scratch, 0
	.set _Z12qssa2_kernelIfEvPT_S1_PKS0_.has_dyn_sized_stack, 0
	.set _Z12qssa2_kernelIfEvPT_S1_PKS0_.has_recursion, 0
	.set _Z12qssa2_kernelIfEvPT_S1_PKS0_.has_indirect_call, 0
	.section	.AMDGPU.csdata,"",@progbits
; Kernel info:
; codeLenInByte = 9520
; TotalNumSgprs: 13
; NumVgprs: 63
; ScratchSize: 0
; MemoryBound: 0
; FloatMode: 240
; IeeeMode: 1
; LDSByteSize: 0 bytes/workgroup (compile time only)
; SGPRBlocks: 0
; VGPRBlocks: 7
; NumSGPRsForWavesPerEU: 13
; NumVGPRsForWavesPerEU: 63
; Occupancy: 16
; WaveLimiterHint : 0
; COMPUTE_PGM_RSRC2:SCRATCH_EN: 0
; COMPUTE_PGM_RSRC2:USER_SGPR: 6
; COMPUTE_PGM_RSRC2:TRAP_HANDLER: 0
; COMPUTE_PGM_RSRC2:TGID_X_EN: 1
; COMPUTE_PGM_RSRC2:TGID_Y_EN: 0
; COMPUTE_PGM_RSRC2:TGID_Z_EN: 0
; COMPUTE_PGM_RSRC2:TIDIG_COMP_CNT: 0
	.section	.text._Z13rdwdot_kernelIfEvPKT_S2_PS0_S0_S2_,"axG",@progbits,_Z13rdwdot_kernelIfEvPKT_S2_PS0_S0_S2_,comdat
	.protected	_Z13rdwdot_kernelIfEvPKT_S2_PS0_S0_S2_ ; -- Begin function _Z13rdwdot_kernelIfEvPKT_S2_PS0_S0_S2_
	.globl	_Z13rdwdot_kernelIfEvPKT_S2_PS0_S0_S2_
	.p2align	8
	.type	_Z13rdwdot_kernelIfEvPKT_S2_PS0_S0_S2_,@function
_Z13rdwdot_kernelIfEvPKT_S2_PS0_S0_S2_: ; @_Z13rdwdot_kernelIfEvPKT_S2_PS0_S0_S2_
; %bb.0:
	s_clause 0x5
	s_load_dwordx4 s[0:3], s[4:5], 0x0
	s_load_dwordx2 s[8:9], s[4:5], 0x10
	s_load_dword s7, s[4:5], 0x18
	s_load_dwordx2 s[10:11], s[4:5], 0x20
	s_load_dword s12, s[4:5], 0x28
	s_load_dword s4, s[4:5], 0x34
	v_mov_b32_e32 v3, 0
	s_waitcnt lgkmcnt(0)
	s_and_b32 s13, s4, 0xffff
	v_mad_u64_u32 v[0:1], null, s6, s13, v[0:1]
	s_mul_i32 s4, s12, s13
	s_lshl_b32 s5, s4, 2
	s_mul_i32 s6, s4, 6
	s_mul_i32 s12, s4, 7
	;; [unrolled: 1-line block ×3, first 2 shown]
	v_add_nc_u32_e32 v2, s5, v0
	s_lshl_b32 s14, s4, 1
	s_mul_i32 s15, s4, 3
	s_lshl_b32 s16, s4, 3
	v_lshlrev_b64 v[4:5], 2, v[2:3]
	v_add_nc_u32_e32 v2, s4, v2
	v_add_co_u32 v6, vcc_lo, s0, v4
	v_add_co_ci_u32_e64 v7, null, s1, v5, vcc_lo
	v_add_co_u32 v4, vcc_lo, s2, v4
	v_add_co_ci_u32_e64 v5, null, s3, v5, vcc_lo
	global_load_dword v1, v[6:7], off
	global_load_dword v4, v[4:5], off
	s_waitcnt vmcnt(0)
	v_sub_f32_e32 v1, v1, v4
	v_lshlrev_b64 v[4:5], 2, v[2:3]
	v_add_nc_u32_e32 v2, s4, v2
	v_add_co_u32 v6, vcc_lo, s0, v4
	v_add_co_ci_u32_e64 v7, null, s1, v5, vcc_lo
	v_add_co_u32 v4, vcc_lo, s2, v4
	v_add_co_ci_u32_e64 v5, null, s3, v5, vcc_lo
	global_load_dword v6, v[6:7], off
	global_load_dword v4, v[4:5], off
	s_waitcnt vmcnt(0)
	v_sub_f32_e32 v4, v6, v4
	v_add_f32_e32 v1, v1, v4
	v_lshlrev_b64 v[4:5], 2, v[2:3]
	v_add_nc_u32_e32 v2, s4, v2
	v_add_co_u32 v6, vcc_lo, s0, v4
	v_add_co_ci_u32_e64 v7, null, s1, v5, vcc_lo
	v_add_co_u32 v4, vcc_lo, s2, v4
	v_add_co_ci_u32_e64 v5, null, s3, v5, vcc_lo
	global_load_dword v6, v[6:7], off
	global_load_dword v4, v[4:5], off
	s_waitcnt vmcnt(0)
	v_sub_f32_e32 v4, v6, v4
	v_add_f32_e32 v1, v1, v4
	;; [unrolled: 11-line block ×3, first 2 shown]
	v_lshlrev_b64 v[4:5], 2, v[2:3]
	v_add_nc_u32_e32 v2, s4, v2
	v_add_co_u32 v6, vcc_lo, s0, v4
	v_add_co_ci_u32_e64 v7, null, s1, v5, vcc_lo
	v_add_co_u32 v4, vcc_lo, s2, v4
	v_add_co_ci_u32_e64 v5, null, s3, v5, vcc_lo
	global_load_dword v1, v[6:7], off
	global_load_dword v4, v[4:5], off
	s_waitcnt vmcnt(0)
	v_sub_f32_e32 v1, v1, v4
	v_lshlrev_b64 v[4:5], 2, v[2:3]
	v_add_nc_u32_e32 v2, s4, v2
	v_add_co_u32 v6, vcc_lo, s0, v4
	v_add_co_ci_u32_e64 v7, null, s1, v5, vcc_lo
	v_add_co_u32 v4, vcc_lo, s2, v4
	v_add_co_ci_u32_e64 v5, null, s3, v5, vcc_lo
	global_load_dword v6, v[6:7], off
	global_load_dword v4, v[4:5], off
	s_waitcnt vmcnt(0)
	v_sub_f32_e32 v4, v6, v4
	v_add_f32_e32 v1, v1, v4
	v_lshlrev_b64 v[4:5], 2, v[2:3]
	v_add_nc_u32_e32 v2, s4, v2
	v_add_co_u32 v6, vcc_lo, s0, v4
	v_add_co_ci_u32_e64 v7, null, s1, v5, vcc_lo
	v_add_co_u32 v4, vcc_lo, s2, v4
	v_add_co_ci_u32_e64 v5, null, s3, v5, vcc_lo
	global_load_dword v6, v[6:7], off
	global_load_dword v4, v[4:5], off
	s_waitcnt vmcnt(0)
	v_sub_f32_e32 v4, v6, v4
	v_add_f32_e32 v6, v1, v4
	v_lshlrev_b64 v[1:2], 2, v[2:3]
	v_add_co_u32 v4, vcc_lo, s0, v1
	v_add_co_ci_u32_e64 v5, null, s1, v2, vcc_lo
	v_add_co_u32 v1, vcc_lo, s2, v1
	v_add_co_ci_u32_e64 v2, null, s3, v2, vcc_lo
	global_load_dword v4, v[4:5], off
	global_load_dword v1, v[1:2], off
	s_waitcnt vmcnt(0)
	v_sub_f32_e32 v1, v4, v1
	v_add_f32_e32 v9, v6, v1
	v_mov_b32_e32 v1, v3
	v_lshlrev_b64 v[1:2], 2, v[0:1]
	v_add_co_u32 v4, vcc_lo, s0, v1
	v_add_co_ci_u32_e64 v5, null, s1, v2, vcc_lo
	v_add_co_u32 v1, vcc_lo, s2, v1
	v_add_co_ci_u32_e64 v2, null, s3, v2, vcc_lo
	global_load_dword v4, v[4:5], off
	global_load_dword v1, v[1:2], off
	v_add_nc_u32_e32 v2, s4, v0
	s_waitcnt vmcnt(0)
	v_sub_f32_e32 v6, v4, v1
	v_lshlrev_b64 v[0:1], 2, v[2:3]
	v_add_nc_u32_e32 v2, s4, v2
	v_add_co_u32 v4, vcc_lo, s0, v0
	v_add_co_ci_u32_e64 v5, null, s1, v1, vcc_lo
	global_load_dword v7, v[4:5], off
	v_add_co_u32 v4, vcc_lo, s2, v0
	v_add_co_ci_u32_e64 v5, null, s3, v1, vcc_lo
	global_load_dword v4, v[4:5], off
	s_waitcnt vmcnt(0)
	v_sub_f32_e32 v4, v7, v4
	v_sub_f32_e32 v10, v4, v6
	v_lshlrev_b64 v[4:5], 2, v[2:3]
	v_add_nc_u32_e32 v2, s6, v2
	v_add_co_u32 v6, vcc_lo, s0, v4
	v_add_co_ci_u32_e64 v7, null, s1, v5, vcc_lo
	v_add_co_u32 v4, vcc_lo, s2, v4
	v_add_co_ci_u32_e64 v5, null, s3, v5, vcc_lo
	global_load_dword v6, v[6:7], off
	global_load_dword v4, v[4:5], off
	s_waitcnt vmcnt(0)
	v_sub_f32_e32 v4, v6, v4
	v_add_f32_e32 v4, v10, v4
	v_sub_f32_e32 v4, v4, v8
	v_sub_f32_e32 v8, v4, v8
	v_lshlrev_b64 v[4:5], 2, v[2:3]
	v_add_nc_u32_e32 v2, s4, v2
	v_add_co_u32 v6, vcc_lo, s0, v4
	v_add_co_ci_u32_e64 v7, null, s1, v5, vcc_lo
	v_add_co_u32 v4, vcc_lo, s2, v4
	v_add_co_ci_u32_e64 v5, null, s3, v5, vcc_lo
	global_load_dword v6, v[6:7], off
	global_load_dword v4, v[4:5], off
	s_waitcnt vmcnt(0)
	v_sub_f32_e32 v4, v6, v4
	v_sub_f32_e32 v8, v8, v4
	v_lshlrev_b64 v[4:5], 2, v[2:3]
	v_add_nc_u32_e32 v2, s12, v2
	v_add_co_u32 v6, vcc_lo, s0, v4
	v_add_co_ci_u32_e64 v7, null, s1, v5, vcc_lo
	v_add_co_u32 v4, vcc_lo, s2, v4
	v_add_co_ci_u32_e64 v5, null, s3, v5, vcc_lo
	global_load_dword v6, v[6:7], off
	global_load_dword v4, v[4:5], off
	s_waitcnt vmcnt(0)
	v_sub_f32_e32 v4, v6, v4
	v_sub_f32_e32 v4, v8, v4
	;; [unrolled: 1-line block ×3, first 2 shown]
	v_lshlrev_b64 v[4:5], 2, v[2:3]
	v_add_nc_u32_e32 v2, s4, v2
	v_add_co_u32 v6, vcc_lo, s0, v4
	v_add_co_ci_u32_e64 v7, null, s1, v5, vcc_lo
	v_add_co_u32 v4, vcc_lo, s2, v4
	v_add_co_ci_u32_e64 v5, null, s3, v5, vcc_lo
	global_load_dword v6, v[6:7], off
	global_load_dword v4, v[4:5], off
	s_waitcnt vmcnt(0)
	v_sub_f32_e32 v4, v6, v4
	v_sub_f32_e32 v8, v8, v4
	v_lshlrev_b64 v[4:5], 2, v[2:3]
	v_add_nc_u32_e32 v2, s4, v2
	v_add_co_u32 v6, vcc_lo, s0, v4
	v_add_co_ci_u32_e64 v7, null, s1, v5, vcc_lo
	v_add_co_u32 v4, vcc_lo, s2, v4
	v_add_co_ci_u32_e64 v5, null, s3, v5, vcc_lo
	global_load_dword v6, v[6:7], off
	global_load_dword v4, v[4:5], off
	s_waitcnt vmcnt(0)
	v_sub_f32_e32 v4, v6, v4
	v_sub_f32_e32 v8, v8, v4
	;; [unrolled: 11-line block ×5, first 2 shown]
	v_lshlrev_b64 v[4:5], 2, v[2:3]
	v_add_nc_u32_e32 v2, s5, v2
	v_add_co_u32 v6, vcc_lo, s0, v4
	v_add_co_ci_u32_e64 v7, null, s1, v5, vcc_lo
	v_add_co_u32 v4, vcc_lo, s2, v4
	v_add_co_ci_u32_e64 v5, null, s3, v5, vcc_lo
	global_load_dword v6, v[6:7], off
	global_load_dword v4, v[4:5], off
	s_waitcnt vmcnt(0)
	v_sub_f32_e32 v4, v6, v4
	v_add_f32_e32 v8, v8, v4
	v_lshlrev_b64 v[4:5], 2, v[2:3]
	v_add_nc_u32_e32 v2, s4, v2
	v_add_co_u32 v6, vcc_lo, s0, v4
	v_add_co_ci_u32_e64 v7, null, s1, v5, vcc_lo
	v_add_co_u32 v4, vcc_lo, s2, v4
	v_add_co_ci_u32_e64 v5, null, s3, v5, vcc_lo
	global_load_dword v6, v[6:7], off
	global_load_dword v4, v[4:5], off
	s_waitcnt vmcnt(0)
	v_sub_f32_e32 v4, v6, v4
	v_add_f32_e32 v8, v8, v4
	;; [unrolled: 11-line block ×5, first 2 shown]
	v_lshlrev_b64 v[4:5], 2, v[2:3]
	v_add_nc_u32_e32 v2, s4, v2
	v_add_co_u32 v6, vcc_lo, s0, v4
	v_add_co_ci_u32_e64 v7, null, s1, v5, vcc_lo
	v_add_co_u32 v4, vcc_lo, s2, v4
	v_add_co_ci_u32_e64 v5, null, s3, v5, vcc_lo
	global_load_dword v6, v[6:7], off
	global_load_dword v4, v[4:5], off
	s_waitcnt vmcnt(0)
	v_sub_f32_e32 v4, v6, v4
	v_sub_f32_e32 v8, v8, v4
	v_lshlrev_b64 v[4:5], 2, v[2:3]
	v_add_nc_u32_e32 v2, s14, v2
	v_add_co_u32 v6, vcc_lo, s0, v4
	v_add_co_ci_u32_e64 v7, null, s1, v5, vcc_lo
	v_add_co_u32 v4, vcc_lo, s2, v4
	v_add_co_ci_u32_e64 v5, null, s3, v5, vcc_lo
	global_load_dword v6, v[6:7], off
	global_load_dword v4, v[4:5], off
	s_waitcnt vmcnt(0)
	v_sub_f32_e32 v4, v6, v4
	v_sub_f32_e32 v8, v8, v4
	v_lshlrev_b64 v[4:5], 2, v[2:3]
	v_add_nc_u32_e32 v2, s14, v2
	v_add_co_u32 v6, vcc_lo, s0, v4
	v_add_co_ci_u32_e64 v7, null, s1, v5, vcc_lo
	v_add_co_u32 v4, vcc_lo, s2, v4
	v_add_co_ci_u32_e64 v5, null, s3, v5, vcc_lo
	global_load_dword v6, v[6:7], off
	global_load_dword v4, v[4:5], off
	s_waitcnt vmcnt(0)
	v_sub_f32_e32 v4, v6, v4
	v_add_f32_e32 v8, v8, v4
	v_lshlrev_b64 v[4:5], 2, v[2:3]
	v_add_nc_u32_e32 v2, s14, v2
	v_add_co_u32 v6, vcc_lo, s0, v4
	v_add_co_ci_u32_e64 v7, null, s1, v5, vcc_lo
	v_add_co_u32 v4, vcc_lo, s2, v4
	v_add_co_ci_u32_e64 v5, null, s3, v5, vcc_lo
	global_load_dword v6, v[6:7], off
	global_load_dword v4, v[4:5], off
	s_waitcnt vmcnt(0)
	v_sub_f32_e32 v4, v6, v4
	v_add_f32_e32 v8, v8, v4
	v_lshlrev_b64 v[4:5], 2, v[2:3]
	v_add_nc_u32_e32 v2, s4, v2
	v_add_co_u32 v6, vcc_lo, s0, v4
	v_add_co_ci_u32_e64 v7, null, s1, v5, vcc_lo
	v_add_co_u32 v4, vcc_lo, s2, v4
	v_add_co_ci_u32_e64 v5, null, s3, v5, vcc_lo
	global_load_dword v6, v[6:7], off
	global_load_dword v4, v[4:5], off
	s_waitcnt vmcnt(0)
	v_sub_f32_e32 v4, v6, v4
	v_sub_f32_e32 v8, v8, v4
	v_lshlrev_b64 v[4:5], 2, v[2:3]
	v_add_nc_u32_e32 v2, s4, v2
	v_add_co_u32 v6, vcc_lo, s0, v4
	v_add_co_ci_u32_e64 v7, null, s1, v5, vcc_lo
	v_add_co_u32 v4, vcc_lo, s2, v4
	v_add_co_ci_u32_e64 v5, null, s3, v5, vcc_lo
	global_load_dword v6, v[6:7], off
	global_load_dword v4, v[4:5], off
	s_waitcnt vmcnt(0)
	v_sub_f32_e32 v4, v6, v4
	v_add_f32_e32 v8, v8, v4
	v_lshlrev_b64 v[4:5], 2, v[2:3]
	v_add_nc_u32_e32 v2, s14, v2
	v_add_co_u32 v6, vcc_lo, s0, v4
	v_add_co_ci_u32_e64 v7, null, s1, v5, vcc_lo
	v_add_co_u32 v4, vcc_lo, s2, v4
	v_add_co_ci_u32_e64 v5, null, s3, v5, vcc_lo
	global_load_dword v6, v[6:7], off
	global_load_dword v4, v[4:5], off
	s_waitcnt vmcnt(0)
	v_sub_f32_e32 v4, v6, v4
	v_add_f32_e32 v8, v8, v4
	;; [unrolled: 11-line block ×3, first 2 shown]
	v_add_f32_e32 v8, v4, v5
	v_lshlrev_b64 v[4:5], 2, v[2:3]
	v_add_nc_u32_e32 v2, s5, v2
	v_add_co_u32 v6, vcc_lo, s0, v4
	v_add_co_ci_u32_e64 v7, null, s1, v5, vcc_lo
	v_add_co_u32 v4, vcc_lo, s2, v4
	v_add_co_ci_u32_e64 v5, null, s3, v5, vcc_lo
	global_load_dword v6, v[6:7], off
	global_load_dword v4, v[4:5], off
	s_waitcnt vmcnt(0)
	v_sub_f32_e32 v4, v6, v4
	v_add_f32_e32 v8, v8, v4
	v_lshlrev_b64 v[4:5], 2, v[2:3]
	v_add_nc_u32_e32 v2, s15, v2
	v_add_co_u32 v6, vcc_lo, s0, v4
	v_add_co_ci_u32_e64 v7, null, s1, v5, vcc_lo
	v_add_co_u32 v4, vcc_lo, s2, v4
	v_add_co_ci_u32_e64 v5, null, s3, v5, vcc_lo
	global_load_dword v6, v[6:7], off
	global_load_dword v4, v[4:5], off
	s_waitcnt vmcnt(0)
	v_sub_f32_e32 v4, v6, v4
	;; [unrolled: 11-line block ×3, first 2 shown]
	v_sub_f32_e32 v8, v8, v4
	v_lshlrev_b64 v[4:5], 2, v[2:3]
	v_add_nc_u32_e32 v2, s4, v2
	v_add_co_u32 v6, vcc_lo, s0, v4
	v_add_co_ci_u32_e64 v7, null, s1, v5, vcc_lo
	v_add_co_u32 v4, vcc_lo, s2, v4
	v_add_co_ci_u32_e64 v5, null, s3, v5, vcc_lo
	global_load_dword v6, v[6:7], off
	global_load_dword v4, v[4:5], off
	s_waitcnt vmcnt(0)
	v_sub_f32_e32 v4, v6, v4
	v_add_f32_e32 v8, v8, v4
	v_lshlrev_b64 v[4:5], 2, v[2:3]
	v_add_nc_u32_e32 v2, s4, v2
	v_add_co_u32 v6, vcc_lo, s0, v4
	v_add_co_ci_u32_e64 v7, null, s1, v5, vcc_lo
	v_add_co_u32 v4, vcc_lo, s2, v4
	v_add_co_ci_u32_e64 v5, null, s3, v5, vcc_lo
	global_load_dword v6, v[6:7], off
	global_load_dword v4, v[4:5], off
	s_waitcnt vmcnt(0)
	v_sub_f32_e32 v4, v6, v4
	v_add_f32_e32 v8, v8, v4
	v_lshlrev_b64 v[4:5], 2, v[2:3]
	v_add_nc_u32_e32 v2, s4, v2
	v_add_co_u32 v6, vcc_lo, s0, v4
	v_add_co_ci_u32_e64 v7, null, s1, v5, vcc_lo
	v_add_co_u32 v4, vcc_lo, s2, v4
	v_add_co_ci_u32_e64 v5, null, s3, v5, vcc_lo
	global_load_dword v6, v[6:7], off
	global_load_dword v4, v[4:5], off
	s_waitcnt vmcnt(0)
	v_sub_f32_e32 v4, v6, v4
	v_add_f32_e32 v8, v8, v4
	v_lshlrev_b64 v[4:5], 2, v[2:3]
	v_add_nc_u32_e32 v2, s6, v2
	v_add_co_u32 v6, vcc_lo, s0, v4
	v_add_co_ci_u32_e64 v7, null, s1, v5, vcc_lo
	v_add_co_u32 v4, vcc_lo, s2, v4
	v_add_co_ci_u32_e64 v5, null, s3, v5, vcc_lo
	global_load_dword v6, v[6:7], off
	global_load_dword v4, v[4:5], off
	s_waitcnt vmcnt(0)
	v_sub_f32_e32 v4, v6, v4
	v_add_f32_e32 v8, v8, v4
	v_lshlrev_b64 v[4:5], 2, v[2:3]
	v_add_nc_u32_e32 v2, s4, v2
	v_add_co_u32 v6, vcc_lo, s0, v4
	v_add_co_ci_u32_e64 v7, null, s1, v5, vcc_lo
	v_add_co_u32 v4, vcc_lo, s2, v4
	v_add_co_ci_u32_e64 v5, null, s3, v5, vcc_lo
	global_load_dword v6, v[6:7], off
	global_load_dword v4, v[4:5], off
	s_waitcnt vmcnt(0)
	v_sub_f32_e32 v4, v6, v4
	v_sub_f32_e32 v8, v8, v4
	v_lshlrev_b64 v[4:5], 2, v[2:3]
	v_add_nc_u32_e32 v2, s13, v2
	v_add_co_u32 v6, vcc_lo, s0, v4
	v_add_co_ci_u32_e64 v7, null, s1, v5, vcc_lo
	v_add_co_u32 v4, vcc_lo, s2, v4
	v_add_co_ci_u32_e64 v5, null, s3, v5, vcc_lo
	global_load_dword v6, v[6:7], off
	global_load_dword v4, v[4:5], off
	s_waitcnt vmcnt(0)
	v_sub_f32_e32 v4, v6, v4
	v_sub_f32_e32 v8, v8, v4
	v_lshlrev_b64 v[4:5], 2, v[2:3]
	v_add_nc_u32_e32 v2, s4, v2
	v_add_co_u32 v6, vcc_lo, s0, v4
	v_add_co_ci_u32_e64 v7, null, s1, v5, vcc_lo
	v_add_co_u32 v4, vcc_lo, s2, v4
	v_add_co_ci_u32_e64 v5, null, s3, v5, vcc_lo
	global_load_dword v6, v[6:7], off
	global_load_dword v4, v[4:5], off
	s_waitcnt vmcnt(0)
	v_sub_f32_e32 v4, v6, v4
	v_add_f32_e32 v8, v8, v4
	v_lshlrev_b64 v[4:5], 2, v[2:3]
	v_add_nc_u32_e32 v2, s4, v2
	v_add_co_u32 v6, vcc_lo, s0, v4
	v_add_co_ci_u32_e64 v7, null, s1, v5, vcc_lo
	v_add_co_u32 v4, vcc_lo, s2, v4
	v_add_co_ci_u32_e64 v5, null, s3, v5, vcc_lo
	global_load_dword v6, v[6:7], off
	global_load_dword v4, v[4:5], off
	s_waitcnt vmcnt(0)
	v_sub_f32_e32 v4, v6, v4
	v_sub_f32_e32 v8, v8, v4
	v_lshlrev_b64 v[4:5], 2, v[2:3]
	v_add_nc_u32_e32 v2, s16, v2
	v_add_co_u32 v6, vcc_lo, s0, v4
	v_add_co_ci_u32_e64 v7, null, s1, v5, vcc_lo
	v_add_co_u32 v4, vcc_lo, s2, v4
	v_add_co_ci_u32_e64 v5, null, s3, v5, vcc_lo
	global_load_dword v6, v[6:7], off
	global_load_dword v4, v[4:5], off
	s_waitcnt vmcnt(0)
	v_sub_f32_e32 v4, v6, v4
	v_add_f32_e32 v8, v8, v4
	v_lshlrev_b64 v[4:5], 2, v[2:3]
	v_add_nc_u32_e32 v2, s5, v2
	v_add_co_u32 v6, vcc_lo, s0, v4
	v_add_co_ci_u32_e64 v7, null, s1, v5, vcc_lo
	v_add_co_u32 v4, vcc_lo, s2, v4
	v_add_co_ci_u32_e64 v5, null, s3, v5, vcc_lo
	global_load_dword v6, v[6:7], off
	global_load_dword v4, v[4:5], off
	s_waitcnt vmcnt(0)
	v_sub_f32_e32 v4, v6, v4
	v_add_f32_e32 v8, v8, v4
	;; [unrolled: 11-line block ×5, first 2 shown]
	v_lshlrev_b64 v[4:5], 2, v[2:3]
	v_add_nc_u32_e32 v2, s4, v2
	v_add_co_u32 v6, vcc_lo, s0, v4
	v_add_co_ci_u32_e64 v7, null, s1, v5, vcc_lo
	v_add_co_u32 v4, vcc_lo, s2, v4
	v_add_co_ci_u32_e64 v5, null, s3, v5, vcc_lo
	global_load_dword v6, v[6:7], off
	global_load_dword v4, v[4:5], off
	s_waitcnt vmcnt(0)
	v_sub_f32_e32 v4, v6, v4
	v_sub_f32_e32 v8, v8, v4
	v_lshlrev_b64 v[4:5], 2, v[2:3]
	v_add_nc_u32_e32 v2, s4, v2
	v_add_co_u32 v6, vcc_lo, s0, v4
	v_add_co_ci_u32_e64 v7, null, s1, v5, vcc_lo
	v_add_co_u32 v4, vcc_lo, s2, v4
	v_add_co_ci_u32_e64 v5, null, s3, v5, vcc_lo
	global_load_dword v6, v[6:7], off
	global_load_dword v4, v[4:5], off
	s_waitcnt vmcnt(0)
	v_sub_f32_e32 v4, v6, v4
	v_sub_f32_e32 v8, v8, v4
	v_lshlrev_b64 v[4:5], 2, v[2:3]
	v_add_nc_u32_e32 v2, s5, v2
	v_add_co_u32 v6, vcc_lo, s0, v4
	v_add_co_ci_u32_e64 v7, null, s1, v5, vcc_lo
	v_add_co_u32 v4, vcc_lo, s2, v4
	v_add_co_ci_u32_e64 v5, null, s3, v5, vcc_lo
	global_load_dword v6, v[6:7], off
	global_load_dword v4, v[4:5], off
	s_waitcnt vmcnt(0)
	v_sub_f32_e32 v4, v6, v4
	v_sub_f32_e32 v8, v8, v4
	v_lshlrev_b64 v[4:5], 2, v[2:3]
	v_add_nc_u32_e32 v2, s15, v2
	v_add_co_u32 v6, vcc_lo, s0, v4
	v_add_co_ci_u32_e64 v7, null, s1, v5, vcc_lo
	v_add_co_u32 v4, vcc_lo, s2, v4
	v_add_co_ci_u32_e64 v5, null, s3, v5, vcc_lo
	global_load_dword v6, v[6:7], off
	global_load_dword v4, v[4:5], off
	s_waitcnt vmcnt(0)
	v_sub_f32_e32 v4, v6, v4
	v_sub_f32_e32 v8, v8, v4
	v_lshlrev_b64 v[4:5], 2, v[2:3]
	v_add_nc_u32_e32 v2, s15, v2
	v_add_co_u32 v6, vcc_lo, s0, v4
	v_add_co_ci_u32_e64 v7, null, s1, v5, vcc_lo
	v_add_co_u32 v4, vcc_lo, s2, v4
	v_add_co_ci_u32_e64 v5, null, s3, v5, vcc_lo
	global_load_dword v6, v[6:7], off
	global_load_dword v4, v[4:5], off
	s_waitcnt vmcnt(0)
	v_sub_f32_e32 v4, v6, v4
	v_add_f32_e32 v8, v8, v4
	v_lshlrev_b64 v[4:5], 2, v[2:3]
	v_add_nc_u32_e32 v2, s4, v2
	v_add_co_u32 v6, vcc_lo, s0, v4
	v_add_co_ci_u32_e64 v7, null, s1, v5, vcc_lo
	v_add_co_u32 v4, vcc_lo, s2, v4
	v_add_co_ci_u32_e64 v5, null, s3, v5, vcc_lo
	global_load_dword v6, v[6:7], off
	global_load_dword v4, v[4:5], off
	s_waitcnt vmcnt(0)
	v_sub_f32_e32 v4, v6, v4
	v_sub_f32_e32 v8, v8, v4
	v_lshlrev_b64 v[4:5], 2, v[2:3]
	v_add_nc_u32_e32 v2, s6, v2
	v_add_co_u32 v6, vcc_lo, s0, v4
	v_add_co_ci_u32_e64 v7, null, s1, v5, vcc_lo
	v_add_co_u32 v4, vcc_lo, s2, v4
	v_add_co_ci_u32_e64 v5, null, s3, v5, vcc_lo
	global_load_dword v6, v[6:7], off
	global_load_dword v4, v[4:5], off
	s_waitcnt vmcnt(0)
	v_sub_f32_e32 v4, v6, v4
	v_add_f32_e32 v8, v8, v4
	v_lshlrev_b64 v[4:5], 2, v[2:3]
	v_add_nc_u32_e32 v2, s4, v2
	v_add_co_u32 v6, vcc_lo, s0, v4
	v_add_co_ci_u32_e64 v7, null, s1, v5, vcc_lo
	v_add_co_u32 v4, vcc_lo, s2, v4
	v_add_co_ci_u32_e64 v5, null, s3, v5, vcc_lo
	global_load_dword v6, v[6:7], off
	global_load_dword v4, v[4:5], off
	s_waitcnt vmcnt(0)
	v_sub_f32_e32 v4, v6, v4
	v_add_f32_e32 v8, v8, v4
	;; [unrolled: 11-line block ×5, first 2 shown]
	v_lshlrev_b64 v[4:5], 2, v[2:3]
	v_add_nc_u32_e32 v2, s4, v2
	v_add_co_u32 v6, vcc_lo, s0, v4
	v_add_co_ci_u32_e64 v7, null, s1, v5, vcc_lo
	v_add_co_u32 v4, vcc_lo, s2, v4
	v_add_co_ci_u32_e64 v5, null, s3, v5, vcc_lo
	global_load_dword v6, v[6:7], off
	global_load_dword v4, v[4:5], off
	s_waitcnt vmcnt(0)
	v_sub_f32_e32 v4, v6, v4
	v_sub_f32_e32 v8, v8, v4
	v_lshlrev_b64 v[4:5], 2, v[2:3]
	v_add_nc_u32_e32 v2, s4, v2
	v_add_co_u32 v6, vcc_lo, s0, v4
	v_add_co_ci_u32_e64 v7, null, s1, v5, vcc_lo
	v_add_co_u32 v4, vcc_lo, s2, v4
	v_add_co_ci_u32_e64 v5, null, s3, v5, vcc_lo
	global_load_dword v6, v[6:7], off
	global_load_dword v4, v[4:5], off
	s_waitcnt vmcnt(0)
	v_sub_f32_e32 v4, v6, v4
	v_sub_f32_e32 v8, v8, v4
	v_lshlrev_b64 v[4:5], 2, v[2:3]
	v_add_nc_u32_e32 v2, s5, v2
	v_add_co_u32 v6, vcc_lo, s0, v4
	v_add_co_ci_u32_e64 v7, null, s1, v5, vcc_lo
	v_add_co_u32 v4, vcc_lo, s2, v4
	v_add_co_ci_u32_e64 v5, null, s3, v5, vcc_lo
	global_load_dword v6, v[6:7], off
	global_load_dword v4, v[4:5], off
	s_waitcnt vmcnt(0)
	v_sub_f32_e32 v4, v6, v4
	v_sub_f32_e32 v8, v8, v4
	v_lshlrev_b64 v[4:5], 2, v[2:3]
	v_add_nc_u32_e32 v2, s4, v2
	v_add_co_u32 v6, vcc_lo, s0, v4
	v_add_co_ci_u32_e64 v7, null, s1, v5, vcc_lo
	v_add_co_u32 v4, vcc_lo, s2, v4
	v_add_co_ci_u32_e64 v5, null, s3, v5, vcc_lo
	global_load_dword v6, v[6:7], off
	global_load_dword v4, v[4:5], off
	s_waitcnt vmcnt(0)
	v_sub_f32_e32 v4, v6, v4
	v_sub_f32_e32 v8, v8, v4
	v_lshlrev_b64 v[4:5], 2, v[2:3]
	v_add_nc_u32_e32 v2, s4, v2
	v_add_co_u32 v6, vcc_lo, s0, v4
	v_add_co_ci_u32_e64 v7, null, s1, v5, vcc_lo
	v_add_co_u32 v4, vcc_lo, s2, v4
	v_add_co_ci_u32_e64 v5, null, s3, v5, vcc_lo
	global_load_dword v6, v[6:7], off
	global_load_dword v4, v[4:5], off
	s_waitcnt vmcnt(0)
	v_sub_f32_e32 v4, v6, v4
	v_sub_f32_e32 v8, v8, v4
	v_lshlrev_b64 v[4:5], 2, v[2:3]
	v_add_nc_u32_e32 v2, s4, v2
	v_add_co_u32 v6, vcc_lo, s0, v4
	v_add_co_ci_u32_e64 v7, null, s1, v5, vcc_lo
	v_add_co_u32 v4, vcc_lo, s2, v4
	v_add_co_ci_u32_e64 v5, null, s3, v5, vcc_lo
	global_load_dword v6, v[6:7], off
	global_load_dword v4, v[4:5], off
	s_waitcnt vmcnt(0)
	v_sub_f32_e32 v4, v6, v4
	v_sub_f32_e32 v8, v8, v4
	v_lshlrev_b64 v[4:5], 2, v[2:3]
	v_add_co_u32 v6, vcc_lo, s0, v4
	v_add_co_ci_u32_e64 v7, null, s1, v5, vcc_lo
	v_add_co_u32 v4, vcc_lo, s2, v4
	v_add_co_ci_u32_e64 v5, null, s3, v5, vcc_lo
	global_load_dword v6, v[6:7], off
	global_load_dword v4, v[4:5], off
	s_waitcnt vmcnt(0)
	v_sub_f32_e32 v4, v6, v4
	v_add_f32_e32 v9, v8, v4
	v_mad_u64_u32 v[4:5], null, s4, 11, v[2:3]
	v_mov_b32_e32 v5, v3
	v_lshlrev_b64 v[5:6], 2, v[4:5]
	v_add_co_u32 v7, vcc_lo, s0, v5
	v_add_co_ci_u32_e64 v8, null, s1, v6, vcc_lo
	v_add_co_u32 v5, vcc_lo, s2, v5
	v_add_co_ci_u32_e64 v6, null, s3, v6, vcc_lo
	global_load_dword v2, v[7:8], off
	global_load_dword v5, v[5:6], off
	s_waitcnt vmcnt(0)
	v_sub_f32_e32 v2, v2, v5
	v_add_f32_e32 v8, v9, v2
	v_add_nc_u32_e32 v2, s14, v4
	v_lshlrev_b64 v[4:5], 2, v[2:3]
	v_add_nc_u32_e32 v2, s4, v2
	v_add_co_u32 v6, vcc_lo, s0, v4
	v_add_co_ci_u32_e64 v7, null, s1, v5, vcc_lo
	v_add_co_u32 v4, vcc_lo, s2, v4
	v_add_co_ci_u32_e64 v5, null, s3, v5, vcc_lo
	global_load_dword v6, v[6:7], off
	global_load_dword v4, v[4:5], off
	s_waitcnt vmcnt(0)
	v_sub_f32_e32 v4, v6, v4
	v_sub_f32_e32 v8, v8, v4
	v_lshlrev_b64 v[4:5], 2, v[2:3]
	v_add_nc_u32_e32 v2, s4, v2
	v_add_co_u32 v6, vcc_lo, s0, v4
	v_add_co_ci_u32_e64 v7, null, s1, v5, vcc_lo
	v_add_co_u32 v4, vcc_lo, s2, v4
	v_add_co_ci_u32_e64 v5, null, s3, v5, vcc_lo
	global_load_dword v6, v[6:7], off
	global_load_dword v4, v[4:5], off
	s_waitcnt vmcnt(0)
	v_sub_f32_e32 v4, v6, v4
	v_sub_f32_e32 v8, v8, v4
	;; [unrolled: 11-line block ×5, first 2 shown]
	v_lshlrev_b64 v[4:5], 2, v[2:3]
	v_add_nc_u32_e32 v2, s14, v2
	v_add_co_u32 v6, vcc_lo, s0, v4
	v_add_co_ci_u32_e64 v7, null, s1, v5, vcc_lo
	v_add_co_u32 v4, vcc_lo, s2, v4
	v_add_co_ci_u32_e64 v5, null, s3, v5, vcc_lo
	global_load_dword v6, v[6:7], off
	global_load_dword v4, v[4:5], off
	s_waitcnt vmcnt(0)
	v_sub_f32_e32 v4, v6, v4
	v_add_f32_e32 v8, v8, v4
	v_lshlrev_b64 v[4:5], 2, v[2:3]
	v_add_nc_u32_e32 v2, s15, v2
	v_add_co_u32 v6, vcc_lo, s0, v4
	v_add_co_ci_u32_e64 v7, null, s1, v5, vcc_lo
	v_add_co_u32 v4, vcc_lo, s2, v4
	v_add_co_ci_u32_e64 v5, null, s3, v5, vcc_lo
	global_load_dword v6, v[6:7], off
	global_load_dword v4, v[4:5], off
	s_waitcnt vmcnt(0)
	v_sub_f32_e32 v4, v6, v4
	v_add_f32_e32 v8, v8, v4
	v_lshlrev_b64 v[4:5], 2, v[2:3]
	v_add_nc_u32_e32 v2, s4, v2
	v_add_co_u32 v6, vcc_lo, s0, v4
	v_add_co_ci_u32_e64 v7, null, s1, v5, vcc_lo
	v_add_co_u32 v4, vcc_lo, s2, v4
	v_add_co_ci_u32_e64 v5, null, s3, v5, vcc_lo
	global_load_dword v6, v[6:7], off
	global_load_dword v4, v[4:5], off
	s_waitcnt vmcnt(0)
	v_sub_f32_e32 v4, v6, v4
	v_sub_f32_e32 v8, v8, v4
	v_lshlrev_b64 v[4:5], 2, v[2:3]
	v_add_nc_u32_e32 v2, s14, v2
	v_add_co_u32 v6, vcc_lo, s0, v4
	v_add_co_ci_u32_e64 v7, null, s1, v5, vcc_lo
	v_add_co_u32 v4, vcc_lo, s2, v4
	v_add_co_ci_u32_e64 v5, null, s3, v5, vcc_lo
	global_load_dword v6, v[6:7], off
	global_load_dword v4, v[4:5], off
	s_waitcnt vmcnt(0)
	v_sub_f32_e32 v4, v6, v4
	v_sub_f32_e32 v8, v8, v4
	v_lshlrev_b64 v[4:5], 2, v[2:3]
	v_add_nc_u32_e32 v2, s12, v2
	v_add_co_u32 v6, vcc_lo, s0, v4
	v_add_co_ci_u32_e64 v7, null, s1, v5, vcc_lo
	v_add_co_u32 v4, vcc_lo, s2, v4
	v_add_co_ci_u32_e64 v5, null, s3, v5, vcc_lo
	global_load_dword v6, v[6:7], off
	global_load_dword v4, v[4:5], off
	s_waitcnt vmcnt(0)
	v_sub_f32_e32 v4, v6, v4
	v_add_f32_e32 v8, v8, v4
	v_lshlrev_b64 v[4:5], 2, v[2:3]
	v_add_nc_u32_e32 v2, s13, v2
	v_add_co_u32 v6, vcc_lo, s0, v4
	v_add_co_ci_u32_e64 v7, null, s1, v5, vcc_lo
	v_add_co_u32 v4, vcc_lo, s2, v4
	v_add_co_ci_u32_e64 v5, null, s3, v5, vcc_lo
	global_load_dword v6, v[6:7], off
	global_load_dword v4, v[4:5], off
	s_waitcnt vmcnt(0)
	v_sub_f32_e32 v4, v6, v4
	v_sub_f32_e32 v8, v8, v4
	v_lshlrev_b64 v[4:5], 2, v[2:3]
	v_add_nc_u32_e32 v2, s4, v2
	v_add_co_u32 v6, vcc_lo, s0, v4
	v_add_co_ci_u32_e64 v7, null, s1, v5, vcc_lo
	v_add_co_u32 v4, vcc_lo, s2, v4
	v_add_co_ci_u32_e64 v5, null, s3, v5, vcc_lo
	global_load_dword v6, v[6:7], off
	global_load_dword v4, v[4:5], off
	s_waitcnt vmcnt(0)
	v_sub_f32_e32 v4, v6, v4
	v_sub_f32_e32 v8, v8, v4
	;; [unrolled: 11-line block ×6, first 2 shown]
	v_lshlrev_b64 v[4:5], 2, v[2:3]
	v_add_nc_u32_e32 v2, s6, v2
	v_add_co_u32 v6, vcc_lo, s0, v4
	v_add_co_ci_u32_e64 v7, null, s1, v5, vcc_lo
	v_add_co_u32 v4, vcc_lo, s2, v4
	v_add_co_ci_u32_e64 v5, null, s3, v5, vcc_lo
	global_load_dword v6, v[6:7], off
	global_load_dword v4, v[4:5], off
	s_waitcnt vmcnt(0)
	v_sub_f32_e32 v4, v6, v4
	v_add_f32_e32 v8, v8, v4
	v_lshlrev_b64 v[4:5], 2, v[2:3]
	v_add_nc_u32_e32 v2, s4, v2
	v_add_co_u32 v6, vcc_lo, s0, v4
	v_add_co_ci_u32_e64 v7, null, s1, v5, vcc_lo
	v_add_co_u32 v4, vcc_lo, s2, v4
	v_add_co_ci_u32_e64 v5, null, s3, v5, vcc_lo
	global_load_dword v6, v[6:7], off
	v_lshlrev_b64 v[2:3], 2, v[2:3]
	global_load_dword v4, v[4:5], off
	v_add_co_u32 v5, vcc_lo, s0, v2
	s_load_dword s0, s[10:11], 0x4
	s_waitcnt vmcnt(0)
	v_sub_f32_e32 v4, v6, v4
	v_add_co_ci_u32_e64 v6, null, s1, v3, vcc_lo
	v_add_co_u32 v2, vcc_lo, s2, v2
	v_add_co_ci_u32_e64 v3, null, s3, v3, vcc_lo
	global_load_dword v5, v[5:6], off
	v_sub_f32_e32 v4, v8, v4
	v_add_co_u32 v0, vcc_lo, s8, v0
	global_load_dword v2, v[2:3], off
	v_add_co_ci_u32_e64 v1, null, s9, v1, vcc_lo
	s_waitcnt vmcnt(0)
	v_sub_f32_e32 v2, v5, v2
	v_sub_f32_e32 v2, v4, v2
	v_mul_f32_e32 v2, s7, v2
	s_waitcnt lgkmcnt(0)
	v_mul_f32_e32 v2, s0, v2
	global_store_dword v[0:1], v2, off
	s_endpgm
	.section	.rodata,"a",@progbits
	.p2align	6, 0x0
	.amdhsa_kernel _Z13rdwdot_kernelIfEvPKT_S2_PS0_S0_S2_
		.amdhsa_group_segment_fixed_size 0
		.amdhsa_private_segment_fixed_size 0
		.amdhsa_kernarg_size 296
		.amdhsa_user_sgpr_count 6
		.amdhsa_user_sgpr_private_segment_buffer 1
		.amdhsa_user_sgpr_dispatch_ptr 0
		.amdhsa_user_sgpr_queue_ptr 0
		.amdhsa_user_sgpr_kernarg_segment_ptr 1
		.amdhsa_user_sgpr_dispatch_id 0
		.amdhsa_user_sgpr_flat_scratch_init 0
		.amdhsa_user_sgpr_private_segment_size 0
		.amdhsa_wavefront_size32 1
		.amdhsa_uses_dynamic_stack 0
		.amdhsa_system_sgpr_private_segment_wavefront_offset 0
		.amdhsa_system_sgpr_workgroup_id_x 1
		.amdhsa_system_sgpr_workgroup_id_y 0
		.amdhsa_system_sgpr_workgroup_id_z 0
		.amdhsa_system_sgpr_workgroup_info 0
		.amdhsa_system_vgpr_workitem_id 0
		.amdhsa_next_free_vgpr 11
		.amdhsa_next_free_sgpr 17
		.amdhsa_reserve_vcc 1
		.amdhsa_reserve_flat_scratch 0
		.amdhsa_float_round_mode_32 0
		.amdhsa_float_round_mode_16_64 0
		.amdhsa_float_denorm_mode_32 3
		.amdhsa_float_denorm_mode_16_64 3
		.amdhsa_dx10_clamp 1
		.amdhsa_ieee_mode 1
		.amdhsa_fp16_overflow 0
		.amdhsa_workgroup_processor_mode 1
		.amdhsa_memory_ordered 1
		.amdhsa_forward_progress 1
		.amdhsa_shared_vgpr_count 0
		.amdhsa_exception_fp_ieee_invalid_op 0
		.amdhsa_exception_fp_denorm_src 0
		.amdhsa_exception_fp_ieee_div_zero 0
		.amdhsa_exception_fp_ieee_overflow 0
		.amdhsa_exception_fp_ieee_underflow 0
		.amdhsa_exception_fp_ieee_inexact 0
		.amdhsa_exception_int_div_zero 0
	.end_amdhsa_kernel
	.section	.text._Z13rdwdot_kernelIfEvPKT_S2_PS0_S0_S2_,"axG",@progbits,_Z13rdwdot_kernelIfEvPKT_S2_PS0_S0_S2_,comdat
.Lfunc_end19:
	.size	_Z13rdwdot_kernelIfEvPKT_S2_PS0_S0_S2_, .Lfunc_end19-_Z13rdwdot_kernelIfEvPKT_S2_PS0_S0_S2_
                                        ; -- End function
	.set _Z13rdwdot_kernelIfEvPKT_S2_PS0_S0_S2_.num_vgpr, 11
	.set _Z13rdwdot_kernelIfEvPKT_S2_PS0_S0_S2_.num_agpr, 0
	.set _Z13rdwdot_kernelIfEvPKT_S2_PS0_S0_S2_.numbered_sgpr, 17
	.set _Z13rdwdot_kernelIfEvPKT_S2_PS0_S0_S2_.num_named_barrier, 0
	.set _Z13rdwdot_kernelIfEvPKT_S2_PS0_S0_S2_.private_seg_size, 0
	.set _Z13rdwdot_kernelIfEvPKT_S2_PS0_S0_S2_.uses_vcc, 1
	.set _Z13rdwdot_kernelIfEvPKT_S2_PS0_S0_S2_.uses_flat_scratch, 0
	.set _Z13rdwdot_kernelIfEvPKT_S2_PS0_S0_S2_.has_dyn_sized_stack, 0
	.set _Z13rdwdot_kernelIfEvPKT_S2_PS0_S0_S2_.has_recursion, 0
	.set _Z13rdwdot_kernelIfEvPKT_S2_PS0_S0_S2_.has_indirect_call, 0
	.section	.AMDGPU.csdata,"",@progbits
; Kernel info:
; codeLenInByte = 6288
; TotalNumSgprs: 19
; NumVgprs: 11
; ScratchSize: 0
; MemoryBound: 0
; FloatMode: 240
; IeeeMode: 1
; LDSByteSize: 0 bytes/workgroup (compile time only)
; SGPRBlocks: 0
; VGPRBlocks: 1
; NumSGPRsForWavesPerEU: 19
; NumVGPRsForWavesPerEU: 11
; Occupancy: 16
; WaveLimiterHint : 0
; COMPUTE_PGM_RSRC2:SCRATCH_EN: 0
; COMPUTE_PGM_RSRC2:USER_SGPR: 6
; COMPUTE_PGM_RSRC2:TRAP_HANDLER: 0
; COMPUTE_PGM_RSRC2:TGID_X_EN: 1
; COMPUTE_PGM_RSRC2:TGID_Y_EN: 0
; COMPUTE_PGM_RSRC2:TGID_Z_EN: 0
; COMPUTE_PGM_RSRC2:TIDIG_COMP_CNT: 0
	.section	.text._Z14rdwdot2_kernelIfEvPKT_S2_PS0_S0_S2_,"axG",@progbits,_Z14rdwdot2_kernelIfEvPKT_S2_PS0_S0_S2_,comdat
	.protected	_Z14rdwdot2_kernelIfEvPKT_S2_PS0_S0_S2_ ; -- Begin function _Z14rdwdot2_kernelIfEvPKT_S2_PS0_S0_S2_
	.globl	_Z14rdwdot2_kernelIfEvPKT_S2_PS0_S0_S2_
	.p2align	8
	.type	_Z14rdwdot2_kernelIfEvPKT_S2_PS0_S0_S2_,@function
_Z14rdwdot2_kernelIfEvPKT_S2_PS0_S0_S2_: ; @_Z14rdwdot2_kernelIfEvPKT_S2_PS0_S0_S2_
; %bb.0:
	s_clause 0x2
	s_load_dword s7, s[4:5], 0x34
	s_load_dword s8, s[4:5], 0x28
	s_load_dwordx4 s[0:3], s[4:5], 0x0
	v_mov_b32_e32 v1, 0
	s_waitcnt lgkmcnt(0)
	s_and_b32 s7, s7, 0xffff
	s_mul_i32 s8, s8, s7
	s_mul_i32 s6, s6, s7
	;; [unrolled: 1-line block ×3, first 2 shown]
	s_lshl_b32 s9, s8, 1
	v_add3_u32 v0, s7, s6, v0
	s_mul_i32 s10, s8, 3
	s_load_dwordx2 s[6:7], s[4:5], 0x10
	v_mad_u64_u32 v[4:5], null, s8, 25, v[0:1]
	v_lshlrev_b64 v[2:3], 2, v[0:1]
	v_mov_b32_e32 v5, v1
	v_add_co_u32 v6, vcc_lo, s0, v2
	v_mad_u64_u32 v[10:11], null, s8, 19, v[4:5]
	v_add_co_ci_u32_e64 v7, null, s1, v3, vcc_lo
	v_add_co_u32 v2, vcc_lo, s2, v2
	v_lshlrev_b64 v[8:9], 2, v[4:5]
	v_add_co_ci_u32_e64 v3, null, s3, v3, vcc_lo
	v_mov_b32_e32 v11, v1
	v_add_nc_u32_e32 v0, s9, v10
	global_load_dword v4, v[6:7], off
	v_add_co_u32 v6, vcc_lo, s0, v8
	global_load_dword v5, v[2:3], off
	v_lshlrev_b64 v[2:3], 2, v[10:11]
	v_add_co_ci_u32_e64 v7, null, s1, v9, vcc_lo
	v_add_co_u32 v8, vcc_lo, s2, v8
	v_add_co_ci_u32_e64 v9, null, s3, v9, vcc_lo
	v_mad_u64_u32 v[11:12], null, s8, 18, v[0:1]
	v_add_co_u32 v13, vcc_lo, s0, v2
	v_mov_b32_e32 v12, v1
	global_load_dword v6, v[6:7], off
	global_load_dword v7, v[8:9], off
	v_lshlrev_b64 v[9:10], 2, v[0:1]
	v_add_co_ci_u32_e64 v14, null, s1, v3, vcc_lo
	v_add_co_u32 v2, vcc_lo, s2, v2
	v_lshlrev_b64 v[15:16], 2, v[11:12]
	v_add_co_ci_u32_e64 v3, null, s3, v3, vcc_lo
	global_load_dword v8, v[13:14], off
	v_add_co_u32 v13, vcc_lo, s0, v9
	v_add_co_ci_u32_e64 v14, null, s1, v10, vcc_lo
	v_add_co_u32 v17, vcc_lo, s2, v9
	v_add_nc_u32_e32 v0, s8, v11
	v_add_co_ci_u32_e64 v18, null, s3, v10, vcc_lo
	v_add_co_u32 v19, vcc_lo, s0, v15
	v_add_co_ci_u32_e64 v20, null, s1, v16, vcc_lo
	global_load_dword v11, v[2:3], off
	global_load_dword v9, v[13:14], off
	;; [unrolled: 1-line block ×4, first 2 shown]
	v_lshlrev_b64 v[2:3], 2, v[0:1]
	v_add_nc_u32_e32 v0, s8, v0
	v_add_co_u32 v13, vcc_lo, s2, v15
	v_add_co_ci_u32_e64 v14, null, s3, v16, vcc_lo
	v_lshlrev_b64 v[18:19], 2, v[0:1]
	v_add_co_u32 v16, vcc_lo, s0, v2
	v_add_co_ci_u32_e64 v17, null, s1, v3, vcc_lo
	v_add_co_u32 v2, vcc_lo, s2, v2
	v_add_nc_u32_e32 v0, s8, v0
	v_add_co_ci_u32_e64 v3, null, s3, v3, vcc_lo
	v_add_co_u32 v20, vcc_lo, s0, v18
	v_add_co_ci_u32_e64 v21, null, s1, v19, vcc_lo
	global_load_dword v15, v[13:14], off
	global_load_dword v13, v[16:17], off
	;; [unrolled: 1-line block ×4, first 2 shown]
	v_lshlrev_b64 v[2:3], 2, v[0:1]
	v_add_co_u32 v17, vcc_lo, s2, v18
	v_add_nc_u32_e32 v0, s8, v0
	v_add_co_ci_u32_e64 v18, null, s3, v19, vcc_lo
	v_add_co_u32 v20, vcc_lo, s0, v2
	v_add_co_ci_u32_e64 v21, null, s1, v3, vcc_lo
	v_add_co_u32 v2, vcc_lo, s2, v2
	v_lshlrev_b64 v[22:23], 2, v[0:1]
	v_add_co_ci_u32_e64 v3, null, s3, v3, vcc_lo
	global_load_dword v19, v[17:18], off
	v_add_nc_u32_e32 v0, s10, v0
	global_load_dword v17, v[20:21], off
	global_load_dword v18, v[2:3], off
	v_add_co_u32 v2, vcc_lo, s0, v22
	v_add_co_ci_u32_e64 v3, null, s1, v23, vcc_lo
	v_add_co_u32 v24, vcc_lo, s2, v22
	v_add_co_ci_u32_e64 v25, null, s3, v23, vcc_lo
	global_load_dword v22, v[2:3], off
	v_lshlrev_b64 v[20:21], 2, v[0:1]
	v_add_nc_u32_e32 v0, s10, v0
	v_add_co_u32 v26, vcc_lo, s0, v20
	v_add_co_ci_u32_e64 v27, null, s1, v21, vcc_lo
	v_add_co_u32 v28, vcc_lo, s2, v20
	v_lshlrev_b64 v[2:3], 2, v[0:1]
	v_add_nc_u32_e32 v0, s8, v0
	v_add_co_ci_u32_e64 v29, null, s3, v21, vcc_lo
	global_load_dword v23, v[24:25], off
	global_load_dword v20, v[26:27], off
	;; [unrolled: 1-line block ×3, first 2 shown]
	v_lshlrev_b64 v[26:27], 2, v[0:1]
	v_add_co_u32 v24, vcc_lo, s0, v2
	v_add_nc_u32_e32 v0, s8, v0
	v_add_co_ci_u32_e64 v25, null, s1, v3, vcc_lo
	v_add_co_u32 v2, vcc_lo, s2, v2
	v_add_co_ci_u32_e64 v3, null, s3, v3, vcc_lo
	v_add_co_u32 v28, vcc_lo, s0, v26
	v_lshlrev_b64 v[32:33], 2, v[0:1]
	v_add_nc_u32_e32 v0, s8, v0
	v_add_co_ci_u32_e64 v29, null, s1, v27, vcc_lo
	v_add_co_u32 v30, vcc_lo, s2, v26
	v_add_co_ci_u32_e64 v31, null, s3, v27, vcc_lo
	global_load_dword v26, v[24:25], off
	global_load_dword v27, v[2:3], off
	;; [unrolled: 1-line block ×4, first 2 shown]
	v_lshlrev_b64 v[28:29], 2, v[0:1]
	v_lshl_add_u32 v0, s8, 3, v0
	v_add_co_u32 v30, vcc_lo, s0, v32
	v_add_co_ci_u32_e64 v31, null, s1, v33, vcc_lo
	v_mad_u64_u32 v[2:3], null, 0xffffff46, s8, v[0:1]
	v_mov_b32_e32 v3, v1
	v_add_co_u32 v32, vcc_lo, s2, v32
	v_add_co_ci_u32_e64 v33, null, s3, v33, vcc_lo
	v_add_co_u32 v34, vcc_lo, s0, v28
	v_mad_u64_u32 v[36:37], null, 0x7d, s8, v[2:3]
	v_mov_b32_e32 v37, v1
	v_add_co_ci_u32_e64 v35, null, s1, v29, vcc_lo
	global_load_dword v44, v[30:31], off
	global_load_dword v45, v[32:33], off
	;; [unrolled: 1-line block ×3, first 2 shown]
	v_add_co_u32 v28, vcc_lo, s2, v28
	v_lshlrev_b64 v[30:31], 2, v[36:37]
	v_mad_u64_u32 v[32:33], null, s8, 45, v[36:37]
	v_add_co_ci_u32_e64 v29, null, s3, v29, vcc_lo
	v_mov_b32_e32 v33, v1
	v_add_co_u32 v34, vcc_lo, s0, v30
	v_add_co_ci_u32_e64 v35, null, s1, v31, vcc_lo
	v_add_co_u32 v30, vcc_lo, s2, v30
	v_add_co_ci_u32_e64 v31, null, s3, v31, vcc_lo
	global_load_dword v47, v[28:29], off
	v_lshlrev_b64 v[28:29], 2, v[0:1]
	v_add_nc_u32_e32 v0, s8, v32
	v_lshlrev_b64 v[36:37], 2, v[32:33]
	global_load_dword v48, v[34:35], off
	global_load_dword v49, v[30:31], off
	v_lshlrev_b64 v[2:3], 2, v[2:3]
	v_add_co_u32 v38, vcc_lo, s0, v28
	v_lshlrev_b64 v[32:33], 2, v[0:1]
	v_add_co_ci_u32_e64 v39, null, s1, v29, vcc_lo
	v_add_co_u32 v30, vcc_lo, s0, v36
	v_add_co_ci_u32_e64 v31, null, s1, v37, vcc_lo
	v_add_co_u32 v34, vcc_lo, s2, v36
	;; [unrolled: 2-line block ×3, first 2 shown]
	v_add_nc_u32_e32 v0, s9, v0
	v_add_co_ci_u32_e64 v37, null, s1, v33, vcc_lo
	v_add_co_u32 v32, vcc_lo, s2, v32
	v_add_co_ci_u32_e64 v33, null, s3, v33, vcc_lo
	global_load_dword v50, v[30:31], off
	v_lshlrev_b64 v[30:31], 2, v[0:1]
	v_add_nc_u32_e32 v0, s8, v0
	global_load_dword v51, v[34:35], off
	global_load_dword v52, v[36:37], off
	;; [unrolled: 1-line block ×3, first 2 shown]
	v_lshlrev_b64 v[34:35], 2, v[0:1]
	v_add_co_u32 v32, vcc_lo, s0, v30
	v_add_co_ci_u32_e64 v33, null, s1, v31, vcc_lo
	v_add_co_u32 v30, vcc_lo, s2, v30
	v_add_co_ci_u32_e64 v31, null, s3, v31, vcc_lo
	;; [unrolled: 2-line block ×4, first 2 shown]
	global_load_dword v54, v[32:33], off
	global_load_dword v55, v[30:31], off
	global_load_dword v56, v[40:41], off
	global_load_dword v57, v[34:35], off
	v_mad_u64_u32 v[36:37], null, s8, 6, v[0:1]
	v_mov_b32_e32 v37, v1
	v_lshlrev_b64 v[42:43], 2, v[36:37]
	v_add_nc_u32_e32 v0, s9, v36
	v_add_co_u32 v30, vcc_lo, s0, v42
	v_add_co_ci_u32_e64 v31, null, s1, v43, vcc_lo
	v_add_co_u32 v32, vcc_lo, s2, v42
	v_lshlrev_b64 v[34:35], 2, v[0:1]
	v_add_nc_u32_e32 v0, s8, v0
	v_add_co_ci_u32_e64 v33, null, s3, v43, vcc_lo
	v_add_co_u32 v28, vcc_lo, s2, v28
	global_load_dword v42, v[30:31], off
	global_load_dword v43, v[32:33], off
	v_lshlrev_b64 v[32:33], 2, v[0:1]
	v_add_co_ci_u32_e64 v29, null, s3, v29, vcc_lo
	v_add_co_u32 v30, vcc_lo, s0, v34
	v_add_nc_u32_e32 v0, s9, v0
	v_add_co_ci_u32_e64 v31, null, s1, v35, vcc_lo
	v_add_co_u32 v34, vcc_lo, s2, v34
	v_add_co_ci_u32_e64 v35, null, s3, v35, vcc_lo
	v_add_co_u32 v36, vcc_lo, s0, v32
	;; [unrolled: 2-line block ×3, first 2 shown]
	v_lshlrev_b64 v[40:41], 2, v[0:1]
	v_add_co_ci_u32_e64 v33, null, s3, v33, vcc_lo
	global_load_dword v58, v[30:31], off
	global_load_dword v34, v[34:35], off
	;; [unrolled: 1-line block ×4, first 2 shown]
	v_add_co_u32 v30, vcc_lo, s0, v40
	v_add_co_ci_u32_e64 v31, null, s1, v41, vcc_lo
	v_add_co_u32 v32, vcc_lo, s2, v40
	v_add_co_ci_u32_e64 v33, null, s3, v41, vcc_lo
	global_load_dword v37, v[38:39], off
	global_load_dword v28, v[28:29], off
	;; [unrolled: 1-line block ×4, first 2 shown]
	s_clause 0x1
	s_load_dwordx2 s[0:1], s[4:5], 0x20
	s_load_dword s2, s[4:5], 0x18
	s_waitcnt lgkmcnt(0)
	s_load_dwordx2 s[0:1], s[0:1], 0x4c
	v_add_co_u32 v2, vcc_lo, s6, v2
	v_add_co_ci_u32_e64 v3, null, s7, v3, vcc_lo
	s_waitcnt vmcnt(46)
	v_sub_f32_e32 v4, v4, v5
	s_waitcnt vmcnt(44)
	v_sub_f32_e32 v5, v6, v7
	v_add_f32_e32 v4, v4, v5
	s_waitcnt vmcnt(42)
	v_sub_f32_e32 v8, v8, v11
	v_add_f32_e32 v4, v4, v8
	;; [unrolled: 3-line block ×3, first 2 shown]
	s_waitcnt vmcnt(38)
	v_sub_f32_e32 v6, v12, v15
	v_sub_f32_e32 v4, v4, v6
	s_waitcnt vmcnt(34)
	v_sub_f32_e32 v5, v16, v19
	s_waitcnt vmcnt(30)
	;; [unrolled: 2-line block ×3, first 2 shown]
	v_sub_f32_e32 v7, v48, v49
	v_add_f32_e32 v7, v6, v7
	v_sub_f32_e32 v6, v13, v14
	v_add_f32_e32 v7, v5, v7
	v_sub_f32_e32 v4, v4, v6
	v_add_f32_e32 v7, v11, v7
	v_sub_f32_e32 v4, v4, v5
	s_waitcnt vmcnt(16)
	v_sub_f32_e32 v9, v50, v51
	s_waitcnt vmcnt(14)
	v_sub_f32_e32 v8, v52, v53
	v_sub_f32_e32 v7, v7, v9
	;; [unrolled: 1-line block ×6, first 2 shown]
	s_waitcnt vmcnt(12)
	v_sub_f32_e32 v6, v54, v55
	s_waitcnt vmcnt(10)
	v_sub_f32_e32 v5, v56, v57
	v_sub_f32_e32 v6, v7, v6
	;; [unrolled: 1-line block ×10, first 2 shown]
	v_add_f32_e32 v4, v4, v9
	v_sub_f32_e32 v9, v46, v47
	v_sub_f32_e32 v5, v5, v7
	v_add_f32_e32 v4, v4, v8
	s_waitcnt vmcnt(8)
	v_sub_f32_e32 v8, v42, v43
	v_sub_f32_e32 v5, v5, v9
	v_add_f32_e32 v4, v4, v6
	v_add_f32_e32 v8, v8, v5
	;; [unrolled: 1-line block ×3, first 2 shown]
	v_mad_u64_u32 v[4:5], null, 0xffffff48, s8, v[0:1]
	v_mov_b32_e32 v5, v1
	v_add_f32_e32 v7, v7, v9
	s_waitcnt vmcnt(6)
	v_sub_f32_e32 v6, v58, v34
	s_waitcnt vmcnt(4)
	v_sub_f32_e32 v0, v35, v36
	v_add_f32_e32 v6, v6, v8
	v_add_f32_e32 v10, v0, v6
	s_waitcnt vmcnt(2)
	v_sub_f32_e32 v8, v37, v28
	v_add_nc_u32_e32 v0, s8, v4
	s_waitcnt vmcnt(0)
	v_sub_f32_e32 v9, v29, v30
	v_lshlrev_b64 v[5:6], 2, v[4:5]
	v_add_f32_e32 v4, v7, v8
	v_lshlrev_b64 v[7:8], 2, v[0:1]
	v_add_f32_e32 v9, v10, v9
	v_mul_f32_e32 v0, s2, v4
	v_add_co_u32 v4, vcc_lo, s6, v5
	v_mul_f32_e32 v9, s2, v9
	v_add_co_ci_u32_e64 v5, null, s7, v6, vcc_lo
	s_waitcnt lgkmcnt(0)
	v_mul_f32_e32 v0, s0, v0
	v_add_co_u32 v6, vcc_lo, s6, v7
	v_mul_f32_e32 v9, s1, v9
	v_add_co_ci_u32_e64 v7, null, s7, v8, vcc_lo
	global_store_dword v[2:3], v0, off
	global_store_dword v[4:5], v9, off
	;; [unrolled: 1-line block ×3, first 2 shown]
	s_endpgm
	.section	.rodata,"a",@progbits
	.p2align	6, 0x0
	.amdhsa_kernel _Z14rdwdot2_kernelIfEvPKT_S2_PS0_S0_S2_
		.amdhsa_group_segment_fixed_size 0
		.amdhsa_private_segment_fixed_size 0
		.amdhsa_kernarg_size 296
		.amdhsa_user_sgpr_count 6
		.amdhsa_user_sgpr_private_segment_buffer 1
		.amdhsa_user_sgpr_dispatch_ptr 0
		.amdhsa_user_sgpr_queue_ptr 0
		.amdhsa_user_sgpr_kernarg_segment_ptr 1
		.amdhsa_user_sgpr_dispatch_id 0
		.amdhsa_user_sgpr_flat_scratch_init 0
		.amdhsa_user_sgpr_private_segment_size 0
		.amdhsa_wavefront_size32 1
		.amdhsa_uses_dynamic_stack 0
		.amdhsa_system_sgpr_private_segment_wavefront_offset 0
		.amdhsa_system_sgpr_workgroup_id_x 1
		.amdhsa_system_sgpr_workgroup_id_y 0
		.amdhsa_system_sgpr_workgroup_id_z 0
		.amdhsa_system_sgpr_workgroup_info 0
		.amdhsa_system_vgpr_workitem_id 0
		.amdhsa_next_free_vgpr 59
		.amdhsa_next_free_sgpr 11
		.amdhsa_reserve_vcc 1
		.amdhsa_reserve_flat_scratch 0
		.amdhsa_float_round_mode_32 0
		.amdhsa_float_round_mode_16_64 0
		.amdhsa_float_denorm_mode_32 3
		.amdhsa_float_denorm_mode_16_64 3
		.amdhsa_dx10_clamp 1
		.amdhsa_ieee_mode 1
		.amdhsa_fp16_overflow 0
		.amdhsa_workgroup_processor_mode 1
		.amdhsa_memory_ordered 1
		.amdhsa_forward_progress 1
		.amdhsa_shared_vgpr_count 0
		.amdhsa_exception_fp_ieee_invalid_op 0
		.amdhsa_exception_fp_denorm_src 0
		.amdhsa_exception_fp_ieee_div_zero 0
		.amdhsa_exception_fp_ieee_overflow 0
		.amdhsa_exception_fp_ieee_underflow 0
		.amdhsa_exception_fp_ieee_inexact 0
		.amdhsa_exception_int_div_zero 0
	.end_amdhsa_kernel
	.section	.text._Z14rdwdot2_kernelIfEvPKT_S2_PS0_S0_S2_,"axG",@progbits,_Z14rdwdot2_kernelIfEvPKT_S2_PS0_S0_S2_,comdat
.Lfunc_end20:
	.size	_Z14rdwdot2_kernelIfEvPKT_S2_PS0_S0_S2_, .Lfunc_end20-_Z14rdwdot2_kernelIfEvPKT_S2_PS0_S0_S2_
                                        ; -- End function
	.set _Z14rdwdot2_kernelIfEvPKT_S2_PS0_S0_S2_.num_vgpr, 59
	.set _Z14rdwdot2_kernelIfEvPKT_S2_PS0_S0_S2_.num_agpr, 0
	.set _Z14rdwdot2_kernelIfEvPKT_S2_PS0_S0_S2_.numbered_sgpr, 11
	.set _Z14rdwdot2_kernelIfEvPKT_S2_PS0_S0_S2_.num_named_barrier, 0
	.set _Z14rdwdot2_kernelIfEvPKT_S2_PS0_S0_S2_.private_seg_size, 0
	.set _Z14rdwdot2_kernelIfEvPKT_S2_PS0_S0_S2_.uses_vcc, 1
	.set _Z14rdwdot2_kernelIfEvPKT_S2_PS0_S0_S2_.uses_flat_scratch, 0
	.set _Z14rdwdot2_kernelIfEvPKT_S2_PS0_S0_S2_.has_dyn_sized_stack, 0
	.set _Z14rdwdot2_kernelIfEvPKT_S2_PS0_S0_S2_.has_recursion, 0
	.set _Z14rdwdot2_kernelIfEvPKT_S2_PS0_S0_S2_.has_indirect_call, 0
	.section	.AMDGPU.csdata,"",@progbits
; Kernel info:
; codeLenInByte = 2048
; TotalNumSgprs: 13
; NumVgprs: 59
; ScratchSize: 0
; MemoryBound: 0
; FloatMode: 240
; IeeeMode: 1
; LDSByteSize: 0 bytes/workgroup (compile time only)
; SGPRBlocks: 0
; VGPRBlocks: 7
; NumSGPRsForWavesPerEU: 13
; NumVGPRsForWavesPerEU: 59
; Occupancy: 16
; WaveLimiterHint : 0
; COMPUTE_PGM_RSRC2:SCRATCH_EN: 0
; COMPUTE_PGM_RSRC2:USER_SGPR: 6
; COMPUTE_PGM_RSRC2:TRAP_HANDLER: 0
; COMPUTE_PGM_RSRC2:TGID_X_EN: 1
; COMPUTE_PGM_RSRC2:TGID_Y_EN: 0
; COMPUTE_PGM_RSRC2:TGID_Z_EN: 0
; COMPUTE_PGM_RSRC2:TIDIG_COMP_CNT: 0
	.section	.text._Z14rdwdot3_kernelIfEvPKT_S2_PS0_S0_S2_,"axG",@progbits,_Z14rdwdot3_kernelIfEvPKT_S2_PS0_S0_S2_,comdat
	.protected	_Z14rdwdot3_kernelIfEvPKT_S2_PS0_S0_S2_ ; -- Begin function _Z14rdwdot3_kernelIfEvPKT_S2_PS0_S0_S2_
	.globl	_Z14rdwdot3_kernelIfEvPKT_S2_PS0_S0_S2_
	.p2align	8
	.type	_Z14rdwdot3_kernelIfEvPKT_S2_PS0_S0_S2_,@function
_Z14rdwdot3_kernelIfEvPKT_S2_PS0_S0_S2_: ; @_Z14rdwdot3_kernelIfEvPKT_S2_PS0_S0_S2_
; %bb.0:
	s_clause 0x5
	s_load_dwordx4 s[0:3], s[4:5], 0x0
	s_load_dwordx2 s[8:9], s[4:5], 0x10
	s_load_dword s14, s[4:5], 0x18
	s_load_dwordx2 s[12:13], s[4:5], 0x20
	s_load_dword s15, s[4:5], 0x28
	s_load_dword s4, s[4:5], 0x34
	v_mov_b32_e32 v1, 0
	s_waitcnt lgkmcnt(0)
	s_and_b32 s4, s4, 0xffff
	s_mul_i32 s15, s15, s4
	s_mul_i32 s6, s6, s4
	;; [unrolled: 1-line block ×3, first 2 shown]
	s_lshl_b32 s4, s15, 3
	v_add3_u32 v0, s5, s6, v0
	s_mul_i32 s21, s15, 6
	s_lshl_b32 s22, s15, 2
	s_mul_i32 s19, s15, 12
	s_lshl_b32 s16, s15, 1
	v_lshlrev_b64 v[2:3], 2, v[0:1]
	v_add_nc_u32_e32 v0, s4, v0
	s_mul_i32 s20, s15, 3
	s_mul_i32 s18, s15, 39
	;; [unrolled: 1-line block ×3, first 2 shown]
	v_add_co_u32 v4, vcc_lo, s0, v2
	v_add_co_ci_u32_e64 v5, null, s1, v3, vcc_lo
	v_add_co_u32 v2, vcc_lo, s2, v2
	v_add_co_ci_u32_e64 v3, null, s3, v3, vcc_lo
	global_load_dword v4, v[4:5], off
	global_load_dword v2, v[2:3], off
	s_waitcnt vmcnt(0)
	v_sub_f32_e32 v6, v4, v2
	v_lshlrev_b64 v[2:3], 2, v[0:1]
	v_add_co_u32 v4, vcc_lo, s0, v2
	v_add_co_ci_u32_e64 v5, null, s1, v3, vcc_lo
	v_add_co_u32 v2, vcc_lo, s2, v2
	v_add_co_ci_u32_e64 v3, null, s3, v3, vcc_lo
	global_load_dword v4, v[4:5], off
	global_load_dword v2, v[2:3], off
	s_waitcnt vmcnt(0)
	v_sub_f32_e32 v2, v4, v2
	v_mad_u64_u32 v[3:4], null, 0xffffffa5, s15, v[0:1]
	v_mov_b32_e32 v4, v1
	v_sub_f32_e32 v2, v6, v2
	v_lshlrev_b64 v[4:5], 2, v[3:4]
	v_add_co_u32 v6, vcc_lo, s0, v4
	v_add_co_ci_u32_e64 v7, null, s1, v5, vcc_lo
	v_add_co_u32 v4, vcc_lo, s2, v4
	v_add_co_ci_u32_e64 v5, null, s3, v5, vcc_lo
	global_load_dword v0, v[6:7], off
	global_load_dword v4, v[4:5], off
	s_waitcnt vmcnt(0)
	v_sub_f32_e32 v7, v0, v4
	v_add_nc_u32_e32 v0, s21, v3
	v_lshlrev_b64 v[3:4], 2, v[0:1]
	v_add_nc_u32_e32 v0, s22, v0
	v_add_co_u32 v5, vcc_lo, s0, v3
	v_add_co_ci_u32_e64 v6, null, s1, v4, vcc_lo
	v_add_co_u32 v3, vcc_lo, s2, v3
	v_add_co_ci_u32_e64 v4, null, s3, v4, vcc_lo
	global_load_dword v5, v[5:6], off
	global_load_dword v3, v[3:4], off
	s_waitcnt vmcnt(0)
	v_sub_f32_e32 v3, v5, v3
	v_add_f32_e32 v7, v7, v3
	v_lshlrev_b64 v[3:4], 2, v[0:1]
	v_add_nc_u32_e32 v0, s19, v0
	v_add_co_u32 v5, vcc_lo, s0, v3
	v_add_co_ci_u32_e64 v6, null, s1, v4, vcc_lo
	v_add_co_u32 v3, vcc_lo, s2, v3
	v_add_co_ci_u32_e64 v4, null, s3, v4, vcc_lo
	global_load_dword v5, v[5:6], off
	global_load_dword v3, v[3:4], off
	s_waitcnt vmcnt(0)
	v_sub_f32_e32 v3, v5, v3
	v_add_f32_e32 v7, v7, v3
	v_lshlrev_b64 v[3:4], 2, v[0:1]
	v_add_nc_u32_e32 v0, s16, v0
	v_add_co_u32 v5, vcc_lo, s0, v3
	v_add_co_ci_u32_e64 v6, null, s1, v4, vcc_lo
	v_add_co_u32 v3, vcc_lo, s2, v3
	v_add_co_ci_u32_e64 v4, null, s3, v4, vcc_lo
	global_load_dword v5, v[5:6], off
	global_load_dword v3, v[3:4], off
	s_waitcnt vmcnt(0)
	v_sub_f32_e32 v3, v5, v3
	v_add_f32_e32 v7, v7, v3
	v_lshlrev_b64 v[3:4], 2, v[0:1]
	v_add_nc_u32_e32 v0, s4, v0
	s_mul_i32 s4, s15, 7
	v_add_co_u32 v5, vcc_lo, s0, v3
	v_add_co_ci_u32_e64 v6, null, s1, v4, vcc_lo
	v_add_co_u32 v3, vcc_lo, s2, v3
	v_add_co_ci_u32_e64 v4, null, s3, v4, vcc_lo
	global_load_dword v5, v[5:6], off
	global_load_dword v3, v[3:4], off
	s_waitcnt vmcnt(0)
	v_sub_f32_e32 v3, v5, v3
	v_add_f32_e32 v7, v7, v3
	v_lshlrev_b64 v[3:4], 2, v[0:1]
	v_add_nc_u32_e32 v0, s4, v0
	v_add_co_u32 v5, vcc_lo, s0, v3
	v_add_co_ci_u32_e64 v6, null, s1, v4, vcc_lo
	v_add_co_u32 v3, vcc_lo, s2, v3
	v_add_co_ci_u32_e64 v4, null, s3, v4, vcc_lo
	global_load_dword v5, v[5:6], off
	global_load_dword v3, v[3:4], off
	s_waitcnt vmcnt(0)
	v_sub_f32_e32 v3, v5, v3
	v_add_f32_e32 v7, v7, v3
	v_lshlrev_b64 v[3:4], 2, v[0:1]
	v_add_nc_u32_e32 v0, s15, v0
	;; [unrolled: 11-line block ×3, first 2 shown]
	v_add_co_u32 v5, vcc_lo, s0, v3
	v_add_co_ci_u32_e64 v6, null, s1, v4, vcc_lo
	v_add_co_u32 v3, vcc_lo, s2, v3
	v_add_co_ci_u32_e64 v4, null, s3, v4, vcc_lo
	global_load_dword v5, v[5:6], off
	global_load_dword v3, v[3:4], off
	s_waitcnt vmcnt(0)
	v_sub_f32_e32 v3, v5, v3
	v_sub_f32_e32 v7, v7, v3
	v_lshlrev_b64 v[3:4], 2, v[0:1]
	v_add_nc_u32_e32 v0, s15, v0
	v_add_co_u32 v5, vcc_lo, s0, v3
	v_add_co_ci_u32_e64 v6, null, s1, v4, vcc_lo
	v_add_co_u32 v3, vcc_lo, s2, v3
	v_add_co_ci_u32_e64 v4, null, s3, v4, vcc_lo
	global_load_dword v5, v[5:6], off
	global_load_dword v3, v[3:4], off
	s_waitcnt vmcnt(0)
	v_sub_f32_e32 v3, v5, v3
	v_sub_f32_e32 v7, v7, v3
	v_lshlrev_b64 v[3:4], 2, v[0:1]
	v_add_nc_u32_e32 v0, s15, v0
	;; [unrolled: 11-line block ×7, first 2 shown]
	v_add_co_u32 v10, vcc_lo, s0, v3
	v_add_co_ci_u32_e64 v11, null, s1, v4, vcc_lo
	v_add_co_u32 v3, vcc_lo, s2, v3
	v_add_co_ci_u32_e64 v4, null, s3, v4, vcc_lo
	global_load_dword v10, v[10:11], off
	global_load_dword v3, v[3:4], off
	s_waitcnt vmcnt(0)
	v_sub_f32_e32 v3, v10, v3
	v_add_f32_e32 v5, v5, v3
	v_lshlrev_b64 v[3:4], 2, v[0:1]
	v_add_nc_u32_e32 v0, s4, v0
	v_add_co_u32 v10, vcc_lo, s0, v3
	v_add_co_ci_u32_e64 v11, null, s1, v4, vcc_lo
	v_add_co_u32 v3, vcc_lo, s2, v3
	v_add_co_ci_u32_e64 v4, null, s3, v4, vcc_lo
	global_load_dword v10, v[10:11], off
	global_load_dword v3, v[3:4], off
	s_waitcnt vmcnt(0)
	v_sub_f32_e32 v3, v10, v3
	v_add_f32_e32 v5, v5, v3
	v_lshlrev_b64 v[3:4], 2, v[0:1]
	v_add_nc_u32_e32 v0, s21, v0
	v_add_co_u32 v10, vcc_lo, s0, v3
	v_add_co_ci_u32_e64 v11, null, s1, v4, vcc_lo
	v_add_co_u32 v3, vcc_lo, s2, v3
	v_add_co_ci_u32_e64 v4, null, s3, v4, vcc_lo
	global_load_dword v10, v[10:11], off
	global_load_dword v3, v[3:4], off
	s_waitcnt vmcnt(0)
	v_sub_f32_e32 v3, v10, v3
	v_sub_f32_e32 v5, v5, v3
	v_lshlrev_b64 v[3:4], 2, v[0:1]
	v_add_nc_u32_e32 v0, s20, v0
	v_add_co_u32 v10, vcc_lo, s0, v3
	v_add_co_ci_u32_e64 v11, null, s1, v4, vcc_lo
	v_add_co_u32 v3, vcc_lo, s2, v3
	v_add_co_ci_u32_e64 v4, null, s3, v4, vcc_lo
	global_load_dword v10, v[10:11], off
	global_load_dword v3, v[3:4], off
	s_waitcnt vmcnt(0)
	v_sub_f32_e32 v3, v10, v3
	v_add_f32_e32 v5, v5, v3
	v_lshlrev_b64 v[3:4], 2, v[0:1]
	v_add_nc_u32_e32 v0, s15, v0
	v_add_co_u32 v10, vcc_lo, s0, v3
	v_add_co_ci_u32_e64 v11, null, s1, v4, vcc_lo
	v_add_co_u32 v3, vcc_lo, s2, v3
	v_add_co_ci_u32_e64 v4, null, s3, v4, vcc_lo
	global_load_dword v10, v[10:11], off
	global_load_dword v3, v[3:4], off
	s_waitcnt vmcnt(0)
	v_sub_f32_e32 v3, v10, v3
	v_add_f32_e32 v5, v5, v3
	;; [unrolled: 11-line block ×4, first 2 shown]
	v_lshlrev_b64 v[3:4], 2, v[0:1]
	v_add_co_u32 v10, vcc_lo, s0, v3
	v_add_co_ci_u32_e64 v11, null, s1, v4, vcc_lo
	v_add_co_u32 v3, vcc_lo, s2, v3
	v_add_co_ci_u32_e64 v4, null, s3, v4, vcc_lo
	global_load_dword v10, v[10:11], off
	global_load_dword v3, v[3:4], off
	s_waitcnt vmcnt(0)
	v_sub_f32_e32 v3, v10, v3
	v_add_f32_e32 v12, v5, v3
	v_mad_u64_u32 v[3:4], null, s15, 14, v[0:1]
	v_mov_b32_e32 v4, v1
	v_lshlrev_b64 v[4:5], 2, v[3:4]
	v_add_co_u32 v10, vcc_lo, s0, v4
	v_add_co_ci_u32_e64 v11, null, s1, v5, vcc_lo
	v_add_co_u32 v4, vcc_lo, s2, v4
	v_add_co_ci_u32_e64 v5, null, s3, v5, vcc_lo
	global_load_dword v0, v[10:11], off
	global_load_dword v4, v[4:5], off
	s_waitcnt vmcnt(0)
	v_sub_f32_e32 v0, v0, v4
	v_add_f32_e32 v5, v12, v0
	v_add_nc_u32_e32 v0, s21, v3
	v_lshlrev_b64 v[3:4], 2, v[0:1]
	v_add_nc_u32_e32 v0, s19, v0
	v_add_co_u32 v10, vcc_lo, s0, v3
	v_add_co_ci_u32_e64 v11, null, s1, v4, vcc_lo
	v_add_co_u32 v3, vcc_lo, s2, v3
	v_add_co_ci_u32_e64 v4, null, s3, v4, vcc_lo
	global_load_dword v10, v[10:11], off
	global_load_dword v3, v[3:4], off
	s_waitcnt vmcnt(0)
	v_sub_f32_e32 v3, v10, v3
	v_add_f32_e32 v12, v5, v3
	v_lshlrev_b64 v[4:5], 2, v[0:1]
	v_add_nc_u32_e32 v0, s17, v0
	v_add_co_u32 v10, vcc_lo, s0, v4
	v_add_co_ci_u32_e64 v11, null, s1, v5, vcc_lo
	v_add_co_u32 v4, vcc_lo, s2, v4
	v_add_co_ci_u32_e64 v5, null, s3, v5, vcc_lo
	global_load_dword v10, v[10:11], off
	global_load_dword v4, v[4:5], off
	s_waitcnt vmcnt(0)
	v_sub_f32_e32 v4, v10, v4
	v_add_f32_e32 v12, v12, v4
	v_lshlrev_b64 v[4:5], 2, v[0:1]
	v_add_co_u32 v10, vcc_lo, s0, v4
	v_add_co_ci_u32_e64 v11, null, s1, v5, vcc_lo
	v_add_co_u32 v4, vcc_lo, s2, v4
	v_add_co_ci_u32_e64 v5, null, s3, v5, vcc_lo
	global_load_dword v10, v[10:11], off
	global_load_dword v4, v[4:5], off
	s_waitcnt vmcnt(0)
	v_sub_f32_e32 v4, v10, v4
	v_add_f32_e32 v14, v12, v4
	v_mad_u64_u32 v[4:5], null, s15, 11, v[0:1]
	v_mov_b32_e32 v5, v1
	v_lshlrev_b64 v[10:11], 2, v[4:5]
	v_add_co_u32 v12, vcc_lo, s0, v10
	v_add_co_ci_u32_e64 v13, null, s1, v11, vcc_lo
	v_add_co_u32 v10, vcc_lo, s2, v10
	v_add_co_ci_u32_e64 v11, null, s3, v11, vcc_lo
	global_load_dword v0, v[12:13], off
	global_load_dword v5, v[10:11], off
	s_waitcnt vmcnt(0)
	v_sub_f32_e32 v0, v0, v5
	v_mad_u64_u32 v[4:5], null, s15, 13, v[4:5]
	v_mov_b32_e32 v5, v1
	v_add_f32_e32 v0, v14, v0
	v_lshlrev_b64 v[10:11], 2, v[4:5]
	v_add_co_u32 v12, vcc_lo, s0, v10
	v_add_co_ci_u32_e64 v13, null, s1, v11, vcc_lo
	v_add_co_u32 v10, vcc_lo, s2, v10
	v_add_co_ci_u32_e64 v11, null, s3, v11, vcc_lo
	global_load_dword v5, v[12:13], off
	global_load_dword v10, v[10:11], off
	s_waitcnt vmcnt(0)
	v_sub_f32_e32 v5, v5, v10
	v_add_f32_e32 v12, v0, v5
	v_add_nc_u32_e32 v0, s20, v4
	v_lshlrev_b64 v[4:5], 2, v[0:1]
	v_add_co_u32 v10, vcc_lo, s0, v4
	v_add_co_ci_u32_e64 v11, null, s1, v5, vcc_lo
	v_add_co_u32 v4, vcc_lo, s2, v4
	v_add_co_ci_u32_e64 v5, null, s3, v5, vcc_lo
	global_load_dword v10, v[10:11], off
	global_load_dword v4, v[4:5], off
	s_clause 0x2
	s_load_dwordx4 s[4:7], s[12:13], 0x30
	s_load_dwordx2 s[10:11], s[12:13], 0x40
	s_load_dword s12, s[12:13], 0x48
	s_waitcnt vmcnt(0)
	v_sub_f32_e32 v4, v10, v4
	v_add_f32_e32 v4, v12, v4
	v_mul_f32_e32 v4, s14, v4
	s_waitcnt lgkmcnt(0)
	v_mul_f32_e32 v12, s4, v4
	v_mad_u64_u32 v[4:5], null, 0xffffff41, s15, v[0:1]
	v_mov_b32_e32 v5, v1
	s_mul_i32 s4, s15, 10
	v_lshlrev_b64 v[10:11], 2, v[4:5]
	v_mad_u64_u32 v[4:5], null, s15, 44, v[4:5]
	v_mov_b32_e32 v5, v1
	v_add_co_u32 v10, vcc_lo, s8, v10
	v_add_co_ci_u32_e64 v11, null, s9, v11, vcc_lo
	global_store_dword v[10:11], v12, off
	v_lshlrev_b64 v[10:11], 2, v[4:5]
	v_add_co_u32 v12, vcc_lo, s0, v10
	v_add_co_ci_u32_e64 v13, null, s1, v11, vcc_lo
	v_add_co_u32 v10, vcc_lo, s2, v10
	v_add_co_ci_u32_e64 v11, null, s3, v11, vcc_lo
	global_load_dword v0, v[12:13], off
	global_load_dword v5, v[10:11], off
	s_waitcnt vmcnt(0)
	v_sub_f32_e32 v12, v0, v5
	v_add_nc_u32_e32 v0, s15, v4
	v_lshlrev_b64 v[4:5], 2, v[0:1]
	v_add_co_u32 v10, vcc_lo, s0, v4
	v_add_co_ci_u32_e64 v11, null, s1, v5, vcc_lo
	v_add_co_u32 v4, vcc_lo, s2, v4
	v_add_co_ci_u32_e64 v5, null, s3, v5, vcc_lo
	global_load_dword v10, v[10:11], off
	global_load_dword v4, v[4:5], off
	s_waitcnt vmcnt(0)
	v_sub_f32_e32 v4, v10, v4
	v_add_f32_e32 v12, v12, v4
	v_mad_u64_u32 v[4:5], null, s15, 53, v[0:1]
	v_mov_b32_e32 v5, v1
	v_lshlrev_b64 v[10:11], 2, v[4:5]
	v_add_co_u32 v14, vcc_lo, s0, v10
	v_add_co_ci_u32_e64 v15, null, s1, v11, vcc_lo
	v_add_co_u32 v16, vcc_lo, s2, v10
	v_add_co_ci_u32_e64 v17, null, s3, v11, vcc_lo
	global_load_dword v0, v[14:15], off
	global_load_dword v5, v[16:17], off
	s_waitcnt vmcnt(0)
	v_sub_f32_e32 v0, v0, v5
	v_add_f32_e32 v10, v12, v0
	v_add_nc_u32_e32 v0, s16, v4
	v_lshlrev_b64 v[4:5], 2, v[0:1]
	v_add_nc_u32_e32 v0, s16, v0
	v_add_co_u32 v18, vcc_lo, s0, v4
	v_add_co_ci_u32_e64 v19, null, s1, v5, vcc_lo
	v_add_co_u32 v20, vcc_lo, s2, v4
	v_add_co_ci_u32_e64 v21, null, s3, v5, vcc_lo
	global_load_dword v11, v[18:19], off
	global_load_dword v4, v[20:21], off
	s_waitcnt vmcnt(0)
	v_sub_f32_e32 v4, v11, v4
	v_add_f32_e32 v4, v10, v4
	v_sub_f32_e32 v2, v4, v2
	v_lshlrev_b64 v[4:5], 2, v[0:1]
	v_add_nc_u32_e32 v0, s15, v0
	v_add_co_u32 v10, vcc_lo, s0, v4
	v_add_co_ci_u32_e64 v11, null, s1, v5, vcc_lo
	v_add_co_u32 v4, vcc_lo, s2, v4
	v_add_co_ci_u32_e64 v5, null, s3, v5, vcc_lo
	global_load_dword v10, v[10:11], off
	global_load_dword v4, v[4:5], off
	s_waitcnt vmcnt(0)
	v_sub_f32_e32 v4, v10, v4
	v_add_f32_e32 v2, v2, v4
	v_lshlrev_b64 v[4:5], 2, v[0:1]
	v_add_nc_u32_e32 v0, s15, v0
	v_add_co_u32 v22, vcc_lo, s0, v4
	v_add_co_ci_u32_e64 v23, null, s1, v5, vcc_lo
	v_add_co_u32 v24, vcc_lo, s2, v4
	v_add_co_ci_u32_e64 v25, null, s3, v5, vcc_lo
	global_load_dword v10, v[22:23], off
	global_load_dword v4, v[24:25], off
	s_waitcnt vmcnt(0)
	v_sub_f32_e32 v4, v10, v4
	v_sub_f32_e32 v2, v2, v4
	v_lshlrev_b64 v[4:5], 2, v[0:1]
	v_add_nc_u32_e32 v0, s15, v0
	v_add_co_u32 v10, vcc_lo, s0, v4
	v_add_co_ci_u32_e64 v11, null, s1, v5, vcc_lo
	v_add_co_u32 v4, vcc_lo, s2, v4
	v_add_co_ci_u32_e64 v5, null, s3, v5, vcc_lo
	global_load_dword v10, v[10:11], off
	global_load_dword v4, v[4:5], off
	s_waitcnt vmcnt(0)
	v_sub_f32_e32 v4, v10, v4
	v_sub_f32_e32 v2, v2, v4
	;; [unrolled: 11-line block ×6, first 2 shown]
	v_lshlrev_b64 v[4:5], 2, v[0:1]
	v_add_nc_u32_e32 v0, s22, v0
	v_add_co_u32 v26, vcc_lo, s0, v4
	v_add_co_ci_u32_e64 v27, null, s1, v5, vcc_lo
	v_add_co_u32 v4, vcc_lo, s2, v4
	v_add_co_ci_u32_e64 v5, null, s3, v5, vcc_lo
	global_load_dword v26, v[26:27], off
	global_load_dword v4, v[4:5], off
	s_waitcnt vmcnt(0)
	v_sub_f32_e32 v4, v26, v4
	v_add_f32_e32 v2, v2, v4
	v_lshlrev_b64 v[4:5], 2, v[0:1]
	v_add_nc_u32_e32 v0, s15, v0
	v_add_co_u32 v26, vcc_lo, s0, v4
	v_add_co_ci_u32_e64 v27, null, s1, v5, vcc_lo
	v_add_co_u32 v4, vcc_lo, s2, v4
	v_add_co_ci_u32_e64 v5, null, s3, v5, vcc_lo
	global_load_dword v26, v[26:27], off
	global_load_dword v4, v[4:5], off
	s_waitcnt vmcnt(0)
	v_sub_f32_e32 v4, v26, v4
	v_add_f32_e32 v2, v2, v4
	;; [unrolled: 11-line block ×3, first 2 shown]
	v_lshlrev_b64 v[4:5], 2, v[0:1]
	v_add_co_u32 v26, vcc_lo, s0, v4
	v_add_co_ci_u32_e64 v27, null, s1, v5, vcc_lo
	v_add_co_u32 v4, vcc_lo, s2, v4
	v_add_co_ci_u32_e64 v5, null, s3, v5, vcc_lo
	global_load_dword v26, v[26:27], off
	global_load_dword v4, v[4:5], off
	s_waitcnt vmcnt(0)
	v_sub_f32_e32 v4, v26, v4
	v_add_f32_e32 v2, v2, v4
	v_mad_u64_u32 v[4:5], null, 0xffffff7e, s15, v[0:1]
	v_mov_b32_e32 v5, v1
	v_mul_f32_e32 v2, s14, v2
	v_lshlrev_b64 v[26:27], 2, v[4:5]
	v_mul_f32_e32 v2, s5, v2
	s_mul_i32 s5, s15, 0x4d
	v_add_nc_u32_e32 v0, s5, v4
	v_add_co_u32 v26, vcc_lo, s8, v26
	v_add_co_ci_u32_e64 v27, null, s9, v27, vcc_lo
	v_lshlrev_b64 v[4:5], 2, v[0:1]
	v_add_nc_u32_e32 v0, s15, v0
	global_store_dword v[26:27], v2, off
	v_add_co_u32 v26, vcc_lo, s0, v4
	v_add_co_ci_u32_e64 v27, null, s1, v5, vcc_lo
	v_add_co_u32 v4, vcc_lo, s2, v4
	v_add_co_ci_u32_e64 v5, null, s3, v5, vcc_lo
	global_load_dword v2, v[26:27], off
	global_load_dword v4, v[4:5], off
	s_waitcnt vmcnt(0)
	v_sub_f32_e32 v2, v2, v4
	v_lshlrev_b64 v[4:5], 2, v[0:1]
	v_add_nc_u32_e32 v0, s20, v0
	v_add_co_u32 v26, vcc_lo, s0, v4
	v_add_co_ci_u32_e64 v27, null, s1, v5, vcc_lo
	v_add_co_u32 v4, vcc_lo, s2, v4
	v_add_co_ci_u32_e64 v5, null, s3, v5, vcc_lo
	global_load_dword v26, v[26:27], off
	global_load_dword v4, v[4:5], off
	s_waitcnt vmcnt(0)
	v_sub_f32_e32 v4, v26, v4
	v_add_f32_e32 v2, v2, v4
	v_lshlrev_b64 v[4:5], 2, v[0:1]
	v_add_nc_u32_e32 v0, s4, v0
	v_add_co_u32 v26, vcc_lo, s0, v4
	v_add_co_ci_u32_e64 v27, null, s1, v5, vcc_lo
	v_add_co_u32 v28, vcc_lo, s2, v4
	v_add_co_ci_u32_e64 v29, null, s3, v5, vcc_lo
	global_load_dword v30, v[26:27], off
	global_load_dword v4, v[28:29], off
	s_waitcnt vmcnt(0)
	v_sub_f32_e32 v4, v30, v4
	v_add_f32_e32 v2, v2, v4
	v_lshlrev_b64 v[4:5], 2, v[0:1]
	v_add_co_u32 v30, vcc_lo, s0, v4
	v_add_co_ci_u32_e64 v31, null, s1, v5, vcc_lo
	v_add_co_u32 v4, vcc_lo, s2, v4
	v_add_co_ci_u32_e64 v5, null, s3, v5, vcc_lo
	global_load_dword v30, v[30:31], off
	global_load_dword v4, v[4:5], off
	s_waitcnt vmcnt(0)
	v_sub_f32_e32 v4, v30, v4
	v_add_f32_e32 v2, v2, v4
	v_mad_u64_u32 v[4:5], null, s15, 27, v[0:1]
	v_mov_b32_e32 v5, v1
	v_lshlrev_b64 v[30:31], 2, v[4:5]
	v_add_co_u32 v32, vcc_lo, s0, v30
	v_add_co_ci_u32_e64 v33, null, s1, v31, vcc_lo
	v_add_co_u32 v30, vcc_lo, s2, v30
	v_add_co_ci_u32_e64 v31, null, s3, v31, vcc_lo
	global_load_dword v0, v[32:33], off
	global_load_dword v5, v[30:31], off
	s_waitcnt vmcnt(0)
	v_sub_f32_e32 v0, v0, v5
	v_add_f32_e32 v2, v2, v0
	v_add_nc_u32_e32 v0, s4, v4
	s_mul_i32 s4, s15, 15
	v_lshlrev_b64 v[4:5], 2, v[0:1]
	v_add_nc_u32_e32 v0, s15, v0
	v_add_co_u32 v30, vcc_lo, s0, v4
	v_add_co_ci_u32_e64 v31, null, s1, v5, vcc_lo
	v_add_co_u32 v4, vcc_lo, s2, v4
	v_add_co_ci_u32_e64 v5, null, s3, v5, vcc_lo
	global_load_dword v30, v[30:31], off
	global_load_dword v4, v[4:5], off
	s_waitcnt vmcnt(0)
	v_sub_f32_e32 v4, v30, v4
	v_add_f32_e32 v2, v2, v4
	v_lshlrev_b64 v[4:5], 2, v[0:1]
	v_add_nc_u32_e32 v0, s19, v0
	v_add_co_u32 v30, vcc_lo, s0, v4
	v_add_co_ci_u32_e64 v31, null, s1, v5, vcc_lo
	v_add_co_u32 v4, vcc_lo, s2, v4
	v_add_co_ci_u32_e64 v5, null, s3, v5, vcc_lo
	global_load_dword v30, v[30:31], off
	global_load_dword v4, v[4:5], off
	s_waitcnt vmcnt(0)
	v_sub_f32_e32 v4, v30, v4
	v_add_f32_e32 v2, v2, v4
	v_lshlrev_b64 v[4:5], 2, v[0:1]
	v_add_nc_u32_e32 v0, s15, v0
	v_add_co_u32 v30, vcc_lo, s0, v4
	v_add_co_ci_u32_e64 v31, null, s1, v5, vcc_lo
	v_add_co_u32 v4, vcc_lo, s2, v4
	v_add_co_ci_u32_e64 v5, null, s3, v5, vcc_lo
	global_load_dword v30, v[30:31], off
	global_load_dword v4, v[4:5], off
	s_waitcnt vmcnt(0)
	v_sub_f32_e32 v4, v30, v4
	v_sub_f32_e32 v2, v2, v4
	v_lshlrev_b64 v[4:5], 2, v[0:1]
	v_add_nc_u32_e32 v0, s15, v0
	v_add_co_u32 v30, vcc_lo, s0, v4
	v_add_co_ci_u32_e64 v31, null, s1, v5, vcc_lo
	v_add_co_u32 v4, vcc_lo, s2, v4
	v_add_co_ci_u32_e64 v5, null, s3, v5, vcc_lo
	global_load_dword v30, v[30:31], off
	global_load_dword v4, v[4:5], off
	s_waitcnt vmcnt(0)
	v_sub_f32_e32 v4, v30, v4
	v_sub_f32_e32 v2, v2, v4
	;; [unrolled: 11-line block ×5, first 2 shown]
	v_sub_f32_e32 v30, v2, v3
	v_lshlrev_b64 v[2:3], 2, v[0:1]
	v_add_nc_u32_e32 v0, s15, v0
	v_add_co_u32 v4, vcc_lo, s0, v2
	v_add_co_ci_u32_e64 v5, null, s1, v3, vcc_lo
	v_add_co_u32 v2, vcc_lo, s2, v2
	v_add_co_ci_u32_e64 v3, null, s3, v3, vcc_lo
	global_load_dword v4, v[4:5], off
	global_load_dword v2, v[2:3], off
	s_waitcnt vmcnt(0)
	v_sub_f32_e32 v2, v4, v2
	v_sub_f32_e32 v30, v30, v2
	v_lshlrev_b64 v[2:3], 2, v[0:1]
	v_add_nc_u32_e32 v0, s15, v0
	v_add_co_u32 v4, vcc_lo, s0, v2
	v_add_co_ci_u32_e64 v5, null, s1, v3, vcc_lo
	v_add_co_u32 v2, vcc_lo, s2, v2
	v_add_co_ci_u32_e64 v3, null, s3, v3, vcc_lo
	global_load_dword v4, v[4:5], off
	global_load_dword v2, v[2:3], off
	s_waitcnt vmcnt(0)
	v_sub_f32_e32 v2, v4, v2
	v_lshlrev_b64 v[4:5], 2, v[0:1]
	v_add_nc_u32_e32 v0, s15, v0
	v_sub_f32_e32 v30, v30, v2
	v_add_co_u32 v2, vcc_lo, s0, v4
	v_add_co_ci_u32_e64 v3, null, s1, v5, vcc_lo
	v_add_co_u32 v4, vcc_lo, s2, v4
	v_add_co_ci_u32_e64 v5, null, s3, v5, vcc_lo
	global_load_dword v31, v[2:3], off
	global_load_dword v32, v[4:5], off
	s_waitcnt vmcnt(0)
	v_sub_f32_e32 v31, v31, v32
	v_sub_f32_e32 v34, v30, v31
	v_lshlrev_b64 v[30:31], 2, v[0:1]
	v_add_nc_u32_e32 v0, s15, v0
	v_add_co_u32 v32, vcc_lo, s0, v30
	v_add_co_ci_u32_e64 v33, null, s1, v31, vcc_lo
	v_add_co_u32 v30, vcc_lo, s2, v30
	v_add_co_ci_u32_e64 v31, null, s3, v31, vcc_lo
	global_load_dword v32, v[32:33], off
	global_load_dword v30, v[30:31], off
	s_waitcnt vmcnt(0)
	v_sub_f32_e32 v30, v32, v30
	v_sub_f32_e32 v34, v34, v30
	v_lshlrev_b64 v[30:31], 2, v[0:1]
	v_add_nc_u32_e32 v0, s15, v0
	;; [unrolled: 11-line block ×7, first 2 shown]
	v_add_co_u32 v32, vcc_lo, s0, v30
	v_add_co_ci_u32_e64 v33, null, s1, v31, vcc_lo
	v_add_co_u32 v30, vcc_lo, s2, v30
	v_add_co_ci_u32_e64 v31, null, s3, v31, vcc_lo
	global_load_dword v32, v[32:33], off
	global_load_dword v30, v[30:31], off
	s_waitcnt vmcnt(0)
	v_sub_f32_e32 v30, v32, v30
	v_add_f32_e32 v34, v34, v30
	v_lshlrev_b64 v[30:31], 2, v[0:1]
	v_add_nc_u32_e32 v0, s16, v0
	v_add_co_u32 v32, vcc_lo, s0, v30
	v_add_co_ci_u32_e64 v33, null, s1, v31, vcc_lo
	v_add_co_u32 v30, vcc_lo, s2, v30
	v_add_co_ci_u32_e64 v31, null, s3, v31, vcc_lo
	global_load_dword v32, v[32:33], off
	global_load_dword v30, v[30:31], off
	s_waitcnt vmcnt(0)
	v_sub_f32_e32 v30, v32, v30
	v_add_f32_e32 v34, v34, v30
	v_lshlrev_b64 v[30:31], 2, v[0:1]
	v_add_nc_u32_e32 v0, s4, v0
	v_add_co_u32 v32, vcc_lo, s0, v30
	v_add_co_ci_u32_e64 v33, null, s1, v31, vcc_lo
	v_add_co_u32 v30, vcc_lo, s2, v30
	v_add_co_ci_u32_e64 v31, null, s3, v31, vcc_lo
	global_load_dword v32, v[32:33], off
	global_load_dword v30, v[30:31], off
	s_waitcnt vmcnt(0)
	v_sub_f32_e32 v30, v32, v30
	v_add_f32_e32 v34, v34, v30
	v_lshlrev_b64 v[30:31], 2, v[0:1]
	v_add_co_u32 v32, vcc_lo, s0, v30
	v_add_co_ci_u32_e64 v33, null, s1, v31, vcc_lo
	v_add_co_u32 v30, vcc_lo, s2, v30
	v_add_co_ci_u32_e64 v31, null, s3, v31, vcc_lo
	global_load_dword v32, v[32:33], off
	global_load_dword v30, v[30:31], off
	s_waitcnt vmcnt(0)
	v_sub_f32_e32 v30, v32, v30
	v_add_f32_e32 v30, v34, v30
	v_mul_f32_e32 v30, s14, v30
	v_mul_f32_e32 v34, s6, v30
	v_mad_u64_u32 v[30:31], null, 0xffffff50, s15, v[0:1]
	v_mov_b32_e32 v31, v1
	v_lshlrev_b64 v[32:33], 2, v[30:31]
	v_mad_u64_u32 v[30:31], null, 0x4e, s15, v[30:31]
	v_mov_b32_e32 v31, v1
	v_add_co_u32 v32, vcc_lo, s8, v32
	v_add_co_ci_u32_e64 v33, null, s9, v33, vcc_lo
	global_store_dword v[32:33], v34, off
	v_lshlrev_b64 v[31:32], 2, v[30:31]
	v_add_co_u32 v33, vcc_lo, s0, v31
	v_add_co_ci_u32_e64 v34, null, s1, v32, vcc_lo
	v_add_co_u32 v31, vcc_lo, s2, v31
	v_add_co_ci_u32_e64 v32, null, s3, v32, vcc_lo
	global_load_dword v0, v[33:34], off
	global_load_dword v31, v[31:32], off
	s_waitcnt vmcnt(0)
	v_sub_f32_e32 v34, v0, v31
	v_add_nc_u32_e32 v0, s5, v30
	v_lshlrev_b64 v[30:31], 2, v[0:1]
	v_add_nc_u32_e32 v0, s17, v0
	v_add_co_u32 v32, vcc_lo, s0, v30
	v_add_co_ci_u32_e64 v33, null, s1, v31, vcc_lo
	v_add_co_u32 v30, vcc_lo, s2, v30
	v_add_co_ci_u32_e64 v31, null, s3, v31, vcc_lo
	global_load_dword v32, v[32:33], off
	global_load_dword v30, v[30:31], off
	s_waitcnt vmcnt(0)
	v_sub_f32_e32 v30, v32, v30
	v_add_f32_e32 v34, v34, v30
	v_lshlrev_b64 v[30:31], 2, v[0:1]
	v_add_nc_u32_e32 v0, s20, v0
	v_add_co_u32 v32, vcc_lo, s0, v30
	v_add_co_ci_u32_e64 v33, null, s1, v31, vcc_lo
	v_add_co_u32 v30, vcc_lo, s2, v30
	v_add_co_ci_u32_e64 v31, null, s3, v31, vcc_lo
	global_load_dword v32, v[32:33], off
	global_load_dword v30, v[30:31], off
	s_waitcnt vmcnt(0)
	v_sub_f32_e32 v30, v32, v30
	v_add_f32_e32 v34, v34, v30
	;; [unrolled: 11-line block ×4, first 2 shown]
	v_lshlrev_b64 v[30:31], 2, v[0:1]
	v_add_nc_u32_e32 v0, s15, v0
	v_add_co_u32 v32, vcc_lo, s0, v30
	v_add_co_ci_u32_e64 v33, null, s1, v31, vcc_lo
	v_add_co_u32 v30, vcc_lo, s2, v30
	v_add_co_ci_u32_e64 v31, null, s3, v31, vcc_lo
	global_load_dword v32, v[32:33], off
	global_load_dword v30, v[30:31], off
	s_waitcnt vmcnt(0)
	v_sub_f32_e32 v30, v32, v30
	v_sub_f32_e32 v34, v34, v30
	v_lshlrev_b64 v[30:31], 2, v[0:1]
	v_add_nc_u32_e32 v0, s15, v0
	v_add_co_u32 v32, vcc_lo, s0, v30
	v_add_co_ci_u32_e64 v33, null, s1, v31, vcc_lo
	v_add_co_u32 v30, vcc_lo, s2, v30
	v_add_co_ci_u32_e64 v31, null, s3, v31, vcc_lo
	global_load_dword v32, v[32:33], off
	global_load_dword v30, v[30:31], off
	s_waitcnt vmcnt(0)
	v_sub_f32_e32 v30, v32, v30
	v_sub_f32_e32 v34, v34, v30
	;; [unrolled: 11-line block ×4, first 2 shown]
	v_lshlrev_b64 v[30:31], 2, v[0:1]
	v_add_co_u32 v32, vcc_lo, s0, v30
	v_add_co_ci_u32_e64 v33, null, s1, v31, vcc_lo
	v_add_co_u32 v30, vcc_lo, s2, v30
	v_add_co_ci_u32_e64 v31, null, s3, v31, vcc_lo
	global_load_dword v32, v[32:33], off
	global_load_dword v30, v[30:31], off
	s_waitcnt vmcnt(0)
	v_sub_f32_e32 v30, v32, v30
	v_sub_f32_e32 v30, v34, v30
	v_mul_f32_e32 v30, s14, v30
	v_mul_f32_e32 v34, s7, v30
	v_mad_u64_u32 v[30:31], null, 0xffffff58, s15, v[0:1]
	v_mov_b32_e32 v31, v1
	v_lshlrev_b64 v[32:33], 2, v[30:31]
	v_mad_u64_u32 v[30:31], null, s15, 23, v[30:31]
	v_mov_b32_e32 v31, v1
	v_add_co_u32 v32, vcc_lo, s8, v32
	v_add_co_ci_u32_e64 v33, null, s9, v33, vcc_lo
	global_store_dword v[32:33], v34, off
	v_lshlrev_b64 v[31:32], 2, v[30:31]
	v_add_co_u32 v33, vcc_lo, s0, v31
	v_add_co_ci_u32_e64 v34, null, s1, v32, vcc_lo
	v_add_co_u32 v31, vcc_lo, s2, v31
	v_add_co_ci_u32_e64 v32, null, s3, v32, vcc_lo
	global_load_dword v0, v[33:34], off
	global_load_dword v31, v[31:32], off
	;; [unrolled: 1-line block ×4, first 2 shown]
	s_waitcnt vmcnt(2)
	v_sub_f32_e32 v0, v0, v31
	s_waitcnt vmcnt(0)
	v_sub_f32_e32 v26, v26, v27
	v_sub_f32_e32 v0, v0, v26
	v_mad_u64_u32 v[26:27], null, 0x45, s15, v[30:31]
	v_mov_b32_e32 v27, v1
	v_lshlrev_b64 v[27:28], 2, v[26:27]
	v_add_co_u32 v29, vcc_lo, s0, v27
	v_add_co_ci_u32_e64 v30, null, s1, v28, vcc_lo
	v_add_co_u32 v27, vcc_lo, s2, v27
	v_add_co_ci_u32_e64 v28, null, s3, v28, vcc_lo
	global_load_dword v29, v[29:30], off
	global_load_dword v27, v[27:28], off
	s_waitcnt vmcnt(0)
	v_sub_f32_e32 v27, v29, v27
	v_sub_f32_e32 v30, v0, v27
	v_add_nc_u32_e32 v0, s15, v26
	v_lshlrev_b64 v[26:27], 2, v[0:1]
	v_add_nc_u32_e32 v0, s15, v0
	v_add_co_u32 v28, vcc_lo, s0, v26
	v_add_co_ci_u32_e64 v29, null, s1, v27, vcc_lo
	v_add_co_u32 v26, vcc_lo, s2, v26
	v_add_co_ci_u32_e64 v27, null, s3, v27, vcc_lo
	global_load_dword v28, v[28:29], off
	global_load_dword v26, v[26:27], off
	s_waitcnt vmcnt(0)
	v_sub_f32_e32 v26, v28, v26
	v_sub_f32_e32 v30, v30, v26
	v_lshlrev_b64 v[26:27], 2, v[0:1]
	v_add_nc_u32_e32 v0, s16, v0
	v_add_co_u32 v28, vcc_lo, s0, v26
	v_add_co_ci_u32_e64 v29, null, s1, v27, vcc_lo
	v_add_co_u32 v26, vcc_lo, s2, v26
	v_add_co_ci_u32_e64 v27, null, s3, v27, vcc_lo
	global_load_dword v28, v[28:29], off
	global_load_dword v26, v[26:27], off
	;; [unrolled: 1-line block ×4, first 2 shown]
	s_waitcnt vmcnt(2)
	v_sub_f32_e32 v26, v28, v26
	s_waitcnt vmcnt(0)
	v_sub_f32_e32 v14, v14, v15
	v_sub_f32_e32 v26, v30, v26
	v_sub_f32_e32 v26, v26, v14
	v_lshlrev_b64 v[14:15], 2, v[0:1]
	v_add_nc_u32_e32 v0, s4, v0
	v_add_co_u32 v16, vcc_lo, s0, v14
	v_add_co_ci_u32_e64 v17, null, s1, v15, vcc_lo
	v_add_co_u32 v14, vcc_lo, s2, v14
	v_add_co_ci_u32_e64 v15, null, s3, v15, vcc_lo
	global_load_dword v16, v[16:17], off
	global_load_dword v14, v[14:15], off
	s_waitcnt vmcnt(0)
	v_sub_f32_e32 v14, v16, v14
	global_load_dword v15, v[18:19], off
	global_load_dword v16, v[20:21], off
	v_sub_f32_e32 v14, v26, v14
	s_waitcnt vmcnt(0)
	v_sub_f32_e32 v15, v15, v16
	v_sub_f32_e32 v14, v14, v15
	;; [unrolled: 1-line block ×3, first 2 shown]
	global_load_dword v15, v[22:23], off
	global_load_dword v16, v[24:25], off
	s_waitcnt vmcnt(0)
	v_sub_f32_e32 v15, v15, v16
	v_add_f32_e32 v18, v14, v15
	v_lshlrev_b64 v[14:15], 2, v[0:1]
	v_add_nc_u32_e32 v0, s16, v0
	v_add_co_u32 v16, vcc_lo, s0, v14
	v_add_co_ci_u32_e64 v17, null, s1, v15, vcc_lo
	v_add_co_u32 v14, vcc_lo, s2, v14
	v_add_co_ci_u32_e64 v15, null, s3, v15, vcc_lo
	global_load_dword v16, v[16:17], off
	global_load_dword v14, v[14:15], off
	s_waitcnt vmcnt(0)
	v_sub_f32_e32 v16, v16, v14
	v_lshlrev_b64 v[14:15], 2, v[0:1]
	v_add_nc_u32_e32 v0, s16, v0
	v_add_f32_e32 v19, v18, v16
	v_add_co_u32 v17, vcc_lo, s0, v14
	v_add_co_ci_u32_e64 v18, null, s1, v15, vcc_lo
	v_add_co_u32 v14, vcc_lo, s2, v14
	v_add_co_ci_u32_e64 v15, null, s3, v15, vcc_lo
	global_load_dword v17, v[17:18], off
	global_load_dword v14, v[14:15], off
	s_waitcnt vmcnt(0)
	v_sub_f32_e32 v15, v17, v14
	v_lshlrev_b64 v[17:18], 2, v[0:1]
	v_add_f32_e32 v21, v19, v15
	v_add_co_u32 v19, vcc_lo, s0, v17
	v_add_co_ci_u32_e64 v20, null, s1, v18, vcc_lo
	v_add_co_u32 v17, vcc_lo, s2, v17
	v_add_co_ci_u32_e64 v18, null, s3, v18, vcc_lo
	global_load_dword v14, v[19:20], off
	global_load_dword v17, v[17:18], off
	s_waitcnt vmcnt(0)
	v_sub_f32_e32 v14, v14, v17
	v_add_f32_e32 v17, v21, v14
	v_mul_f32_e32 v17, s14, v17
	v_mul_f32_e32 v20, s10, v17
	v_mad_u64_u32 v[17:18], null, 0xffffff8e, s15, v[0:1]
	v_mov_b32_e32 v18, v1
	v_lshlrev_b64 v[18:19], 2, v[17:18]
	v_add_nc_u32_e32 v0, s18, v17
	v_add_co_u32 v18, vcc_lo, s8, v18
	v_add_co_ci_u32_e64 v19, null, s9, v19, vcc_lo
	global_store_dword v[18:19], v20, off
	v_lshlrev_b64 v[17:18], 2, v[0:1]
	v_add_co_u32 v19, vcc_lo, s0, v17
	v_add_co_ci_u32_e64 v20, null, s1, v18, vcc_lo
	v_add_co_u32 v17, vcc_lo, s2, v17
	v_add_co_ci_u32_e64 v18, null, s3, v18, vcc_lo
	global_load_dword v19, v[19:20], off
	global_load_dword v17, v[17:18], off
	;; [unrolled: 1-line block ×4, first 2 shown]
	s_waitcnt vmcnt(2)
	v_sub_f32_e32 v17, v19, v17
	s_waitcnt vmcnt(0)
	v_sub_f32_e32 v6, v6, v7
	global_load_dword v7, v[10:11], off
	global_load_dword v8, v[12:13], off
	v_add_f32_e32 v6, v17, v6
	s_waitcnt vmcnt(0)
	v_sub_f32_e32 v7, v7, v8
	v_add_f32_e32 v6, v6, v7
	v_mad_u64_u32 v[7:8], null, 0x44, s15, v[0:1]
	v_mov_b32_e32 v8, v1
	v_lshlrev_b64 v[8:9], 2, v[7:8]
	v_add_co_u32 v10, vcc_lo, s0, v8
	v_add_co_ci_u32_e64 v11, null, s1, v9, vcc_lo
	v_add_co_u32 v8, vcc_lo, s2, v8
	v_add_co_ci_u32_e64 v9, null, s3, v9, vcc_lo
	global_load_dword v0, v[10:11], off
	global_load_dword v8, v[8:9], off
	s_waitcnt vmcnt(0)
	v_sub_f32_e32 v0, v0, v8
	v_add_f32_e32 v10, v6, v0
	v_add_nc_u32_e32 v0, s16, v7
	v_lshlrev_b64 v[6:7], 2, v[0:1]
	v_add_nc_u32_e32 v0, s16, v0
	v_add_co_u32 v8, vcc_lo, s0, v6
	v_add_co_ci_u32_e64 v9, null, s1, v7, vcc_lo
	v_add_co_u32 v6, vcc_lo, s2, v6
	v_add_co_ci_u32_e64 v7, null, s3, v7, vcc_lo
	global_load_dword v8, v[8:9], off
	global_load_dword v6, v[6:7], off
	s_waitcnt vmcnt(0)
	v_sub_f32_e32 v6, v8, v6
	v_sub_f32_e32 v6, v10, v6
	v_sub_f32_e32 v10, v6, v16
	v_lshlrev_b64 v[6:7], 2, v[0:1]
	v_add_nc_u32_e32 v0, s16, v0
	v_add_co_u32 v8, vcc_lo, s0, v6
	v_add_co_ci_u32_e64 v9, null, s1, v7, vcc_lo
	v_add_co_u32 v6, vcc_lo, s2, v6
	v_add_co_ci_u32_e64 v7, null, s3, v7, vcc_lo
	global_load_dword v8, v[8:9], off
	global_load_dword v6, v[6:7], off
	s_waitcnt vmcnt(0)
	v_sub_f32_e32 v6, v8, v6
	v_sub_f32_e32 v6, v10, v6
	v_sub_f32_e32 v10, v6, v15
	;; [unrolled: 12-line block ×3, first 2 shown]
	v_lshlrev_b64 v[6:7], 2, v[0:1]
	v_add_nc_u32_e32 v0, s4, v0
	v_add_co_u32 v8, vcc_lo, s0, v6
	v_add_co_ci_u32_e64 v9, null, s1, v7, vcc_lo
	v_add_co_u32 v6, vcc_lo, s2, v6
	v_add_co_ci_u32_e64 v7, null, s3, v7, vcc_lo
	global_load_dword v8, v[8:9], off
	global_load_dword v6, v[6:7], off
	s_waitcnt vmcnt(0)
	v_sub_f32_e32 v6, v8, v6
	v_add_f32_e32 v10, v10, v6
	v_lshlrev_b64 v[6:7], 2, v[0:1]
	v_add_nc_u32_e32 v0, s15, v0
	v_add_co_u32 v8, vcc_lo, s0, v6
	v_add_co_ci_u32_e64 v9, null, s1, v7, vcc_lo
	v_add_co_u32 v6, vcc_lo, s2, v6
	v_add_co_ci_u32_e64 v7, null, s3, v7, vcc_lo
	global_load_dword v8, v[8:9], off
	global_load_dword v6, v[6:7], off
	s_waitcnt vmcnt(0)
	v_sub_f32_e32 v6, v8, v6
	v_add_f32_e32 v10, v10, v6
	;; [unrolled: 11-line block ×4, first 2 shown]
	v_lshlrev_b64 v[6:7], 2, v[0:1]
	v_add_co_u32 v8, vcc_lo, s0, v6
	v_add_co_ci_u32_e64 v9, null, s1, v7, vcc_lo
	v_add_co_u32 v6, vcc_lo, s2, v6
	v_add_co_ci_u32_e64 v7, null, s3, v7, vcc_lo
	global_load_dword v8, v[8:9], off
	global_load_dword v6, v[6:7], off
	s_waitcnt vmcnt(0)
	v_sub_f32_e32 v6, v8, v6
	v_add_f32_e32 v11, v10, v6
	v_mad_u64_u32 v[6:7], null, s15, 40, v[0:1]
	v_mov_b32_e32 v7, v1
	v_lshlrev_b64 v[7:8], 2, v[6:7]
	v_add_co_u32 v9, vcc_lo, s0, v7
	v_add_co_ci_u32_e64 v10, null, s1, v8, vcc_lo
	v_add_co_u32 v7, vcc_lo, s2, v7
	v_add_co_ci_u32_e64 v8, null, s3, v8, vcc_lo
	global_load_dword v0, v[9:10], off
	global_load_dword v7, v[7:8], off
	s_waitcnt vmcnt(0)
	v_sub_f32_e32 v0, v0, v7
	v_mad_u64_u32 v[6:7], null, 0xffffff51, s15, v[6:7]
	v_mov_b32_e32 v7, v1
	v_add_f32_e32 v0, v11, v0
	v_lshlrev_b64 v[8:9], 2, v[6:7]
	v_mul_f32_e32 v0, s14, v0
	v_mad_u64_u32 v[6:7], null, 0x47, s15, v[6:7]
	v_mov_b32_e32 v7, v1
	v_add_co_u32 v8, vcc_lo, s8, v8
	v_mul_f32_e32 v0, s11, v0
	v_add_co_ci_u32_e64 v9, null, s9, v9, vcc_lo
	global_store_dword v[8:9], v0, off
	v_lshlrev_b64 v[7:8], 2, v[6:7]
	v_add_co_u32 v9, vcc_lo, s0, v7
	v_add_co_ci_u32_e64 v10, null, s1, v8, vcc_lo
	v_add_co_u32 v7, vcc_lo, s2, v7
	v_add_co_ci_u32_e64 v8, null, s3, v8, vcc_lo
	global_load_dword v0, v[9:10], off
	global_load_dword v7, v[7:8], off
	s_waitcnt vmcnt(0)
	v_sub_f32_e32 v0, v0, v7
	v_mad_u64_u32 v[6:7], null, s15, 59, v[6:7]
	v_mov_b32_e32 v7, v1
	v_lshlrev_b64 v[7:8], 2, v[6:7]
	v_add_co_u32 v9, vcc_lo, s0, v7
	v_add_co_ci_u32_e64 v10, null, s1, v8, vcc_lo
	v_add_co_u32 v7, vcc_lo, s2, v7
	v_add_co_ci_u32_e64 v8, null, s3, v8, vcc_lo
	global_load_dword v9, v[9:10], off
	global_load_dword v7, v[7:8], off
	;; [unrolled: 1-line block ×4, first 2 shown]
	s_waitcnt vmcnt(2)
	v_sub_f32_e32 v7, v9, v7
	s_waitcnt vmcnt(0)
	v_sub_f32_e32 v2, v2, v3
	v_add_f32_e32 v0, v0, v7
	v_add_f32_e32 v0, v0, v2
	v_mad_u64_u32 v[2:3], null, s15, 25, v[6:7]
	v_mov_b32_e32 v3, v1
	v_lshlrev_b64 v[4:5], 2, v[2:3]
	v_add_co_u32 v6, vcc_lo, s0, v4
	v_add_co_ci_u32_e64 v7, null, s1, v5, vcc_lo
	v_add_co_u32 v4, vcc_lo, s2, v4
	v_add_co_ci_u32_e64 v5, null, s3, v5, vcc_lo
	global_load_dword v3, v[6:7], off
	global_load_dword v4, v[4:5], off
	s_waitcnt vmcnt(0)
	v_sub_f32_e32 v3, v3, v4
	v_add_f32_e32 v0, v0, v3
	v_mad_u64_u32 v[2:3], null, 0xffffff66, s15, v[2:3]
	v_mov_b32_e32 v3, v1
	v_mul_f32_e32 v0, s14, v0
	v_mul_f32_e32 v4, s12, v0
	v_lshlrev_b64 v[0:1], 2, v[2:3]
	v_add_co_u32 v0, vcc_lo, s8, v0
	v_add_co_ci_u32_e64 v1, null, s9, v1, vcc_lo
	global_store_dword v[0:1], v4, off
	s_endpgm
	.section	.rodata,"a",@progbits
	.p2align	6, 0x0
	.amdhsa_kernel _Z14rdwdot3_kernelIfEvPKT_S2_PS0_S0_S2_
		.amdhsa_group_segment_fixed_size 0
		.amdhsa_private_segment_fixed_size 0
		.amdhsa_kernarg_size 296
		.amdhsa_user_sgpr_count 6
		.amdhsa_user_sgpr_private_segment_buffer 1
		.amdhsa_user_sgpr_dispatch_ptr 0
		.amdhsa_user_sgpr_queue_ptr 0
		.amdhsa_user_sgpr_kernarg_segment_ptr 1
		.amdhsa_user_sgpr_dispatch_id 0
		.amdhsa_user_sgpr_flat_scratch_init 0
		.amdhsa_user_sgpr_private_segment_size 0
		.amdhsa_wavefront_size32 1
		.amdhsa_uses_dynamic_stack 0
		.amdhsa_system_sgpr_private_segment_wavefront_offset 0
		.amdhsa_system_sgpr_workgroup_id_x 1
		.amdhsa_system_sgpr_workgroup_id_y 0
		.amdhsa_system_sgpr_workgroup_id_z 0
		.amdhsa_system_sgpr_workgroup_info 0
		.amdhsa_system_vgpr_workitem_id 0
		.amdhsa_next_free_vgpr 35
		.amdhsa_next_free_sgpr 23
		.amdhsa_reserve_vcc 1
		.amdhsa_reserve_flat_scratch 0
		.amdhsa_float_round_mode_32 0
		.amdhsa_float_round_mode_16_64 0
		.amdhsa_float_denorm_mode_32 3
		.amdhsa_float_denorm_mode_16_64 3
		.amdhsa_dx10_clamp 1
		.amdhsa_ieee_mode 1
		.amdhsa_fp16_overflow 0
		.amdhsa_workgroup_processor_mode 1
		.amdhsa_memory_ordered 1
		.amdhsa_forward_progress 1
		.amdhsa_shared_vgpr_count 0
		.amdhsa_exception_fp_ieee_invalid_op 0
		.amdhsa_exception_fp_denorm_src 0
		.amdhsa_exception_fp_ieee_div_zero 0
		.amdhsa_exception_fp_ieee_overflow 0
		.amdhsa_exception_fp_ieee_underflow 0
		.amdhsa_exception_fp_ieee_inexact 0
		.amdhsa_exception_int_div_zero 0
	.end_amdhsa_kernel
	.section	.text._Z14rdwdot3_kernelIfEvPKT_S2_PS0_S0_S2_,"axG",@progbits,_Z14rdwdot3_kernelIfEvPKT_S2_PS0_S0_S2_,comdat
.Lfunc_end21:
	.size	_Z14rdwdot3_kernelIfEvPKT_S2_PS0_S0_S2_, .Lfunc_end21-_Z14rdwdot3_kernelIfEvPKT_S2_PS0_S0_S2_
                                        ; -- End function
	.set _Z14rdwdot3_kernelIfEvPKT_S2_PS0_S0_S2_.num_vgpr, 35
	.set _Z14rdwdot3_kernelIfEvPKT_S2_PS0_S0_S2_.num_agpr, 0
	.set _Z14rdwdot3_kernelIfEvPKT_S2_PS0_S0_S2_.numbered_sgpr, 23
	.set _Z14rdwdot3_kernelIfEvPKT_S2_PS0_S0_S2_.num_named_barrier, 0
	.set _Z14rdwdot3_kernelIfEvPKT_S2_PS0_S0_S2_.private_seg_size, 0
	.set _Z14rdwdot3_kernelIfEvPKT_S2_PS0_S0_S2_.uses_vcc, 1
	.set _Z14rdwdot3_kernelIfEvPKT_S2_PS0_S0_S2_.uses_flat_scratch, 0
	.set _Z14rdwdot3_kernelIfEvPKT_S2_PS0_S0_S2_.has_dyn_sized_stack, 0
	.set _Z14rdwdot3_kernelIfEvPKT_S2_PS0_S0_S2_.has_recursion, 0
	.set _Z14rdwdot3_kernelIfEvPKT_S2_PS0_S0_S2_.has_indirect_call, 0
	.section	.AMDGPU.csdata,"",@progbits
; Kernel info:
; codeLenInByte = 8312
; TotalNumSgprs: 25
; NumVgprs: 35
; ScratchSize: 0
; MemoryBound: 0
; FloatMode: 240
; IeeeMode: 1
; LDSByteSize: 0 bytes/workgroup (compile time only)
; SGPRBlocks: 0
; VGPRBlocks: 4
; NumSGPRsForWavesPerEU: 25
; NumVGPRsForWavesPerEU: 35
; Occupancy: 16
; WaveLimiterHint : 0
; COMPUTE_PGM_RSRC2:SCRATCH_EN: 0
; COMPUTE_PGM_RSRC2:USER_SGPR: 6
; COMPUTE_PGM_RSRC2:TRAP_HANDLER: 0
; COMPUTE_PGM_RSRC2:TGID_X_EN: 1
; COMPUTE_PGM_RSRC2:TGID_Y_EN: 0
; COMPUTE_PGM_RSRC2:TGID_Z_EN: 0
; COMPUTE_PGM_RSRC2:TIDIG_COMP_CNT: 0
	.section	.text._Z14rdwdot6_kernelIfEvPKT_S2_PS0_S0_S2_,"axG",@progbits,_Z14rdwdot6_kernelIfEvPKT_S2_PS0_S0_S2_,comdat
	.protected	_Z14rdwdot6_kernelIfEvPKT_S2_PS0_S0_S2_ ; -- Begin function _Z14rdwdot6_kernelIfEvPKT_S2_PS0_S0_S2_
	.globl	_Z14rdwdot6_kernelIfEvPKT_S2_PS0_S0_S2_
	.p2align	8
	.type	_Z14rdwdot6_kernelIfEvPKT_S2_PS0_S0_S2_,@function
_Z14rdwdot6_kernelIfEvPKT_S2_PS0_S0_S2_: ; @_Z14rdwdot6_kernelIfEvPKT_S2_PS0_S0_S2_
; %bb.0:
	s_clause 0x5
	s_load_dwordx4 s[0:3], s[4:5], 0x0
	s_load_dwordx2 s[8:9], s[4:5], 0x10
	s_load_dword s7, s[4:5], 0x18
	s_load_dwordx2 s[10:11], s[4:5], 0x20
	s_load_dword s12, s[4:5], 0x28
	s_load_dword s4, s[4:5], 0x34
	v_mov_b32_e32 v1, 0
	s_waitcnt lgkmcnt(0)
	s_and_b32 s4, s4, 0xffff
	s_mul_i32 s12, s12, s4
	s_mul_i32 s6, s6, s4
	;; [unrolled: 1-line block ×3, first 2 shown]
	s_lshl_b32 s4, s12, 1
	v_add3_u32 v0, s5, s6, v0
	s_mul_i32 s6, s12, 5
	s_lshl_b32 s5, s12, 2
	s_mul_i32 s13, s12, 7
	s_lshl_b32 s14, s12, 3
	v_lshlrev_b64 v[2:3], 2, v[0:1]
	v_add_nc_u32_e32 v0, s12, v0
	v_add_co_u32 v4, vcc_lo, s0, v2
	v_add_co_ci_u32_e64 v5, null, s1, v3, vcc_lo
	v_add_co_u32 v2, vcc_lo, s2, v2
	v_add_co_ci_u32_e64 v3, null, s3, v3, vcc_lo
	global_load_dword v4, v[4:5], off
	global_load_dword v2, v[2:3], off
	s_waitcnt vmcnt(0)
	v_sub_f32_e32 v2, v4, v2
	v_lshlrev_b64 v[3:4], 2, v[0:1]
	v_add_nc_u32_e32 v0, s12, v0
	v_add_co_u32 v5, vcc_lo, s0, v3
	v_add_co_ci_u32_e64 v6, null, s1, v4, vcc_lo
	v_add_co_u32 v3, vcc_lo, s2, v3
	v_add_co_ci_u32_e64 v4, null, s3, v4, vcc_lo
	global_load_dword v5, v[5:6], off
	global_load_dword v3, v[3:4], off
	s_waitcnt vmcnt(0)
	v_sub_f32_e32 v3, v5, v3
	v_lshlrev_b64 v[4:5], 2, v[0:1]
	v_add_nc_u32_e32 v0, s12, v0
	v_sub_f32_e64 v8, -v2, v3
	v_add_co_u32 v6, vcc_lo, s0, v4
	v_add_co_ci_u32_e64 v7, null, s1, v5, vcc_lo
	v_add_co_u32 v4, vcc_lo, s2, v4
	v_add_co_ci_u32_e64 v5, null, s3, v5, vcc_lo
	global_load_dword v6, v[6:7], off
	global_load_dword v4, v[4:5], off
	s_waitcnt vmcnt(0)
	v_sub_f32_e32 v4, v6, v4
	v_sub_f32_e32 v8, v8, v4
	v_lshlrev_b64 v[4:5], 2, v[0:1]
	v_add_nc_u32_e32 v0, s12, v0
	v_add_co_u32 v6, vcc_lo, s0, v4
	v_add_co_ci_u32_e64 v7, null, s1, v5, vcc_lo
	v_add_co_u32 v4, vcc_lo, s2, v4
	v_add_co_ci_u32_e64 v5, null, s3, v5, vcc_lo
	global_load_dword v6, v[6:7], off
	global_load_dword v4, v[4:5], off
	s_waitcnt vmcnt(0)
	v_sub_f32_e32 v4, v6, v4
	v_lshlrev_b64 v[5:6], 2, v[0:1]
	v_add_nc_u32_e32 v0, s12, v0
	v_sub_f32_e32 v9, v8, v4
	v_add_co_u32 v7, vcc_lo, s0, v5
	v_add_co_ci_u32_e64 v8, null, s1, v6, vcc_lo
	v_add_co_u32 v5, vcc_lo, s2, v5
	v_add_co_ci_u32_e64 v6, null, s3, v6, vcc_lo
	global_load_dword v7, v[7:8], off
	global_load_dword v5, v[5:6], off
	s_waitcnt vmcnt(0)
	v_sub_f32_e32 v5, v7, v5
	v_lshlrev_b64 v[6:7], 2, v[0:1]
	v_add_nc_u32_e32 v0, s6, v0
	v_sub_f32_e32 v10, v9, v5
	v_add_co_u32 v8, vcc_lo, s0, v6
	v_add_co_ci_u32_e64 v9, null, s1, v7, vcc_lo
	v_add_co_u32 v6, vcc_lo, s2, v6
	v_add_co_ci_u32_e64 v7, null, s3, v7, vcc_lo
	global_load_dword v8, v[8:9], off
	global_load_dword v6, v[6:7], off
	s_waitcnt vmcnt(0)
	v_sub_f32_e32 v6, v8, v6
	v_add_f32_e32 v10, v10, v6
	v_lshlrev_b64 v[6:7], 2, v[0:1]
	v_add_nc_u32_e32 v0, s12, v0
	v_add_co_u32 v8, vcc_lo, s0, v6
	v_add_co_ci_u32_e64 v9, null, s1, v7, vcc_lo
	v_add_co_u32 v6, vcc_lo, s2, v6
	v_add_co_ci_u32_e64 v7, null, s3, v7, vcc_lo
	global_load_dword v8, v[8:9], off
	global_load_dword v6, v[6:7], off
	s_waitcnt vmcnt(0)
	v_sub_f32_e32 v6, v8, v6
	v_sub_f32_e32 v10, v10, v6
	v_lshlrev_b64 v[6:7], 2, v[0:1]
	v_add_nc_u32_e32 v0, s4, v0
	v_add_co_u32 v8, vcc_lo, s0, v6
	v_add_co_ci_u32_e64 v9, null, s1, v7, vcc_lo
	v_add_co_u32 v6, vcc_lo, s2, v6
	v_add_co_ci_u32_e64 v7, null, s3, v7, vcc_lo
	global_load_dword v8, v[8:9], off
	global_load_dword v6, v[6:7], off
	s_waitcnt vmcnt(0)
	v_sub_f32_e32 v6, v8, v6
	v_lshlrev_b64 v[7:8], 2, v[0:1]
	v_add_nc_u32_e32 v0, s12, v0
	v_add_f32_e32 v11, v10, v6
	v_add_co_u32 v9, vcc_lo, s0, v7
	v_add_co_ci_u32_e64 v10, null, s1, v8, vcc_lo
	v_add_co_u32 v7, vcc_lo, s2, v7
	v_add_co_ci_u32_e64 v8, null, s3, v8, vcc_lo
	global_load_dword v9, v[9:10], off
	global_load_dword v7, v[7:8], off
	s_waitcnt vmcnt(0)
	v_sub_f32_e32 v7, v9, v7
	v_add_f32_e32 v11, v11, v7
	v_lshlrev_b64 v[7:8], 2, v[0:1]
	v_add_nc_u32_e32 v0, s4, v0
	v_add_co_u32 v9, vcc_lo, s0, v7
	v_add_co_ci_u32_e64 v10, null, s1, v8, vcc_lo
	v_add_co_u32 v7, vcc_lo, s2, v7
	v_add_co_ci_u32_e64 v8, null, s3, v8, vcc_lo
	global_load_dword v9, v[9:10], off
	global_load_dword v7, v[7:8], off
	s_waitcnt vmcnt(0)
	v_sub_f32_e32 v7, v9, v7
	v_add_f32_e32 v11, v11, v7
	v_lshlrev_b64 v[7:8], 2, v[0:1]
	v_add_nc_u32_e32 v0, s12, v0
	;; [unrolled: 11-line block ×3, first 2 shown]
	v_add_co_u32 v9, vcc_lo, s0, v7
	v_add_co_ci_u32_e64 v10, null, s1, v8, vcc_lo
	v_add_co_u32 v7, vcc_lo, s2, v7
	v_add_co_ci_u32_e64 v8, null, s3, v8, vcc_lo
	global_load_dword v9, v[9:10], off
	global_load_dword v7, v[7:8], off
	s_waitcnt vmcnt(0)
	v_sub_f32_e32 v7, v9, v7
	v_add_f32_e32 v11, v11, v7
	v_lshlrev_b64 v[7:8], 2, v[0:1]
	v_add_co_u32 v9, vcc_lo, s0, v7
	v_add_co_ci_u32_e64 v10, null, s1, v8, vcc_lo
	v_add_co_u32 v7, vcc_lo, s2, v7
	v_add_co_ci_u32_e64 v8, null, s3, v8, vcc_lo
	global_load_dword v9, v[9:10], off
	global_load_dword v7, v[7:8], off
	s_waitcnt vmcnt(0)
	v_sub_f32_e32 v7, v9, v7
	v_add_f32_e32 v12, v11, v7
	v_mad_u64_u32 v[7:8], null, s12, 9, v[0:1]
	v_mov_b32_e32 v8, v1
	v_lshlrev_b64 v[8:9], 2, v[7:8]
	v_add_co_u32 v10, vcc_lo, s0, v8
	v_add_co_ci_u32_e64 v11, null, s1, v9, vcc_lo
	v_add_co_u32 v8, vcc_lo, s2, v8
	v_add_co_ci_u32_e64 v9, null, s3, v9, vcc_lo
	global_load_dword v0, v[10:11], off
	global_load_dword v8, v[8:9], off
	s_waitcnt vmcnt(0)
	v_sub_f32_e32 v0, v0, v8
	v_sub_f32_e32 v11, v12, v0
	v_add_nc_u32_e32 v0, s6, v7
	v_lshlrev_b64 v[7:8], 2, v[0:1]
	v_add_nc_u32_e32 v0, s5, v0
	v_add_co_u32 v9, vcc_lo, s0, v7
	v_add_co_ci_u32_e64 v10, null, s1, v8, vcc_lo
	v_add_co_u32 v7, vcc_lo, s2, v7
	v_add_co_ci_u32_e64 v8, null, s3, v8, vcc_lo
	global_load_dword v9, v[9:10], off
	global_load_dword v7, v[7:8], off
	s_waitcnt vmcnt(0)
	v_sub_f32_e32 v7, v9, v7
	v_add_f32_e32 v11, v11, v7
	v_lshlrev_b64 v[7:8], 2, v[0:1]
	v_add_nc_u32_e32 v0, s12, v0
	v_add_co_u32 v9, vcc_lo, s0, v7
	v_add_co_ci_u32_e64 v10, null, s1, v8, vcc_lo
	v_add_co_u32 v7, vcc_lo, s2, v7
	v_add_co_ci_u32_e64 v8, null, s3, v8, vcc_lo
	global_load_dword v9, v[9:10], off
	global_load_dword v7, v[7:8], off
	s_waitcnt vmcnt(0)
	v_sub_f32_e32 v7, v9, v7
	v_add_f32_e32 v11, v11, v7
	;; [unrolled: 11-line block ×3, first 2 shown]
	v_lshlrev_b64 v[7:8], 2, v[0:1]
	v_add_co_u32 v9, vcc_lo, s0, v7
	v_add_co_ci_u32_e64 v10, null, s1, v8, vcc_lo
	v_add_co_u32 v7, vcc_lo, s2, v7
	v_add_co_ci_u32_e64 v8, null, s3, v8, vcc_lo
	global_load_dword v9, v[9:10], off
	global_load_dword v7, v[7:8], off
	s_waitcnt vmcnt(0)
	v_sub_f32_e32 v7, v9, v7
	v_mad_u64_u32 v[8:9], null, s12, 18, v[0:1]
	v_mov_b32_e32 v9, v1
	v_add_f32_e32 v13, v11, v7
	v_lshlrev_b64 v[9:10], 2, v[8:9]
	v_add_co_u32 v11, vcc_lo, s0, v9
	v_add_co_ci_u32_e64 v12, null, s1, v10, vcc_lo
	v_add_co_u32 v9, vcc_lo, s2, v9
	v_add_co_ci_u32_e64 v10, null, s3, v10, vcc_lo
	global_load_dword v0, v[11:12], off
	global_load_dword v9, v[9:10], off
	s_waitcnt vmcnt(0)
	v_sub_f32_e32 v0, v0, v9
	v_add_f32_e32 v12, v13, v0
	v_add_nc_u32_e32 v0, s13, v8
	v_lshlrev_b64 v[8:9], 2, v[0:1]
	v_add_co_u32 v10, vcc_lo, s0, v8
	v_add_co_ci_u32_e64 v11, null, s1, v9, vcc_lo
	v_add_co_u32 v8, vcc_lo, s2, v8
	v_add_co_ci_u32_e64 v9, null, s3, v9, vcc_lo
	global_load_dword v10, v[10:11], off
	global_load_dword v8, v[8:9], off
	s_waitcnt vmcnt(0)
	v_sub_f32_e32 v8, v10, v8
	v_add_f32_e32 v13, v12, v8
	v_mad_u64_u32 v[8:9], null, s12, 13, v[0:1]
	v_mov_b32_e32 v9, v1
	v_lshlrev_b64 v[9:10], 2, v[8:9]
	v_add_co_u32 v11, vcc_lo, s0, v9
	v_add_co_ci_u32_e64 v12, null, s1, v10, vcc_lo
	v_add_co_u32 v9, vcc_lo, s2, v9
	v_add_co_ci_u32_e64 v10, null, s3, v10, vcc_lo
	global_load_dword v0, v[11:12], off
	global_load_dword v9, v[9:10], off
	s_waitcnt vmcnt(0)
	v_sub_f32_e32 v0, v0, v9
	v_add_f32_e32 v12, v13, v0
	v_add_nc_u32_e32 v0, s12, v8
	v_lshlrev_b64 v[8:9], 2, v[0:1]
	v_add_nc_u32_e32 v0, s12, v0
	v_add_co_u32 v10, vcc_lo, s0, v8
	v_add_co_ci_u32_e64 v11, null, s1, v9, vcc_lo
	v_add_co_u32 v8, vcc_lo, s2, v8
	v_add_co_ci_u32_e64 v9, null, s3, v9, vcc_lo
	global_load_dword v10, v[10:11], off
	global_load_dword v8, v[8:9], off
	s_waitcnt vmcnt(0)
	v_sub_f32_e32 v8, v10, v8
	v_add_f32_e32 v9, v12, v8
	v_add_f32_e32 v12, v8, v9
	v_lshlrev_b64 v[8:9], 2, v[0:1]
	v_add_nc_u32_e32 v0, s12, v0
	v_add_co_u32 v10, vcc_lo, s0, v8
	v_add_co_ci_u32_e64 v11, null, s1, v9, vcc_lo
	v_add_co_u32 v8, vcc_lo, s2, v8
	v_add_co_ci_u32_e64 v9, null, s3, v9, vcc_lo
	global_load_dword v10, v[10:11], off
	global_load_dword v8, v[8:9], off
	s_waitcnt vmcnt(0)
	v_sub_f32_e32 v8, v10, v8
	v_add_f32_e32 v9, v12, v8
	v_add_f32_e32 v12, v8, v9
	v_lshlrev_b64 v[8:9], 2, v[0:1]
	v_add_nc_u32_e32 v0, s12, v0
	v_add_co_u32 v10, vcc_lo, s0, v8
	v_add_co_ci_u32_e64 v11, null, s1, v9, vcc_lo
	v_add_co_u32 v8, vcc_lo, s2, v8
	v_add_co_ci_u32_e64 v9, null, s3, v9, vcc_lo
	global_load_dword v10, v[10:11], off
	global_load_dword v8, v[8:9], off
	s_waitcnt vmcnt(0)
	v_sub_f32_e32 v8, v10, v8
	v_add_f32_e32 v12, v12, v8
	v_lshlrev_b64 v[8:9], 2, v[0:1]
	v_add_nc_u32_e32 v0, s12, v0
	v_add_co_u32 v10, vcc_lo, s0, v8
	v_add_co_ci_u32_e64 v11, null, s1, v9, vcc_lo
	v_add_co_u32 v8, vcc_lo, s2, v8
	v_add_co_ci_u32_e64 v9, null, s3, v9, vcc_lo
	global_load_dword v10, v[10:11], off
	global_load_dword v8, v[8:9], off
	s_waitcnt vmcnt(0)
	v_sub_f32_e32 v8, v10, v8
	;; [unrolled: 11-line block ×3, first 2 shown]
	v_add_f32_e32 v9, v12, v8
	v_add_f32_e32 v12, v8, v9
	v_lshlrev_b64 v[8:9], 2, v[0:1]
	v_add_nc_u32_e32 v0, s4, v0
	s_mul_i32 s4, s12, 10
	v_add_co_u32 v10, vcc_lo, s0, v8
	v_add_co_ci_u32_e64 v11, null, s1, v9, vcc_lo
	v_add_co_u32 v8, vcc_lo, s2, v8
	v_add_co_ci_u32_e64 v9, null, s3, v9, vcc_lo
	global_load_dword v10, v[10:11], off
	global_load_dword v8, v[8:9], off
	s_waitcnt vmcnt(0)
	v_sub_f32_e32 v8, v10, v8
	v_add_f32_e32 v12, v12, v8
	v_lshlrev_b64 v[8:9], 2, v[0:1]
	v_add_nc_u32_e32 v0, s12, v0
	v_add_co_u32 v10, vcc_lo, s0, v8
	v_add_co_ci_u32_e64 v11, null, s1, v9, vcc_lo
	v_add_co_u32 v8, vcc_lo, s2, v8
	v_add_co_ci_u32_e64 v9, null, s3, v9, vcc_lo
	global_load_dword v10, v[10:11], off
	global_load_dword v8, v[8:9], off
	s_waitcnt vmcnt(0)
	v_sub_f32_e32 v8, v10, v8
	v_add_f32_e32 v12, v12, v8
	v_lshlrev_b64 v[8:9], 2, v[0:1]
	v_add_co_u32 v10, vcc_lo, s0, v8
	v_add_co_ci_u32_e64 v11, null, s1, v9, vcc_lo
	v_add_co_u32 v8, vcc_lo, s2, v8
	v_add_co_ci_u32_e64 v9, null, s3, v9, vcc_lo
	global_load_dword v10, v[10:11], off
	global_load_dword v8, v[8:9], off
	s_waitcnt vmcnt(0)
	v_sub_f32_e32 v8, v10, v8
	v_add_f32_e32 v13, v12, v8
	v_mad_u64_u32 v[8:9], null, s12, 3, v[0:1]
	v_mov_b32_e32 v9, v1
	v_lshlrev_b64 v[9:10], 2, v[8:9]
	v_add_co_u32 v11, vcc_lo, s0, v9
	v_add_co_ci_u32_e64 v12, null, s1, v10, vcc_lo
	v_add_co_u32 v9, vcc_lo, s2, v9
	v_add_co_ci_u32_e64 v10, null, s3, v10, vcc_lo
	global_load_dword v0, v[11:12], off
	global_load_dword v9, v[9:10], off
	s_waitcnt vmcnt(0)
	v_sub_f32_e32 v0, v0, v9
	v_add_f32_e32 v12, v13, v0
	v_add_nc_u32_e32 v0, s6, v8
	v_lshlrev_b64 v[8:9], 2, v[0:1]
	v_add_nc_u32_e32 v0, s14, v0
	v_add_co_u32 v10, vcc_lo, s0, v8
	v_add_co_ci_u32_e64 v11, null, s1, v9, vcc_lo
	v_add_co_u32 v8, vcc_lo, s2, v8
	v_add_co_ci_u32_e64 v9, null, s3, v9, vcc_lo
	global_load_dword v10, v[10:11], off
	global_load_dword v8, v[8:9], off
	s_waitcnt vmcnt(0)
	v_sub_f32_e32 v8, v10, v8
	v_add_f32_e32 v12, v12, v8
	v_lshlrev_b64 v[8:9], 2, v[0:1]
	v_add_nc_u32_e32 v0, s13, v0
	v_add_co_u32 v10, vcc_lo, s0, v8
	v_add_co_ci_u32_e64 v11, null, s1, v9, vcc_lo
	v_add_co_u32 v8, vcc_lo, s2, v8
	v_add_co_ci_u32_e64 v9, null, s3, v9, vcc_lo
	global_load_dword v10, v[10:11], off
	global_load_dword v8, v[8:9], off
	s_waitcnt vmcnt(0)
	v_sub_f32_e32 v8, v10, v8
	v_add_f32_e32 v12, v12, v8
	;; [unrolled: 11-line block ×5, first 2 shown]
	v_lshlrev_b64 v[8:9], 2, v[0:1]
	v_add_co_u32 v10, vcc_lo, s0, v8
	v_add_co_ci_u32_e64 v11, null, s1, v9, vcc_lo
	v_add_co_u32 v8, vcc_lo, s2, v8
	v_add_co_ci_u32_e64 v9, null, s3, v9, vcc_lo
	global_load_dword v10, v[10:11], off
	global_load_dword v8, v[8:9], off
	s_waitcnt vmcnt(0)
	v_sub_f32_e32 v8, v10, v8
	v_add_f32_e32 v13, v12, v8
	v_mad_u64_u32 v[8:9], null, s12, 15, v[0:1]
	v_mov_b32_e32 v9, v1
	v_lshlrev_b64 v[9:10], 2, v[8:9]
	v_add_co_u32 v11, vcc_lo, s0, v9
	v_add_co_ci_u32_e64 v12, null, s1, v10, vcc_lo
	v_add_co_u32 v9, vcc_lo, s2, v9
	v_add_co_ci_u32_e64 v10, null, s3, v10, vcc_lo
	global_load_dword v0, v[11:12], off
	global_load_dword v9, v[9:10], off
	s_waitcnt vmcnt(0)
	v_sub_f32_e32 v0, v0, v9
	v_add_f32_e32 v12, v13, v0
	v_add_nc_u32_e32 v0, s4, v8
	s_load_dwordx2 s[4:5], s[10:11], 0x28
	v_lshlrev_b64 v[8:9], 2, v[0:1]
	v_add_co_u32 v10, vcc_lo, s0, v8
	v_add_co_ci_u32_e64 v11, null, s1, v9, vcc_lo
	v_add_co_u32 v8, vcc_lo, s2, v8
	v_add_co_ci_u32_e64 v9, null, s3, v9, vcc_lo
	global_load_dword v10, v[10:11], off
	global_load_dword v8, v[8:9], off
	s_waitcnt vmcnt(0)
	v_sub_f32_e32 v8, v10, v8
	v_add_f32_e32 v8, v12, v8
	v_mul_f32_e32 v8, s7, v8
	s_waitcnt lgkmcnt(0)
	v_mul_f32_e32 v12, s4, v8
	v_mad_u64_u32 v[8:9], null, 0xffffff4e, s12, v[0:1]
	v_mov_b32_e32 v9, v1
	v_add_f32_e32 v0, v2, v3
	v_mad_u64_u32 v[2:3], null, s12, 33, v[8:9]
	v_mov_b32_e32 v3, v1
	v_lshlrev_b64 v[10:11], 2, v[8:9]
	v_add_f32_e32 v0, v0, v4
	v_lshlrev_b64 v[3:4], 2, v[2:3]
	v_add_f32_e32 v0, v0, v5
	v_add_co_u32 v10, vcc_lo, s8, v10
	v_add_co_ci_u32_e64 v11, null, s9, v11, vcc_lo
	v_add_co_u32 v5, vcc_lo, s0, v3
	v_sub_f32_e32 v0, v0, v6
	v_add_co_ci_u32_e64 v6, null, s1, v4, vcc_lo
	v_add_co_u32 v3, vcc_lo, s2, v3
	v_add_co_ci_u32_e64 v4, null, s3, v4, vcc_lo
	global_load_dword v5, v[5:6], off
	global_store_dword v[10:11], v12, off
	global_load_dword v3, v[3:4], off
	s_waitcnt vmcnt(0)
	v_sub_f32_e32 v3, v5, v3
	v_add_f32_e32 v6, v0, v3
	v_add_nc_u32_e32 v0, s14, v2
	v_lshlrev_b64 v[2:3], 2, v[0:1]
	v_add_co_u32 v4, vcc_lo, s0, v2
	v_add_co_ci_u32_e64 v5, null, s1, v3, vcc_lo
	v_add_co_u32 v2, vcc_lo, s2, v2
	v_add_co_ci_u32_e64 v3, null, s3, v3, vcc_lo
	global_load_dword v4, v[4:5], off
	global_load_dword v2, v[2:3], off
	s_waitcnt vmcnt(0)
	v_sub_f32_e32 v2, v4, v2
	v_add_f32_e32 v2, v6, v2
	v_sub_f32_e32 v7, v2, v7
	v_mad_u64_u32 v[2:3], null, 0x49, s12, v[0:1]
	v_mov_b32_e32 v3, v1
	v_lshlrev_b64 v[3:4], 2, v[2:3]
	v_add_co_u32 v5, vcc_lo, s0, v3
	v_add_co_ci_u32_e64 v6, null, s1, v4, vcc_lo
	v_add_co_u32 v3, vcc_lo, s2, v3
	v_add_co_ci_u32_e64 v4, null, s3, v4, vcc_lo
	global_load_dword v0, v[5:6], off
	global_load_dword v3, v[3:4], off
	s_waitcnt vmcnt(0)
	v_sub_f32_e32 v0, v0, v3
	v_add_f32_e32 v6, v7, v0
	v_add_nc_u32_e32 v0, s6, v2
	v_lshlrev_b64 v[2:3], 2, v[0:1]
	v_add_co_u32 v4, vcc_lo, s0, v2
	v_add_co_ci_u32_e64 v5, null, s1, v3, vcc_lo
	v_add_co_u32 v2, vcc_lo, s2, v2
	v_add_co_ci_u32_e64 v3, null, s3, v3, vcc_lo
	global_load_dword v4, v[4:5], off
	global_load_dword v2, v[2:3], off
	s_waitcnt vmcnt(0)
	v_sub_f32_e32 v2, v4, v2
	v_add_f32_e32 v2, v6, v2
	v_mul_f32_e32 v2, s7, v2
	v_mul_f32_e32 v4, s5, v2
	v_mad_u64_u32 v[2:3], null, 0xffffff8a, s12, v[0:1]
	v_mov_b32_e32 v3, v1
	v_lshlrev_b64 v[0:1], 2, v[2:3]
	v_add_co_u32 v0, vcc_lo, s8, v0
	v_add_co_ci_u32_e64 v1, null, s9, v1, vcc_lo
	global_store_dword v[0:1], v4, off
	s_endpgm
	.section	.rodata,"a",@progbits
	.p2align	6, 0x0
	.amdhsa_kernel _Z14rdwdot6_kernelIfEvPKT_S2_PS0_S0_S2_
		.amdhsa_group_segment_fixed_size 0
		.amdhsa_private_segment_fixed_size 0
		.amdhsa_kernarg_size 296
		.amdhsa_user_sgpr_count 6
		.amdhsa_user_sgpr_private_segment_buffer 1
		.amdhsa_user_sgpr_dispatch_ptr 0
		.amdhsa_user_sgpr_queue_ptr 0
		.amdhsa_user_sgpr_kernarg_segment_ptr 1
		.amdhsa_user_sgpr_dispatch_id 0
		.amdhsa_user_sgpr_flat_scratch_init 0
		.amdhsa_user_sgpr_private_segment_size 0
		.amdhsa_wavefront_size32 1
		.amdhsa_uses_dynamic_stack 0
		.amdhsa_system_sgpr_private_segment_wavefront_offset 0
		.amdhsa_system_sgpr_workgroup_id_x 1
		.amdhsa_system_sgpr_workgroup_id_y 0
		.amdhsa_system_sgpr_workgroup_id_z 0
		.amdhsa_system_sgpr_workgroup_info 0
		.amdhsa_system_vgpr_workitem_id 0
		.amdhsa_next_free_vgpr 14
		.amdhsa_next_free_sgpr 15
		.amdhsa_reserve_vcc 1
		.amdhsa_reserve_flat_scratch 0
		.amdhsa_float_round_mode_32 0
		.amdhsa_float_round_mode_16_64 0
		.amdhsa_float_denorm_mode_32 3
		.amdhsa_float_denorm_mode_16_64 3
		.amdhsa_dx10_clamp 1
		.amdhsa_ieee_mode 1
		.amdhsa_fp16_overflow 0
		.amdhsa_workgroup_processor_mode 1
		.amdhsa_memory_ordered 1
		.amdhsa_forward_progress 1
		.amdhsa_shared_vgpr_count 0
		.amdhsa_exception_fp_ieee_invalid_op 0
		.amdhsa_exception_fp_denorm_src 0
		.amdhsa_exception_fp_ieee_div_zero 0
		.amdhsa_exception_fp_ieee_overflow 0
		.amdhsa_exception_fp_ieee_underflow 0
		.amdhsa_exception_fp_ieee_inexact 0
		.amdhsa_exception_int_div_zero 0
	.end_amdhsa_kernel
	.section	.text._Z14rdwdot6_kernelIfEvPKT_S2_PS0_S0_S2_,"axG",@progbits,_Z14rdwdot6_kernelIfEvPKT_S2_PS0_S0_S2_,comdat
.Lfunc_end22:
	.size	_Z14rdwdot6_kernelIfEvPKT_S2_PS0_S0_S2_, .Lfunc_end22-_Z14rdwdot6_kernelIfEvPKT_S2_PS0_S0_S2_
                                        ; -- End function
	.set _Z14rdwdot6_kernelIfEvPKT_S2_PS0_S0_S2_.num_vgpr, 14
	.set _Z14rdwdot6_kernelIfEvPKT_S2_PS0_S0_S2_.num_agpr, 0
	.set _Z14rdwdot6_kernelIfEvPKT_S2_PS0_S0_S2_.numbered_sgpr, 15
	.set _Z14rdwdot6_kernelIfEvPKT_S2_PS0_S0_S2_.num_named_barrier, 0
	.set _Z14rdwdot6_kernelIfEvPKT_S2_PS0_S0_S2_.private_seg_size, 0
	.set _Z14rdwdot6_kernelIfEvPKT_S2_PS0_S0_S2_.uses_vcc, 1
	.set _Z14rdwdot6_kernelIfEvPKT_S2_PS0_S0_S2_.uses_flat_scratch, 0
	.set _Z14rdwdot6_kernelIfEvPKT_S2_PS0_S0_S2_.has_dyn_sized_stack, 0
	.set _Z14rdwdot6_kernelIfEvPKT_S2_PS0_S0_S2_.has_recursion, 0
	.set _Z14rdwdot6_kernelIfEvPKT_S2_PS0_S0_S2_.has_indirect_call, 0
	.section	.AMDGPU.csdata,"",@progbits
; Kernel info:
; codeLenInByte = 3352
; TotalNumSgprs: 17
; NumVgprs: 14
; ScratchSize: 0
; MemoryBound: 0
; FloatMode: 240
; IeeeMode: 1
; LDSByteSize: 0 bytes/workgroup (compile time only)
; SGPRBlocks: 0
; VGPRBlocks: 1
; NumSGPRsForWavesPerEU: 17
; NumVGPRsForWavesPerEU: 14
; Occupancy: 16
; WaveLimiterHint : 0
; COMPUTE_PGM_RSRC2:SCRATCH_EN: 0
; COMPUTE_PGM_RSRC2:USER_SGPR: 6
; COMPUTE_PGM_RSRC2:TRAP_HANDLER: 0
; COMPUTE_PGM_RSRC2:TGID_X_EN: 1
; COMPUTE_PGM_RSRC2:TGID_Y_EN: 0
; COMPUTE_PGM_RSRC2:TGID_Z_EN: 0
; COMPUTE_PGM_RSRC2:TIDIG_COMP_CNT: 0
	.section	.text._Z14rdwdot7_kernelIfEvPKT_S2_PS0_S0_S2_,"axG",@progbits,_Z14rdwdot7_kernelIfEvPKT_S2_PS0_S0_S2_,comdat
	.protected	_Z14rdwdot7_kernelIfEvPKT_S2_PS0_S0_S2_ ; -- Begin function _Z14rdwdot7_kernelIfEvPKT_S2_PS0_S0_S2_
	.globl	_Z14rdwdot7_kernelIfEvPKT_S2_PS0_S0_S2_
	.p2align	8
	.type	_Z14rdwdot7_kernelIfEvPKT_S2_PS0_S0_S2_,@function
_Z14rdwdot7_kernelIfEvPKT_S2_PS0_S0_S2_: ; @_Z14rdwdot7_kernelIfEvPKT_S2_PS0_S0_S2_
; %bb.0:
	s_clause 0x5
	s_load_dwordx4 s[0:3], s[4:5], 0x0
	s_load_dwordx2 s[8:9], s[4:5], 0x10
	s_load_dword s7, s[4:5], 0x18
	s_load_dwordx2 s[10:11], s[4:5], 0x20
	s_load_dword s12, s[4:5], 0x28
	s_load_dword s4, s[4:5], 0x34
	v_mov_b32_e32 v1, 0
	s_waitcnt lgkmcnt(0)
	s_and_b32 s4, s4, 0xffff
	s_mul_i32 s12, s12, s4
	s_mul_i32 s6, s6, s4
	;; [unrolled: 1-line block ×3, first 2 shown]
	s_lshl_b32 s4, s12, 1
	v_add3_u32 v0, s5, s6, v0
	s_mul_i32 s5, s12, 5
	s_mul_i32 s6, s12, 7
	s_lshl_b32 s13, s12, 3
	v_lshlrev_b64 v[2:3], 2, v[0:1]
	v_add_nc_u32_e32 v0, s12, v0
	v_add_co_u32 v4, vcc_lo, s0, v2
	v_add_co_ci_u32_e64 v5, null, s1, v3, vcc_lo
	v_add_co_u32 v2, vcc_lo, s2, v2
	v_add_co_ci_u32_e64 v3, null, s3, v3, vcc_lo
	global_load_dword v4, v[4:5], off
	global_load_dword v2, v[2:3], off
	s_waitcnt vmcnt(0)
	v_sub_f32_e32 v6, v4, v2
	v_lshlrev_b64 v[2:3], 2, v[0:1]
	v_add_co_u32 v4, vcc_lo, s0, v2
	v_add_co_ci_u32_e64 v5, null, s1, v3, vcc_lo
	v_add_co_u32 v2, vcc_lo, s2, v2
	v_add_co_ci_u32_e64 v3, null, s3, v3, vcc_lo
	global_load_dword v4, v[4:5], off
	global_load_dword v2, v[2:3], off
	s_waitcnt vmcnt(0)
	v_sub_f32_e32 v2, v4, v2
	v_add_f32_e32 v7, v6, v2
	v_mad_u64_u32 v[2:3], null, s12, 15, v[0:1]
	v_mov_b32_e32 v3, v1
	v_lshlrev_b64 v[3:4], 2, v[2:3]
	v_add_co_u32 v5, vcc_lo, s0, v3
	v_add_co_ci_u32_e64 v6, null, s1, v4, vcc_lo
	v_add_co_u32 v3, vcc_lo, s2, v3
	v_add_co_ci_u32_e64 v4, null, s3, v4, vcc_lo
	global_load_dword v0, v[5:6], off
	global_load_dword v3, v[3:4], off
	s_waitcnt vmcnt(0)
	v_sub_f32_e32 v0, v0, v3
	v_mad_u64_u32 v[3:4], null, s12, 14, v[2:3]
	v_mov_b32_e32 v4, v1
	v_add_f32_e32 v0, v7, v0
	v_lshlrev_b64 v[4:5], 2, v[3:4]
	v_add_co_u32 v6, vcc_lo, s0, v4
	v_add_co_ci_u32_e64 v7, null, s1, v5, vcc_lo
	v_add_co_u32 v4, vcc_lo, s2, v4
	v_add_co_ci_u32_e64 v5, null, s3, v5, vcc_lo
	global_load_dword v2, v[6:7], off
	global_load_dword v4, v[4:5], off
	s_waitcnt vmcnt(0)
	v_sub_f32_e32 v2, v2, v4
	v_sub_f32_e32 v7, v0, v2
	v_add_nc_u32_e32 v0, s12, v3
	v_lshlrev_b64 v[3:4], 2, v[0:1]
	v_add_nc_u32_e32 v0, s12, v0
	v_add_co_u32 v5, vcc_lo, s0, v3
	v_add_co_ci_u32_e64 v6, null, s1, v4, vcc_lo
	v_add_co_u32 v3, vcc_lo, s2, v3
	v_add_co_ci_u32_e64 v4, null, s3, v4, vcc_lo
	global_load_dword v5, v[5:6], off
	global_load_dword v3, v[3:4], off
	s_waitcnt vmcnt(0)
	v_sub_f32_e32 v3, v5, v3
	v_sub_f32_e32 v7, v7, v3
	v_lshlrev_b64 v[3:4], 2, v[0:1]
	v_add_nc_u32_e32 v0, s12, v0
	v_add_co_u32 v5, vcc_lo, s0, v3
	v_add_co_ci_u32_e64 v6, null, s1, v4, vcc_lo
	v_add_co_u32 v3, vcc_lo, s2, v3
	v_add_co_ci_u32_e64 v4, null, s3, v4, vcc_lo
	global_load_dword v5, v[5:6], off
	global_load_dword v3, v[3:4], off
	s_waitcnt vmcnt(0)
	v_sub_f32_e32 v3, v5, v3
	v_sub_f32_e32 v7, v7, v3
	v_lshlrev_b64 v[3:4], 2, v[0:1]
	v_add_nc_u32_e32 v0, s12, v0
	v_add_co_u32 v5, vcc_lo, s0, v3
	v_add_co_ci_u32_e64 v6, null, s1, v4, vcc_lo
	v_add_co_u32 v3, vcc_lo, s2, v3
	v_add_co_ci_u32_e64 v4, null, s3, v4, vcc_lo
	global_load_dword v5, v[5:6], off
	global_load_dword v3, v[3:4], off
	s_waitcnt vmcnt(0)
	v_sub_f32_e32 v3, v5, v3
	v_sub_f32_e32 v7, v7, v3
	v_lshlrev_b64 v[3:4], 2, v[0:1]
	v_add_nc_u32_e32 v0, s12, v0
	v_add_co_u32 v5, vcc_lo, s0, v3
	v_add_co_ci_u32_e64 v6, null, s1, v4, vcc_lo
	v_add_co_u32 v3, vcc_lo, s2, v3
	v_add_co_ci_u32_e64 v4, null, s3, v4, vcc_lo
	global_load_dword v5, v[5:6], off
	global_load_dword v3, v[3:4], off
	s_waitcnt vmcnt(0)
	v_sub_f32_e32 v3, v5, v3
	v_sub_f32_e32 v7, v7, v3
	v_lshlrev_b64 v[3:4], 2, v[0:1]
	v_add_nc_u32_e32 v0, s12, v0
	v_add_co_u32 v5, vcc_lo, s0, v3
	v_add_co_ci_u32_e64 v6, null, s1, v4, vcc_lo
	v_add_co_u32 v3, vcc_lo, s2, v3
	v_add_co_ci_u32_e64 v4, null, s3, v4, vcc_lo
	global_load_dword v5, v[5:6], off
	global_load_dword v3, v[3:4], off
	s_waitcnt vmcnt(0)
	v_sub_f32_e32 v3, v5, v3
	v_sub_f32_e32 v7, v7, v3
	v_lshlrev_b64 v[3:4], 2, v[0:1]
	v_add_nc_u32_e32 v0, s12, v0
	v_add_co_u32 v5, vcc_lo, s0, v3
	v_add_co_ci_u32_e64 v6, null, s1, v4, vcc_lo
	v_add_co_u32 v3, vcc_lo, s2, v3
	v_add_co_ci_u32_e64 v4, null, s3, v4, vcc_lo
	global_load_dword v5, v[5:6], off
	global_load_dword v3, v[3:4], off
	s_waitcnt vmcnt(0)
	v_sub_f32_e32 v3, v5, v3
	v_lshlrev_b64 v[4:5], 2, v[0:1]
	v_add_nc_u32_e32 v0, s12, v0
	v_sub_f32_e32 v8, v7, v3
	v_add_co_u32 v6, vcc_lo, s0, v4
	v_add_co_ci_u32_e64 v7, null, s1, v5, vcc_lo
	v_add_co_u32 v4, vcc_lo, s2, v4
	v_add_co_ci_u32_e64 v5, null, s3, v5, vcc_lo
	global_load_dword v6, v[6:7], off
	global_load_dword v4, v[4:5], off
	s_waitcnt vmcnt(0)
	v_sub_f32_e32 v4, v6, v4
	v_sub_f32_e32 v8, v8, v4
	v_lshlrev_b64 v[4:5], 2, v[0:1]
	v_add_nc_u32_e32 v0, s12, v0
	v_add_co_u32 v6, vcc_lo, s0, v4
	v_add_co_ci_u32_e64 v7, null, s1, v5, vcc_lo
	v_add_co_u32 v4, vcc_lo, s2, v4
	v_add_co_ci_u32_e64 v5, null, s3, v5, vcc_lo
	global_load_dword v6, v[6:7], off
	global_load_dword v4, v[4:5], off
	s_waitcnt vmcnt(0)
	v_sub_f32_e32 v4, v6, v4
	v_lshlrev_b64 v[5:6], 2, v[0:1]
	v_add_nc_u32_e32 v0, s12, v0
	v_sub_f32_e32 v9, v8, v4
	v_add_co_u32 v7, vcc_lo, s0, v5
	v_add_co_ci_u32_e64 v8, null, s1, v6, vcc_lo
	v_add_co_u32 v5, vcc_lo, s2, v5
	v_add_co_ci_u32_e64 v6, null, s3, v6, vcc_lo
	global_load_dword v7, v[7:8], off
	global_load_dword v5, v[5:6], off
	s_waitcnt vmcnt(0)
	v_sub_f32_e32 v5, v7, v5
	v_sub_f32_e32 v9, v9, v5
	;; [unrolled: 22-line block ×4, first 2 shown]
	v_lshlrev_b64 v[7:8], 2, v[0:1]
	v_add_nc_u32_e32 v0, s12, v0
	v_add_co_u32 v9, vcc_lo, s0, v7
	v_add_co_ci_u32_e64 v10, null, s1, v8, vcc_lo
	v_add_co_u32 v7, vcc_lo, s2, v7
	v_add_co_ci_u32_e64 v8, null, s3, v8, vcc_lo
	global_load_dword v9, v[9:10], off
	global_load_dword v7, v[7:8], off
	s_waitcnt vmcnt(0)
	v_sub_f32_e32 v7, v9, v7
	v_sub_f32_e32 v11, v11, v7
	v_lshlrev_b64 v[7:8], 2, v[0:1]
	v_add_nc_u32_e32 v0, s12, v0
	v_add_co_u32 v9, vcc_lo, s0, v7
	v_add_co_ci_u32_e64 v10, null, s1, v8, vcc_lo
	v_add_co_u32 v7, vcc_lo, s2, v7
	v_add_co_ci_u32_e64 v8, null, s3, v8, vcc_lo
	global_load_dword v9, v[9:10], off
	global_load_dword v7, v[7:8], off
	s_waitcnt vmcnt(0)
	v_sub_f32_e32 v7, v9, v7
	v_sub_f32_e32 v8, v11, v7
	v_sub_f32_e32 v11, v8, v7
	v_lshlrev_b64 v[7:8], 2, v[0:1]
	v_add_nc_u32_e32 v0, s12, v0
	v_add_co_u32 v9, vcc_lo, s0, v7
	v_add_co_ci_u32_e64 v10, null, s1, v8, vcc_lo
	v_add_co_u32 v7, vcc_lo, s2, v7
	v_add_co_ci_u32_e64 v8, null, s3, v8, vcc_lo
	global_load_dword v9, v[9:10], off
	global_load_dword v7, v[7:8], off
	s_waitcnt vmcnt(0)
	v_sub_f32_e32 v7, v9, v7
	;; [unrolled: 12-line block ×3, first 2 shown]
	v_sub_f32_e32 v11, v11, v7
	v_lshlrev_b64 v[7:8], 2, v[0:1]
	v_add_nc_u32_e32 v0, s5, v0
	v_add_co_u32 v9, vcc_lo, s0, v7
	v_add_co_ci_u32_e64 v10, null, s1, v8, vcc_lo
	v_add_co_u32 v7, vcc_lo, s2, v7
	v_add_co_ci_u32_e64 v8, null, s3, v8, vcc_lo
	global_load_dword v9, v[9:10], off
	global_load_dword v7, v[7:8], off
	s_waitcnt vmcnt(0)
	v_sub_f32_e32 v7, v9, v7
	v_add_f32_e32 v11, v11, v7
	v_lshlrev_b64 v[7:8], 2, v[0:1]
	v_add_nc_u32_e32 v0, s12, v0
	v_add_co_u32 v9, vcc_lo, s0, v7
	v_add_co_ci_u32_e64 v10, null, s1, v8, vcc_lo
	v_add_co_u32 v7, vcc_lo, s2, v7
	v_add_co_ci_u32_e64 v8, null, s3, v8, vcc_lo
	global_load_dword v9, v[9:10], off
	global_load_dword v7, v[7:8], off
	s_waitcnt vmcnt(0)
	v_sub_f32_e32 v7, v9, v7
	v_lshlrev_b64 v[8:9], 2, v[0:1]
	v_add_nc_u32_e32 v0, s12, v0
	v_add_f32_e32 v12, v11, v7
	v_add_co_u32 v10, vcc_lo, s0, v8
	v_add_co_ci_u32_e64 v11, null, s1, v9, vcc_lo
	v_add_co_u32 v8, vcc_lo, s2, v8
	v_add_co_ci_u32_e64 v9, null, s3, v9, vcc_lo
	global_load_dword v10, v[10:11], off
	global_load_dword v8, v[8:9], off
	s_waitcnt vmcnt(0)
	v_sub_f32_e32 v8, v10, v8
	v_lshlrev_b64 v[9:10], 2, v[0:1]
	v_add_nc_u32_e32 v0, s4, v0
	v_add_f32_e32 v13, v12, v8
	;; [unrolled: 11-line block ×3, first 2 shown]
	v_add_co_u32 v13, vcc_lo, s0, v11
	v_add_co_ci_u32_e64 v14, null, s1, v12, vcc_lo
	v_add_co_u32 v11, vcc_lo, s2, v11
	v_add_co_ci_u32_e64 v12, null, s3, v12, vcc_lo
	global_load_dword v9, v[13:14], off
	global_load_dword v11, v[11:12], off
	s_waitcnt vmcnt(0)
	v_sub_f32_e32 v9, v9, v11
	v_add_f32_e32 v11, v15, v9
	v_add_f32_e32 v15, v9, v11
	v_lshlrev_b64 v[11:12], 2, v[0:1]
	v_add_co_u32 v13, vcc_lo, s0, v11
	v_add_co_ci_u32_e64 v14, null, s1, v12, vcc_lo
	v_add_co_u32 v11, vcc_lo, s2, v11
	v_add_co_ci_u32_e64 v12, null, s3, v12, vcc_lo
	global_load_dword v13, v[13:14], off
	global_load_dword v11, v[11:12], off
	s_waitcnt vmcnt(0)
	v_sub_f32_e32 v11, v13, v11
	v_add_f32_e32 v12, v15, v11
	v_add_f32_e32 v17, v11, v12
	v_mad_u64_u32 v[12:13], null, s12, 12, v[0:1]
	v_mov_b32_e32 v13, v1
	v_lshlrev_b64 v[13:14], 2, v[12:13]
	v_add_co_u32 v15, vcc_lo, s0, v13
	v_add_co_ci_u32_e64 v16, null, s1, v14, vcc_lo
	v_add_co_u32 v13, vcc_lo, s2, v13
	v_add_co_ci_u32_e64 v14, null, s3, v14, vcc_lo
	global_load_dword v0, v[15:16], off
	global_load_dword v13, v[13:14], off
	s_waitcnt vmcnt(0)
	v_sub_f32_e32 v0, v0, v13
	v_add_f32_e32 v16, v17, v0
	v_add_nc_u32_e32 v0, s4, v12
	v_lshlrev_b64 v[12:13], 2, v[0:1]
	v_add_nc_u32_e32 v0, s6, v0
	v_add_co_u32 v14, vcc_lo, s0, v12
	v_add_co_ci_u32_e64 v15, null, s1, v13, vcc_lo
	v_add_co_u32 v12, vcc_lo, s2, v12
	v_add_co_ci_u32_e64 v13, null, s3, v13, vcc_lo
	global_load_dword v14, v[14:15], off
	global_load_dword v12, v[12:13], off
	s_waitcnt vmcnt(0)
	v_sub_f32_e32 v12, v14, v12
	v_sub_f32_e32 v16, v16, v12
	v_lshlrev_b64 v[12:13], 2, v[0:1]
	v_add_nc_u32_e32 v0, s13, v0
	v_add_co_u32 v14, vcc_lo, s0, v12
	v_add_co_ci_u32_e64 v15, null, s1, v13, vcc_lo
	v_add_co_u32 v12, vcc_lo, s2, v12
	v_add_co_ci_u32_e64 v13, null, s3, v13, vcc_lo
	global_load_dword v14, v[14:15], off
	global_load_dword v12, v[12:13], off
	s_waitcnt vmcnt(0)
	v_sub_f32_e32 v12, v14, v12
	v_add_f32_e32 v16, v16, v12
	v_lshlrev_b64 v[12:13], 2, v[0:1]
	v_add_nc_u32_e32 v0, s13, v0
	s_mul_i32 s13, s12, 6
	v_add_co_u32 v14, vcc_lo, s0, v12
	v_add_co_ci_u32_e64 v15, null, s1, v13, vcc_lo
	v_add_co_u32 v12, vcc_lo, s2, v12
	v_add_co_ci_u32_e64 v13, null, s3, v13, vcc_lo
	global_load_dword v14, v[14:15], off
	global_load_dword v12, v[12:13], off
	s_waitcnt vmcnt(0)
	v_sub_f32_e32 v12, v14, v12
	v_add_f32_e32 v16, v16, v12
	v_lshlrev_b64 v[12:13], 2, v[0:1]
	v_add_nc_u32_e32 v0, s12, v0
	v_add_co_u32 v14, vcc_lo, s0, v12
	v_add_co_ci_u32_e64 v15, null, s1, v13, vcc_lo
	v_add_co_u32 v12, vcc_lo, s2, v12
	v_add_co_ci_u32_e64 v13, null, s3, v13, vcc_lo
	global_load_dword v14, v[14:15], off
	global_load_dword v12, v[12:13], off
	s_waitcnt vmcnt(0)
	v_sub_f32_e32 v12, v14, v12
	v_lshlrev_b64 v[13:14], 2, v[0:1]
	v_add_nc_u32_e32 v0, s12, v0
	v_sub_f32_e32 v17, v16, v12
	v_add_co_u32 v15, vcc_lo, s0, v13
	v_add_co_ci_u32_e64 v16, null, s1, v14, vcc_lo
	v_add_co_u32 v13, vcc_lo, s2, v13
	v_add_co_ci_u32_e64 v14, null, s3, v14, vcc_lo
	global_load_dword v15, v[15:16], off
	global_load_dword v13, v[13:14], off
	s_waitcnt vmcnt(0)
	v_sub_f32_e32 v13, v15, v13
	v_sub_f32_e32 v17, v17, v13
	v_lshlrev_b64 v[13:14], 2, v[0:1]
	v_add_nc_u32_e32 v0, s12, v0
	v_add_co_u32 v15, vcc_lo, s0, v13
	v_add_co_ci_u32_e64 v16, null, s1, v14, vcc_lo
	v_add_co_u32 v13, vcc_lo, s2, v13
	v_add_co_ci_u32_e64 v14, null, s3, v14, vcc_lo
	global_load_dword v15, v[15:16], off
	global_load_dword v13, v[13:14], off
	s_waitcnt vmcnt(0)
	v_sub_f32_e32 v13, v15, v13
	v_sub_f32_e32 v17, v17, v13
	v_lshlrev_b64 v[13:14], 2, v[0:1]
	v_add_nc_u32_e32 v0, s4, v0
	v_add_co_u32 v15, vcc_lo, s0, v13
	v_add_co_ci_u32_e64 v16, null, s1, v14, vcc_lo
	v_add_co_u32 v13, vcc_lo, s2, v13
	v_add_co_ci_u32_e64 v14, null, s3, v14, vcc_lo
	global_load_dword v15, v[15:16], off
	global_load_dword v13, v[13:14], off
	s_waitcnt vmcnt(0)
	v_sub_f32_e32 v13, v15, v13
	v_add_f32_e32 v17, v17, v13
	v_lshlrev_b64 v[13:14], 2, v[0:1]
	v_add_co_u32 v15, vcc_lo, s0, v13
	v_add_co_ci_u32_e64 v16, null, s1, v14, vcc_lo
	v_add_co_u32 v13, vcc_lo, s2, v13
	v_add_co_ci_u32_e64 v14, null, s3, v14, vcc_lo
	global_load_dword v15, v[15:16], off
	global_load_dword v13, v[13:14], off
	s_waitcnt vmcnt(0)
	v_sub_f32_e32 v13, v15, v13
	v_add_f32_e32 v18, v17, v13
	v_mad_u64_u32 v[13:14], null, s12, 10, v[0:1]
	v_mov_b32_e32 v14, v1
	v_lshlrev_b64 v[14:15], 2, v[13:14]
	v_add_co_u32 v16, vcc_lo, s0, v14
	v_add_co_ci_u32_e64 v17, null, s1, v15, vcc_lo
	v_add_co_u32 v14, vcc_lo, s2, v14
	v_add_co_ci_u32_e64 v15, null, s3, v15, vcc_lo
	global_load_dword v0, v[16:17], off
	global_load_dword v14, v[14:15], off
	s_waitcnt vmcnt(0)
	v_sub_f32_e32 v0, v0, v14
	v_mad_u64_u32 v[13:14], null, s12, 9, v[13:14]
	v_mov_b32_e32 v14, v1
	v_add_f32_e32 v0, v18, v0
	v_lshlrev_b64 v[14:15], 2, v[13:14]
	v_add_co_u32 v16, vcc_lo, s0, v14
	v_add_co_ci_u32_e64 v17, null, s1, v15, vcc_lo
	v_add_co_u32 v14, vcc_lo, s2, v14
	v_add_co_ci_u32_e64 v15, null, s3, v15, vcc_lo
	global_load_dword v16, v[16:17], off
	global_load_dword v14, v[14:15], off
	s_waitcnt vmcnt(0)
	v_sub_f32_e32 v14, v16, v14
	v_sub_f32_e32 v19, v0, v14
	v_add_nc_u32_e32 v0, s12, v13
	v_lshlrev_b64 v[15:16], 2, v[0:1]
	v_add_co_u32 v17, vcc_lo, s0, v15
	v_add_co_ci_u32_e64 v18, null, s1, v16, vcc_lo
	v_add_co_u32 v15, vcc_lo, s2, v15
	v_add_co_ci_u32_e64 v16, null, s3, v16, vcc_lo
	global_load_dword v13, v[17:18], off
	global_load_dword v15, v[15:16], off
	s_waitcnt vmcnt(0)
	v_sub_f32_e32 v13, v13, v15
	v_mad_u64_u32 v[15:16], null, s12, 3, v[0:1]
	v_mov_b32_e32 v16, v1
	v_sub_f32_e32 v13, v19, v13
	v_lshlrev_b64 v[16:17], 2, v[15:16]
	v_add_co_u32 v18, vcc_lo, s0, v16
	v_add_co_ci_u32_e64 v19, null, s1, v17, vcc_lo
	v_add_co_u32 v16, vcc_lo, s2, v16
	v_add_co_ci_u32_e64 v17, null, s3, v17, vcc_lo
	global_load_dword v0, v[18:19], off
	global_load_dword v16, v[16:17], off
	s_waitcnt vmcnt(0)
	v_sub_f32_e32 v0, v0, v16
	v_add_f32_e32 v13, v13, v0
	v_add_nc_u32_e32 v0, s5, v15
	v_lshlrev_b64 v[15:16], 2, v[0:1]
	v_add_nc_u32_e32 v0, s13, v0
	v_add_co_u32 v17, vcc_lo, s0, v15
	v_add_co_ci_u32_e64 v18, null, s1, v16, vcc_lo
	v_add_co_u32 v15, vcc_lo, s2, v15
	v_add_co_ci_u32_e64 v16, null, s3, v16, vcc_lo
	global_load_dword v17, v[17:18], off
	global_load_dword v15, v[15:16], off
	s_waitcnt vmcnt(0)
	v_sub_f32_e32 v15, v17, v15
	v_add_f32_e32 v13, v13, v15
	v_lshlrev_b64 v[15:16], 2, v[0:1]
	v_add_nc_u32_e32 v0, s12, v0
	v_add_co_u32 v17, vcc_lo, s0, v15
	v_add_co_ci_u32_e64 v18, null, s1, v16, vcc_lo
	v_add_co_u32 v15, vcc_lo, s2, v15
	v_add_co_ci_u32_e64 v16, null, s3, v16, vcc_lo
	global_load_dword v17, v[17:18], off
	global_load_dword v15, v[15:16], off
	s_waitcnt vmcnt(0)
	v_sub_f32_e32 v15, v17, v15
	v_add_f32_e32 v13, v13, v15
	v_lshlrev_b64 v[15:16], 2, v[0:1]
	v_add_nc_u32_e32 v0, s6, v0
	v_add_co_u32 v17, vcc_lo, s0, v15
	v_add_co_ci_u32_e64 v18, null, s1, v16, vcc_lo
	v_add_co_u32 v15, vcc_lo, s2, v15
	v_add_co_ci_u32_e64 v16, null, s3, v16, vcc_lo
	global_load_dword v17, v[17:18], off
	global_load_dword v15, v[15:16], off
	s_waitcnt vmcnt(0)
	v_sub_f32_e32 v16, v17, v15
	v_lshlrev_b64 v[17:18], 2, v[0:1]
	v_add_nc_u32_e32 v0, s4, v0
	v_sub_f32_e32 v13, v13, v16
	v_add_co_u32 v19, vcc_lo, s0, v17
	v_add_co_ci_u32_e64 v20, null, s1, v18, vcc_lo
	v_add_co_u32 v17, vcc_lo, s2, v17
	v_add_co_ci_u32_e64 v18, null, s3, v18, vcc_lo
	global_load_dword v15, v[19:20], off
	global_load_dword v17, v[17:18], off
	s_waitcnt vmcnt(0)
	v_sub_f32_e32 v15, v15, v17
	v_lshlrev_b64 v[17:18], 2, v[0:1]
	v_add_nc_u32_e32 v0, s5, v0
	s_load_dwordx2 s[4:5], s[10:11], 0x20
	v_add_f32_e32 v13, v13, v15
	v_add_co_u32 v19, vcc_lo, s0, v17
	v_add_co_ci_u32_e64 v20, null, s1, v18, vcc_lo
	v_add_co_u32 v17, vcc_lo, s2, v17
	v_add_co_ci_u32_e64 v18, null, s3, v18, vcc_lo
	global_load_dword v15, v[19:20], off
	global_load_dword v17, v[17:18], off
	s_waitcnt vmcnt(0)
	v_sub_f32_e32 v15, v15, v17
	v_lshlrev_b64 v[17:18], 2, v[0:1]
	v_add_nc_u32_e32 v0, s12, v0
	v_add_f32_e32 v15, v13, v15
	v_add_co_u32 v19, vcc_lo, s0, v17
	v_add_co_ci_u32_e64 v20, null, s1, v18, vcc_lo
	v_add_co_u32 v17, vcc_lo, s2, v17
	v_add_co_ci_u32_e64 v18, null, s3, v18, vcc_lo
	global_load_dword v13, v[19:20], off
	global_load_dword v17, v[17:18], off
	s_waitcnt vmcnt(0)
	v_sub_f32_e32 v13, v13, v17
	v_lshlrev_b64 v[17:18], 2, v[0:1]
	v_add_nc_u32_e32 v0, s13, v0
	v_sub_f32_e32 v15, v15, v13
	v_add_co_u32 v19, vcc_lo, s0, v17
	v_add_co_ci_u32_e64 v20, null, s1, v18, vcc_lo
	v_add_co_u32 v17, vcc_lo, s2, v17
	v_add_co_ci_u32_e64 v18, null, s3, v18, vcc_lo
	global_load_dword v19, v[19:20], off
	global_load_dword v17, v[17:18], off
	s_waitcnt vmcnt(0)
	v_sub_f32_e32 v17, v19, v17
	v_add_f32_e32 v21, v15, v17
	v_lshlrev_b64 v[17:18], 2, v[0:1]
	v_add_nc_u32_e32 v0, s12, v0
	v_add_co_u32 v19, vcc_lo, s0, v17
	v_add_co_ci_u32_e64 v20, null, s1, v18, vcc_lo
	v_add_co_u32 v17, vcc_lo, s2, v17
	v_add_co_ci_u32_e64 v18, null, s3, v18, vcc_lo
	global_load_dword v15, v[19:20], off
	global_load_dword v17, v[17:18], off
	s_waitcnt vmcnt(0)
	v_sub_f32_e32 v15, v15, v17
	v_lshlrev_b64 v[17:18], 2, v[0:1]
	v_sub_f32_e32 v21, v21, v15
	v_add_co_u32 v19, vcc_lo, s0, v17
	v_add_co_ci_u32_e64 v20, null, s1, v18, vcc_lo
	v_add_co_u32 v17, vcc_lo, s2, v17
	v_add_co_ci_u32_e64 v18, null, s3, v18, vcc_lo
	global_load_dword v19, v[19:20], off
	global_load_dword v17, v[17:18], off
	s_waitcnt vmcnt(0)
	v_sub_f32_e32 v17, v19, v17
	v_add_f32_e32 v17, v21, v17
	v_mul_f32_e32 v17, s7, v17
	s_waitcnt lgkmcnt(0)
	v_mul_f32_e32 v21, s4, v17
	v_mad_u64_u32 v[17:18], null, 0xffffff3b, s12, v[0:1]
	v_mov_b32_e32 v18, v1
	v_add_f32_e32 v0, v2, v3
	v_mad_u64_u32 v[2:3], null, 0x60, s12, v[17:18]
	v_mov_b32_e32 v3, v1
	v_lshlrev_b64 v[19:20], 2, v[17:18]
	v_add_f32_e32 v0, v0, v4
	v_lshlrev_b64 v[3:4], 2, v[2:3]
	v_add_f32_e32 v0, v0, v5
	v_add_co_u32 v19, vcc_lo, s8, v19
	v_add_co_ci_u32_e64 v20, null, s9, v20, vcc_lo
	v_add_co_u32 v5, vcc_lo, s0, v3
	v_add_f32_e32 v0, v0, v6
	v_add_co_ci_u32_e64 v6, null, s1, v4, vcc_lo
	v_add_co_u32 v3, vcc_lo, s2, v3
	v_add_co_ci_u32_e64 v4, null, s3, v4, vcc_lo
	global_load_dword v5, v[5:6], off
	v_sub_f32_e32 v0, v0, v7
	global_store_dword v[19:20], v21, off
	global_load_dword v3, v[3:4], off
	v_sub_f32_e32 v0, v0, v8
	v_sub_f32_e32 v0, v0, v10
	s_waitcnt vmcnt(0)
	v_sub_f32_e32 v3, v5, v3
	v_sub_f32_e32 v0, v0, v3
	v_mad_u64_u32 v[2:3], null, s12, 61, v[2:3]
	v_mov_b32_e32 v3, v1
	v_sub_f32_e32 v0, v0, v9
	v_lshlrev_b64 v[3:4], 2, v[2:3]
	v_sub_f32_e32 v0, v0, v11
	v_add_co_u32 v5, vcc_lo, s0, v3
	v_add_co_ci_u32_e64 v6, null, s1, v4, vcc_lo
	v_add_co_u32 v3, vcc_lo, s2, v3
	v_add_co_ci_u32_e64 v4, null, s3, v4, vcc_lo
	global_load_dword v5, v[5:6], off
	v_add_f32_e32 v0, v12, v0
	global_load_dword v3, v[3:4], off
	s_waitcnt vmcnt(0)
	v_sub_f32_e32 v3, v5, v3
	v_add_f32_e32 v0, v3, v0
	v_mad_u64_u32 v[2:3], null, s12, 20, v[2:3]
	v_mov_b32_e32 v3, v1
	v_add_f32_e32 v0, v14, v0
	v_lshlrev_b64 v[3:4], 2, v[2:3]
	v_add_f32_e32 v0, v16, v0
	v_add_co_u32 v5, vcc_lo, s0, v3
	v_add_co_ci_u32_e64 v6, null, s1, v4, vcc_lo
	v_add_co_u32 v3, vcc_lo, s2, v3
	v_add_co_ci_u32_e64 v4, null, s3, v4, vcc_lo
	global_load_dword v5, v[5:6], off
	global_load_dword v3, v[3:4], off
	s_waitcnt vmcnt(0)
	v_sub_f32_e32 v3, v5, v3
	v_add_f32_e32 v0, v3, v0
	v_mad_u64_u32 v[2:3], null, 0xffffff50, s12, v[2:3]
	v_mov_b32_e32 v3, v1
	v_add_f32_e32 v0, v13, v0
	v_add_f32_e32 v0, v15, v0
	v_mul_f32_e32 v0, s7, v0
	v_mul_f32_e32 v4, s5, v0
	v_lshlrev_b64 v[0:1], 2, v[2:3]
	v_add_co_u32 v0, vcc_lo, s8, v0
	v_add_co_ci_u32_e64 v1, null, s9, v1, vcc_lo
	global_store_dword v[0:1], v4, off
	s_endpgm
	.section	.rodata,"a",@progbits
	.p2align	6, 0x0
	.amdhsa_kernel _Z14rdwdot7_kernelIfEvPKT_S2_PS0_S0_S2_
		.amdhsa_group_segment_fixed_size 0
		.amdhsa_private_segment_fixed_size 0
		.amdhsa_kernarg_size 296
		.amdhsa_user_sgpr_count 6
		.amdhsa_user_sgpr_private_segment_buffer 1
		.amdhsa_user_sgpr_dispatch_ptr 0
		.amdhsa_user_sgpr_queue_ptr 0
		.amdhsa_user_sgpr_kernarg_segment_ptr 1
		.amdhsa_user_sgpr_dispatch_id 0
		.amdhsa_user_sgpr_flat_scratch_init 0
		.amdhsa_user_sgpr_private_segment_size 0
		.amdhsa_wavefront_size32 1
		.amdhsa_uses_dynamic_stack 0
		.amdhsa_system_sgpr_private_segment_wavefront_offset 0
		.amdhsa_system_sgpr_workgroup_id_x 1
		.amdhsa_system_sgpr_workgroup_id_y 0
		.amdhsa_system_sgpr_workgroup_id_z 0
		.amdhsa_system_sgpr_workgroup_info 0
		.amdhsa_system_vgpr_workitem_id 0
		.amdhsa_next_free_vgpr 22
		.amdhsa_next_free_sgpr 14
		.amdhsa_reserve_vcc 1
		.amdhsa_reserve_flat_scratch 0
		.amdhsa_float_round_mode_32 0
		.amdhsa_float_round_mode_16_64 0
		.amdhsa_float_denorm_mode_32 3
		.amdhsa_float_denorm_mode_16_64 3
		.amdhsa_dx10_clamp 1
		.amdhsa_ieee_mode 1
		.amdhsa_fp16_overflow 0
		.amdhsa_workgroup_processor_mode 1
		.amdhsa_memory_ordered 1
		.amdhsa_forward_progress 1
		.amdhsa_shared_vgpr_count 0
		.amdhsa_exception_fp_ieee_invalid_op 0
		.amdhsa_exception_fp_denorm_src 0
		.amdhsa_exception_fp_ieee_div_zero 0
		.amdhsa_exception_fp_ieee_overflow 0
		.amdhsa_exception_fp_ieee_underflow 0
		.amdhsa_exception_fp_ieee_inexact 0
		.amdhsa_exception_int_div_zero 0
	.end_amdhsa_kernel
	.section	.text._Z14rdwdot7_kernelIfEvPKT_S2_PS0_S0_S2_,"axG",@progbits,_Z14rdwdot7_kernelIfEvPKT_S2_PS0_S0_S2_,comdat
.Lfunc_end23:
	.size	_Z14rdwdot7_kernelIfEvPKT_S2_PS0_S0_S2_, .Lfunc_end23-_Z14rdwdot7_kernelIfEvPKT_S2_PS0_S0_S2_
                                        ; -- End function
	.set _Z14rdwdot7_kernelIfEvPKT_S2_PS0_S0_S2_.num_vgpr, 22
	.set _Z14rdwdot7_kernelIfEvPKT_S2_PS0_S0_S2_.num_agpr, 0
	.set _Z14rdwdot7_kernelIfEvPKT_S2_PS0_S0_S2_.numbered_sgpr, 14
	.set _Z14rdwdot7_kernelIfEvPKT_S2_PS0_S0_S2_.num_named_barrier, 0
	.set _Z14rdwdot7_kernelIfEvPKT_S2_PS0_S0_S2_.private_seg_size, 0
	.set _Z14rdwdot7_kernelIfEvPKT_S2_PS0_S0_S2_.uses_vcc, 1
	.set _Z14rdwdot7_kernelIfEvPKT_S2_PS0_S0_S2_.uses_flat_scratch, 0
	.set _Z14rdwdot7_kernelIfEvPKT_S2_PS0_S0_S2_.has_dyn_sized_stack, 0
	.set _Z14rdwdot7_kernelIfEvPKT_S2_PS0_S0_S2_.has_recursion, 0
	.set _Z14rdwdot7_kernelIfEvPKT_S2_PS0_S0_S2_.has_indirect_call, 0
	.section	.AMDGPU.csdata,"",@progbits
; Kernel info:
; codeLenInByte = 4120
; TotalNumSgprs: 16
; NumVgprs: 22
; ScratchSize: 0
; MemoryBound: 0
; FloatMode: 240
; IeeeMode: 1
; LDSByteSize: 0 bytes/workgroup (compile time only)
; SGPRBlocks: 0
; VGPRBlocks: 2
; NumSGPRsForWavesPerEU: 16
; NumVGPRsForWavesPerEU: 22
; Occupancy: 16
; WaveLimiterHint : 0
; COMPUTE_PGM_RSRC2:SCRATCH_EN: 0
; COMPUTE_PGM_RSRC2:USER_SGPR: 6
; COMPUTE_PGM_RSRC2:TRAP_HANDLER: 0
; COMPUTE_PGM_RSRC2:TGID_X_EN: 1
; COMPUTE_PGM_RSRC2:TGID_Y_EN: 0
; COMPUTE_PGM_RSRC2:TGID_Z_EN: 0
; COMPUTE_PGM_RSRC2:TIDIG_COMP_CNT: 0
	.section	.text._Z14rdwdot8_kernelIfEvPKT_S2_PS0_S0_S2_,"axG",@progbits,_Z14rdwdot8_kernelIfEvPKT_S2_PS0_S0_S2_,comdat
	.protected	_Z14rdwdot8_kernelIfEvPKT_S2_PS0_S0_S2_ ; -- Begin function _Z14rdwdot8_kernelIfEvPKT_S2_PS0_S0_S2_
	.globl	_Z14rdwdot8_kernelIfEvPKT_S2_PS0_S0_S2_
	.p2align	8
	.type	_Z14rdwdot8_kernelIfEvPKT_S2_PS0_S0_S2_,@function
_Z14rdwdot8_kernelIfEvPKT_S2_PS0_S0_S2_: ; @_Z14rdwdot8_kernelIfEvPKT_S2_PS0_S0_S2_
; %bb.0:
	s_clause 0x5
	s_load_dwordx4 s[0:3], s[4:5], 0x0
	s_load_dwordx2 s[8:9], s[4:5], 0x10
	s_load_dword s12, s[4:5], 0x18
	s_load_dwordx2 s[10:11], s[4:5], 0x20
	s_load_dword s7, s[4:5], 0x28
	s_load_dword s4, s[4:5], 0x34
	v_mov_b32_e32 v1, 0
	s_waitcnt lgkmcnt(0)
	s_and_b32 s5, s4, 0xffff
	s_mul_i32 s7, s7, s5
	s_mul_i32 s6, s6, s5
	;; [unrolled: 1-line block ×4, first 2 shown]
	v_add3_u32 v0, s4, s6, v0
	s_mul_i32 s6, s7, 3
	v_lshlrev_b64 v[2:3], 2, v[0:1]
	v_add_nc_u32_e32 v0, s7, v0
	v_add_co_u32 v4, vcc_lo, s0, v2
	v_add_co_ci_u32_e64 v5, null, s1, v3, vcc_lo
	v_add_co_u32 v2, vcc_lo, s2, v2
	v_add_co_ci_u32_e64 v3, null, s3, v3, vcc_lo
	global_load_dword v4, v[4:5], off
	global_load_dword v2, v[2:3], off
	s_waitcnt vmcnt(0)
	v_sub_f32_e32 v6, v4, v2
	v_lshlrev_b64 v[2:3], 2, v[0:1]
	v_add_nc_u32_e32 v0, s7, v0
	v_add_co_u32 v4, vcc_lo, s0, v2
	v_add_co_ci_u32_e64 v5, null, s1, v3, vcc_lo
	v_add_co_u32 v2, vcc_lo, s2, v2
	v_add_co_ci_u32_e64 v3, null, s3, v3, vcc_lo
	global_load_dword v4, v[4:5], off
	global_load_dword v2, v[2:3], off
	s_waitcnt vmcnt(0)
	v_sub_f32_e32 v2, v4, v2
	v_add_f32_e32 v6, v6, v2
	v_lshlrev_b64 v[2:3], 2, v[0:1]
	v_add_nc_u32_e32 v0, s7, v0
	v_add_co_u32 v4, vcc_lo, s0, v2
	v_add_co_ci_u32_e64 v5, null, s1, v3, vcc_lo
	v_add_co_u32 v2, vcc_lo, s2, v2
	v_add_co_ci_u32_e64 v3, null, s3, v3, vcc_lo
	global_load_dword v4, v[4:5], off
	global_load_dword v2, v[2:3], off
	s_waitcnt vmcnt(0)
	v_sub_f32_e32 v2, v4, v2
	v_add_f32_e32 v6, v6, v2
	;; [unrolled: 11-line block ×3, first 2 shown]
	v_lshlrev_b64 v[2:3], 2, v[0:1]
	v_add_nc_u32_e32 v0, s7, v0
	v_add_co_u32 v4, vcc_lo, s0, v2
	v_add_co_ci_u32_e64 v5, null, s1, v3, vcc_lo
	v_add_co_u32 v2, vcc_lo, s2, v2
	v_add_co_ci_u32_e64 v3, null, s3, v3, vcc_lo
	global_load_dword v4, v[4:5], off
	global_load_dword v2, v[2:3], off
	s_waitcnt vmcnt(0)
	v_sub_f32_e32 v6, v4, v2
	v_lshlrev_b64 v[2:3], 2, v[0:1]
	v_lshl_add_u32 v0, s7, 2, v0
	v_add_co_u32 v4, vcc_lo, s0, v2
	v_add_co_ci_u32_e64 v5, null, s1, v3, vcc_lo
	v_add_co_u32 v2, vcc_lo, s2, v2
	v_add_co_ci_u32_e64 v3, null, s3, v3, vcc_lo
	global_load_dword v4, v[4:5], off
	global_load_dword v2, v[2:3], off
	s_waitcnt vmcnt(0)
	v_sub_f32_e32 v2, v4, v2
	v_lshlrev_b64 v[3:4], 2, v[0:1]
	v_add_nc_u32_e32 v0, s7, v0
	v_add_f32_e32 v2, v6, v2
	v_add_co_u32 v5, vcc_lo, s0, v3
	v_add_co_ci_u32_e64 v6, null, s1, v4, vcc_lo
	v_add_co_u32 v3, vcc_lo, s2, v3
	v_add_co_ci_u32_e64 v4, null, s3, v4, vcc_lo
	global_load_dword v5, v[5:6], off
	global_load_dword v3, v[3:4], off
	s_waitcnt vmcnt(0)
	v_sub_f32_e32 v7, v5, v3
	v_lshlrev_b64 v[3:4], 2, v[0:1]
	v_add_co_u32 v5, vcc_lo, s0, v3
	v_add_co_ci_u32_e64 v6, null, s1, v4, vcc_lo
	v_add_co_u32 v3, vcc_lo, s2, v3
	v_add_co_ci_u32_e64 v4, null, s3, v4, vcc_lo
	global_load_dword v5, v[5:6], off
	global_load_dword v3, v[3:4], off
	s_waitcnt vmcnt(0)
	v_sub_f32_e32 v3, v5, v3
	v_mad_u64_u32 v[4:5], null, s7, -11, v[0:1]
	v_mov_b32_e32 v5, v1
	v_add_f32_e32 v3, v7, v3
	v_lshlrev_b64 v[5:6], 2, v[4:5]
	v_add_co_u32 v7, vcc_lo, s0, v5
	v_add_co_ci_u32_e64 v8, null, s1, v6, vcc_lo
	v_add_co_u32 v5, vcc_lo, s2, v5
	v_add_co_ci_u32_e64 v6, null, s3, v6, vcc_lo
	global_load_dword v0, v[7:8], off
	global_load_dword v5, v[5:6], off
	s_waitcnt vmcnt(0)
	v_sub_f32_e32 v0, v0, v5
	v_sub_f32_e32 v8, v9, v0
	v_add_nc_u32_e32 v0, s7, v4
	v_lshlrev_b64 v[4:5], 2, v[0:1]
	v_add_nc_u32_e32 v0, s7, v0
	v_add_co_u32 v6, vcc_lo, s0, v4
	v_add_co_ci_u32_e64 v7, null, s1, v5, vcc_lo
	v_add_co_u32 v4, vcc_lo, s2, v4
	v_add_co_ci_u32_e64 v5, null, s3, v5, vcc_lo
	global_load_dword v6, v[6:7], off
	global_load_dword v4, v[4:5], off
	s_waitcnt vmcnt(0)
	v_sub_f32_e32 v4, v6, v4
	v_sub_f32_e32 v8, v8, v4
	v_lshlrev_b64 v[4:5], 2, v[0:1]
	v_add_nc_u32_e32 v0, s7, v0
	v_add_co_u32 v6, vcc_lo, s0, v4
	v_add_co_ci_u32_e64 v7, null, s1, v5, vcc_lo
	v_add_co_u32 v4, vcc_lo, s2, v4
	v_add_co_ci_u32_e64 v5, null, s3, v5, vcc_lo
	global_load_dword v6, v[6:7], off
	global_load_dword v4, v[4:5], off
	s_waitcnt vmcnt(0)
	v_sub_f32_e32 v4, v6, v4
	v_sub_f32_e32 v8, v8, v4
	;; [unrolled: 11-line block ×4, first 2 shown]
	v_sub_f32_e32 v4, v4, v2
	v_sub_f32_e32 v8, v4, v2
	v_lshlrev_b64 v[4:5], 2, v[0:1]
	v_lshl_add_u32 v0, s7, 1, v0
	v_add_co_u32 v6, vcc_lo, s0, v4
	v_add_co_ci_u32_e64 v7, null, s1, v5, vcc_lo
	v_add_co_u32 v4, vcc_lo, s2, v4
	v_add_co_ci_u32_e64 v5, null, s3, v5, vcc_lo
	global_load_dword v6, v[6:7], off
	global_load_dword v4, v[4:5], off
	s_waitcnt vmcnt(0)
	v_sub_f32_e32 v4, v6, v4
	v_lshlrev_b64 v[5:6], 2, v[0:1]
	v_add_nc_u32_e32 v0, s5, v0
	s_lshl_b32 s5, s7, 3
	v_add_f32_e32 v9, v4, v8
	v_add_co_u32 v7, vcc_lo, s0, v5
	v_add_co_ci_u32_e64 v8, null, s1, v6, vcc_lo
	v_add_co_u32 v5, vcc_lo, s2, v5
	v_add_co_ci_u32_e64 v6, null, s3, v6, vcc_lo
	global_load_dword v7, v[7:8], off
	global_load_dword v5, v[5:6], off
	s_waitcnt vmcnt(0)
	v_sub_f32_e32 v5, v7, v5
	v_add_f32_e32 v6, v9, v5
	v_add_f32_e32 v10, v3, v6
	v_lshlrev_b64 v[6:7], 2, v[0:1]
	v_add_co_u32 v8, vcc_lo, s0, v6
	v_add_co_ci_u32_e64 v9, null, s1, v7, vcc_lo
	v_add_co_u32 v6, vcc_lo, s2, v6
	v_add_co_ci_u32_e64 v7, null, s3, v7, vcc_lo
	global_load_dword v8, v[8:9], off
	global_load_dword v6, v[6:7], off
	s_waitcnt vmcnt(0)
	v_sub_f32_e32 v6, v8, v6
	v_sub_f32_e32 v11, v10, v6
	v_mad_u64_u32 v[6:7], null, s7, 14, v[0:1]
	v_mov_b32_e32 v7, v1
	v_lshlrev_b64 v[7:8], 2, v[6:7]
	v_add_co_u32 v9, vcc_lo, s0, v7
	v_add_co_ci_u32_e64 v10, null, s1, v8, vcc_lo
	v_add_co_u32 v7, vcc_lo, s2, v7
	v_add_co_ci_u32_e64 v8, null, s3, v8, vcc_lo
	global_load_dword v0, v[9:10], off
	global_load_dword v7, v[7:8], off
	s_waitcnt vmcnt(0)
	v_sub_f32_e32 v0, v0, v7
	v_add_f32_e32 v10, v11, v0
	v_add_nc_u32_e32 v0, s5, v6
	v_lshlrev_b64 v[6:7], 2, v[0:1]
	v_add_co_u32 v8, vcc_lo, s0, v6
	v_add_co_ci_u32_e64 v9, null, s1, v7, vcc_lo
	v_add_co_u32 v6, vcc_lo, s2, v6
	v_add_co_ci_u32_e64 v7, null, s3, v7, vcc_lo
	global_load_dword v8, v[8:9], off
	global_load_dword v6, v[6:7], off
	s_waitcnt vmcnt(0)
	v_sub_f32_e32 v6, v8, v6
	v_sub_f32_e32 v11, v10, v6
	v_mad_u64_u32 v[6:7], null, s7, 20, v[0:1]
	v_mov_b32_e32 v7, v1
	v_lshlrev_b64 v[7:8], 2, v[6:7]
	v_add_co_u32 v9, vcc_lo, s0, v7
	v_add_co_ci_u32_e64 v10, null, s1, v8, vcc_lo
	v_add_co_u32 v7, vcc_lo, s2, v7
	v_add_co_ci_u32_e64 v8, null, s3, v8, vcc_lo
	global_load_dword v0, v[9:10], off
	global_load_dword v7, v[7:8], off
	s_waitcnt vmcnt(0)
	v_sub_f32_e32 v0, v0, v7
	v_add_f32_e32 v10, v11, v0
	v_add_nc_u32_e32 v0, s7, v6
	v_lshlrev_b64 v[6:7], 2, v[0:1]
	v_add_nc_u32_e32 v0, s5, v0
	v_add_co_u32 v8, vcc_lo, s0, v6
	v_add_co_ci_u32_e64 v9, null, s1, v7, vcc_lo
	v_add_co_u32 v6, vcc_lo, s2, v6
	v_add_co_ci_u32_e64 v7, null, s3, v7, vcc_lo
	global_load_dword v8, v[8:9], off
	global_load_dword v6, v[6:7], off
	s_waitcnt vmcnt(0)
	v_sub_f32_e32 v6, v8, v6
	v_lshlrev_b64 v[7:8], 2, v[0:1]
	v_add_nc_u32_e32 v0, s7, v0
	v_sub_f32_e32 v11, v10, v6
	v_add_co_u32 v9, vcc_lo, s0, v7
	v_add_co_ci_u32_e64 v10, null, s1, v8, vcc_lo
	v_add_co_u32 v7, vcc_lo, s2, v7
	v_add_co_ci_u32_e64 v8, null, s3, v8, vcc_lo
	global_load_dword v9, v[9:10], off
	global_load_dword v7, v[7:8], off
	s_waitcnt vmcnt(0)
	v_sub_f32_e32 v7, v9, v7
	v_sub_f32_e32 v11, v11, v7
	v_lshlrev_b64 v[7:8], 2, v[0:1]
	v_add_nc_u32_e32 v0, s7, v0
	v_add_co_u32 v9, vcc_lo, s0, v7
	v_add_co_ci_u32_e64 v10, null, s1, v8, vcc_lo
	v_add_co_u32 v7, vcc_lo, s2, v7
	v_add_co_ci_u32_e64 v8, null, s3, v8, vcc_lo
	global_load_dword v9, v[9:10], off
	global_load_dword v7, v[7:8], off
	s_waitcnt vmcnt(0)
	v_sub_f32_e32 v7, v9, v7
	v_sub_f32_e32 v11, v11, v7
	v_lshlrev_b64 v[7:8], 2, v[0:1]
	v_add_co_u32 v9, vcc_lo, s0, v7
	v_add_co_ci_u32_e64 v10, null, s1, v8, vcc_lo
	v_add_co_u32 v7, vcc_lo, s2, v7
	v_add_co_ci_u32_e64 v8, null, s3, v8, vcc_lo
	global_load_dword v9, v[9:10], off
	global_load_dword v7, v[7:8], off
	s_waitcnt vmcnt(0)
	v_sub_f32_e32 v7, v9, v7
	v_mad_u64_u32 v[8:9], null, s7, 15, v[0:1]
	v_mov_b32_e32 v9, v1
	v_add_f32_e32 v13, v11, v7
	v_lshlrev_b64 v[9:10], 2, v[8:9]
	v_add_co_u32 v11, vcc_lo, s0, v9
	v_add_co_ci_u32_e64 v12, null, s1, v10, vcc_lo
	v_add_co_u32 v9, vcc_lo, s2, v9
	v_add_co_ci_u32_e64 v10, null, s3, v10, vcc_lo
	global_load_dword v0, v[11:12], off
	global_load_dword v9, v[9:10], off
	s_waitcnt vmcnt(0)
	v_sub_f32_e32 v0, v0, v9
	v_mad_u64_u32 v[8:9], null, s7, 37, v[8:9]
	v_mov_b32_e32 v9, v1
	v_add_f32_e32 v0, v13, v0
	v_lshlrev_b64 v[9:10], 2, v[8:9]
	v_add_co_u32 v11, vcc_lo, s0, v9
	v_add_co_ci_u32_e64 v12, null, s1, v10, vcc_lo
	v_add_co_u32 v9, vcc_lo, s2, v9
	v_add_co_ci_u32_e64 v10, null, s3, v10, vcc_lo
	global_load_dword v11, v[11:12], off
	global_load_dword v9, v[9:10], off
	s_waitcnt vmcnt(0)
	v_sub_f32_e32 v9, v11, v9
	v_add_f32_e32 v12, v0, v9
	v_add_nc_u32_e32 v0, s6, v8
	s_mul_i32 s6, s7, 9
	v_lshlrev_b64 v[8:9], 2, v[0:1]
	v_add_nc_u32_e32 v0, s7, v0
	v_add_co_u32 v10, vcc_lo, s0, v8
	v_add_co_ci_u32_e64 v11, null, s1, v9, vcc_lo
	v_add_co_u32 v8, vcc_lo, s2, v8
	v_add_co_ci_u32_e64 v9, null, s3, v9, vcc_lo
	global_load_dword v10, v[10:11], off
	global_load_dword v8, v[8:9], off
	s_waitcnt vmcnt(0)
	v_sub_f32_e32 v8, v10, v8
	v_sub_f32_e32 v12, v12, v8
	v_lshlrev_b64 v[8:9], 2, v[0:1]
	v_add_nc_u32_e32 v0, s4, v0
	v_add_co_u32 v10, vcc_lo, s0, v8
	v_add_co_ci_u32_e64 v11, null, s1, v9, vcc_lo
	v_add_co_u32 v8, vcc_lo, s2, v8
	v_add_co_ci_u32_e64 v9, null, s3, v9, vcc_lo
	global_load_dword v10, v[10:11], off
	global_load_dword v8, v[8:9], off
	s_waitcnt vmcnt(0)
	v_sub_f32_e32 v8, v10, v8
	v_lshlrev_b64 v[9:10], 2, v[0:1]
	v_add_nc_u32_e32 v0, s6, v0
	v_add_f32_e32 v13, v12, v8
	v_add_co_u32 v11, vcc_lo, s0, v9
	v_add_co_ci_u32_e64 v12, null, s1, v10, vcc_lo
	v_add_co_u32 v9, vcc_lo, s2, v9
	v_add_co_ci_u32_e64 v10, null, s3, v10, vcc_lo
	global_load_dword v11, v[11:12], off
	global_load_dword v9, v[9:10], off
	s_waitcnt vmcnt(0)
	v_sub_f32_e32 v9, v11, v9
	v_add_f32_e32 v13, v13, v9
	v_lshlrev_b64 v[9:10], 2, v[0:1]
	v_add_nc_u32_e32 v0, s7, v0
	v_add_co_u32 v11, vcc_lo, s0, v9
	v_add_co_ci_u32_e64 v12, null, s1, v10, vcc_lo
	v_add_co_u32 v9, vcc_lo, s2, v9
	v_add_co_ci_u32_e64 v10, null, s3, v10, vcc_lo
	global_load_dword v11, v[11:12], off
	global_load_dword v9, v[9:10], off
	s_waitcnt vmcnt(0)
	v_sub_f32_e32 v9, v11, v9
	v_add_f32_e32 v13, v13, v9
	v_lshlrev_b64 v[9:10], 2, v[0:1]
	v_add_nc_u32_e32 v0, s4, v0
	s_load_dwordx2 s[4:5], s[10:11], 0x18
	v_add_co_u32 v11, vcc_lo, s0, v9
	v_add_co_ci_u32_e64 v12, null, s1, v10, vcc_lo
	v_add_co_u32 v9, vcc_lo, s2, v9
	v_add_co_ci_u32_e64 v10, null, s3, v10, vcc_lo
	global_load_dword v11, v[11:12], off
	global_load_dword v9, v[9:10], off
	s_waitcnt vmcnt(0)
	v_sub_f32_e32 v9, v11, v9
	v_sub_f32_e32 v13, v13, v9
	v_lshlrev_b64 v[9:10], 2, v[0:1]
	v_add_nc_u32_e32 v0, s7, v0
	v_add_co_u32 v11, vcc_lo, s0, v9
	v_add_co_ci_u32_e64 v12, null, s1, v10, vcc_lo
	v_add_co_u32 v9, vcc_lo, s2, v9
	v_add_co_ci_u32_e64 v10, null, s3, v10, vcc_lo
	global_load_dword v11, v[11:12], off
	global_load_dword v9, v[9:10], off
	s_waitcnt vmcnt(0)
	v_sub_f32_e32 v9, v11, v9
	v_add_f32_e32 v13, v13, v9
	v_lshlrev_b64 v[9:10], 2, v[0:1]
	v_add_nc_u32_e32 v0, s7, v0
	v_add_co_u32 v11, vcc_lo, s0, v9
	v_add_co_ci_u32_e64 v12, null, s1, v10, vcc_lo
	v_add_co_u32 v9, vcc_lo, s2, v9
	v_add_co_ci_u32_e64 v10, null, s3, v10, vcc_lo
	global_load_dword v11, v[11:12], off
	global_load_dword v9, v[9:10], off
	s_waitcnt vmcnt(0)
	v_sub_f32_e32 v9, v11, v9
	v_sub_f32_e32 v13, v13, v9
	v_lshlrev_b64 v[9:10], 2, v[0:1]
	v_add_nc_u32_e32 v0, s7, v0
	v_add_co_u32 v11, vcc_lo, s0, v9
	v_add_co_ci_u32_e64 v12, null, s1, v10, vcc_lo
	v_add_co_u32 v9, vcc_lo, s2, v9
	v_add_co_ci_u32_e64 v10, null, s3, v10, vcc_lo
	global_load_dword v11, v[11:12], off
	global_load_dword v9, v[9:10], off
	s_waitcnt vmcnt(0)
	v_sub_f32_e32 v9, v11, v9
	v_lshlrev_b64 v[10:11], 2, v[0:1]
	v_add_nc_u32_e32 v0, s7, v0
	v_sub_f32_e32 v14, v13, v9
	v_add_co_u32 v12, vcc_lo, s0, v10
	v_add_co_ci_u32_e64 v13, null, s1, v11, vcc_lo
	v_add_co_u32 v10, vcc_lo, s2, v10
	v_add_co_ci_u32_e64 v11, null, s3, v11, vcc_lo
	global_load_dword v12, v[12:13], off
	global_load_dword v10, v[10:11], off
	s_waitcnt vmcnt(0)
	v_sub_f32_e32 v10, v12, v10
	v_sub_f32_e32 v14, v14, v10
	v_lshlrev_b64 v[10:11], 2, v[0:1]
	v_add_nc_u32_e32 v0, s6, v0
	v_add_co_u32 v12, vcc_lo, s0, v10
	v_add_co_ci_u32_e64 v13, null, s1, v11, vcc_lo
	v_add_co_u32 v10, vcc_lo, s2, v10
	v_add_co_ci_u32_e64 v11, null, s3, v11, vcc_lo
	global_load_dword v12, v[12:13], off
	global_load_dword v10, v[10:11], off
	s_waitcnt vmcnt(0)
	v_sub_f32_e32 v10, v12, v10
	v_lshlrev_b64 v[11:12], 2, v[0:1]
	v_add_nc_u32_e32 v0, s7, v0
	v_add_f32_e32 v15, v14, v10
	v_add_co_u32 v13, vcc_lo, s0, v11
	v_add_co_ci_u32_e64 v14, null, s1, v12, vcc_lo
	v_add_co_u32 v11, vcc_lo, s2, v11
	v_add_co_ci_u32_e64 v12, null, s3, v12, vcc_lo
	global_load_dword v13, v[13:14], off
	global_load_dword v11, v[11:12], off
	s_waitcnt vmcnt(0)
	v_sub_f32_e32 v11, v13, v11
	v_sub_f32_e32 v15, v15, v11
	v_lshlrev_b64 v[11:12], 2, v[0:1]
	v_add_nc_u32_e32 v0, s6, v0
	v_add_co_u32 v13, vcc_lo, s0, v11
	v_add_co_ci_u32_e64 v14, null, s1, v12, vcc_lo
	v_add_co_u32 v11, vcc_lo, s2, v11
	v_add_co_ci_u32_e64 v12, null, s3, v12, vcc_lo
	global_load_dword v13, v[13:14], off
	global_load_dword v11, v[11:12], off
	s_waitcnt vmcnt(0)
	v_sub_f32_e32 v11, v13, v11
	v_sub_f32_e32 v15, v15, v11
	v_lshlrev_b64 v[11:12], 2, v[0:1]
	v_add_co_u32 v13, vcc_lo, s0, v11
	v_add_co_ci_u32_e64 v14, null, s1, v12, vcc_lo
	v_add_co_u32 v11, vcc_lo, s2, v11
	v_add_co_ci_u32_e64 v12, null, s3, v12, vcc_lo
	global_load_dword v13, v[13:14], off
	global_load_dword v11, v[11:12], off
	s_waitcnt vmcnt(0)
	v_sub_f32_e32 v11, v13, v11
	v_mad_u64_u32 v[12:13], null, s7, 6, v[0:1]
	v_mov_b32_e32 v13, v1
	v_sub_f32_e32 v17, v15, v11
	v_lshlrev_b64 v[13:14], 2, v[12:13]
	v_add_co_u32 v15, vcc_lo, s0, v13
	v_add_co_ci_u32_e64 v16, null, s1, v14, vcc_lo
	v_add_co_u32 v13, vcc_lo, s2, v13
	v_add_co_ci_u32_e64 v14, null, s3, v14, vcc_lo
	global_load_dword v0, v[15:16], off
	global_load_dword v13, v[13:14], off
	s_waitcnt vmcnt(0)
	v_sub_f32_e32 v0, v0, v13
	v_add_f32_e32 v16, v17, v0
	v_add_nc_u32_e32 v0, s7, v12
	v_lshlrev_b64 v[12:13], 2, v[0:1]
	v_add_co_u32 v14, vcc_lo, s0, v12
	v_add_co_ci_u32_e64 v15, null, s1, v13, vcc_lo
	v_add_co_u32 v12, vcc_lo, s2, v12
	v_add_co_ci_u32_e64 v13, null, s3, v13, vcc_lo
	global_load_dword v14, v[14:15], off
	global_load_dword v12, v[12:13], off
	s_waitcnt vmcnt(0)
	v_sub_f32_e32 v12, v14, v12
	v_sub_f32_e32 v12, v16, v12
	v_mul_f32_e32 v12, s12, v12
	s_waitcnt lgkmcnt(0)
	v_mul_f32_e32 v15, s4, v12
	v_mad_u64_u32 v[12:13], null, 0xffffff3b, s7, v[0:1]
	v_mov_b32_e32 v13, v1
	v_lshlrev_b64 v[13:14], 2, v[12:13]
	v_add_nc_u32_e32 v0, s6, v12
	v_add_co_u32 v13, vcc_lo, s8, v13
	v_add_co_ci_u32_e64 v14, null, s9, v14, vcc_lo
	global_store_dword v[13:14], v15, off
	v_lshlrev_b64 v[12:13], 2, v[0:1]
	v_add_nc_u32_e32 v0, s6, v0
	v_add_co_u32 v14, vcc_lo, s0, v12
	v_add_co_ci_u32_e64 v15, null, s1, v13, vcc_lo
	v_add_co_u32 v12, vcc_lo, s2, v12
	v_add_co_ci_u32_e64 v13, null, s3, v13, vcc_lo
	global_load_dword v14, v[14:15], off
	global_load_dword v12, v[12:13], off
	s_waitcnt vmcnt(0)
	v_sub_f32_e32 v12, v14, v12
	v_add_f32_e32 v2, v2, v12
	v_lshlrev_b64 v[12:13], 2, v[0:1]
	v_sub_f32_e32 v2, v2, v4
	v_add_co_u32 v14, vcc_lo, s0, v12
	v_add_co_ci_u32_e64 v15, null, s1, v13, vcc_lo
	v_add_co_u32 v12, vcc_lo, s2, v12
	v_add_co_ci_u32_e64 v13, null, s3, v13, vcc_lo
	global_load_dword v4, v[14:15], off
	global_load_dword v12, v[12:13], off
	s_waitcnt vmcnt(0)
	v_sub_f32_e32 v4, v4, v12
	v_sub_f32_e32 v2, v2, v4
	;; [unrolled: 1-line block ×4, first 2 shown]
	v_add_f32_e32 v2, v6, v2
	v_sub_f32_e32 v2, v2, v7
	v_sub_f32_e32 v2, v2, v8
	v_add_f32_e32 v2, v9, v2
	v_sub_f32_e32 v2, v2, v10
	v_add_f32_e32 v2, v11, v2
	v_mul_f32_e32 v2, s12, v2
	v_mul_f32_e32 v4, s5, v2
	v_mad_u64_u32 v[2:3], null, 0xffffffef, s7, v[0:1]
	v_mov_b32_e32 v3, v1
	v_lshlrev_b64 v[0:1], 2, v[2:3]
	v_add_co_u32 v0, vcc_lo, s8, v0
	v_add_co_ci_u32_e64 v1, null, s9, v1, vcc_lo
	global_store_dword v[0:1], v4, off
	s_endpgm
	.section	.rodata,"a",@progbits
	.p2align	6, 0x0
	.amdhsa_kernel _Z14rdwdot8_kernelIfEvPKT_S2_PS0_S0_S2_
		.amdhsa_group_segment_fixed_size 0
		.amdhsa_private_segment_fixed_size 0
		.amdhsa_kernarg_size 296
		.amdhsa_user_sgpr_count 6
		.amdhsa_user_sgpr_private_segment_buffer 1
		.amdhsa_user_sgpr_dispatch_ptr 0
		.amdhsa_user_sgpr_queue_ptr 0
		.amdhsa_user_sgpr_kernarg_segment_ptr 1
		.amdhsa_user_sgpr_dispatch_id 0
		.amdhsa_user_sgpr_flat_scratch_init 0
		.amdhsa_user_sgpr_private_segment_size 0
		.amdhsa_wavefront_size32 1
		.amdhsa_uses_dynamic_stack 0
		.amdhsa_system_sgpr_private_segment_wavefront_offset 0
		.amdhsa_system_sgpr_workgroup_id_x 1
		.amdhsa_system_sgpr_workgroup_id_y 0
		.amdhsa_system_sgpr_workgroup_id_z 0
		.amdhsa_system_sgpr_workgroup_info 0
		.amdhsa_system_vgpr_workitem_id 0
		.amdhsa_next_free_vgpr 18
		.amdhsa_next_free_sgpr 13
		.amdhsa_reserve_vcc 1
		.amdhsa_reserve_flat_scratch 0
		.amdhsa_float_round_mode_32 0
		.amdhsa_float_round_mode_16_64 0
		.amdhsa_float_denorm_mode_32 3
		.amdhsa_float_denorm_mode_16_64 3
		.amdhsa_dx10_clamp 1
		.amdhsa_ieee_mode 1
		.amdhsa_fp16_overflow 0
		.amdhsa_workgroup_processor_mode 1
		.amdhsa_memory_ordered 1
		.amdhsa_forward_progress 1
		.amdhsa_shared_vgpr_count 0
		.amdhsa_exception_fp_ieee_invalid_op 0
		.amdhsa_exception_fp_denorm_src 0
		.amdhsa_exception_fp_ieee_div_zero 0
		.amdhsa_exception_fp_ieee_overflow 0
		.amdhsa_exception_fp_ieee_underflow 0
		.amdhsa_exception_fp_ieee_inexact 0
		.amdhsa_exception_int_div_zero 0
	.end_amdhsa_kernel
	.section	.text._Z14rdwdot8_kernelIfEvPKT_S2_PS0_S0_S2_,"axG",@progbits,_Z14rdwdot8_kernelIfEvPKT_S2_PS0_S0_S2_,comdat
.Lfunc_end24:
	.size	_Z14rdwdot8_kernelIfEvPKT_S2_PS0_S0_S2_, .Lfunc_end24-_Z14rdwdot8_kernelIfEvPKT_S2_PS0_S0_S2_
                                        ; -- End function
	.set _Z14rdwdot8_kernelIfEvPKT_S2_PS0_S0_S2_.num_vgpr, 18
	.set _Z14rdwdot8_kernelIfEvPKT_S2_PS0_S0_S2_.num_agpr, 0
	.set _Z14rdwdot8_kernelIfEvPKT_S2_PS0_S0_S2_.numbered_sgpr, 13
	.set _Z14rdwdot8_kernelIfEvPKT_S2_PS0_S0_S2_.num_named_barrier, 0
	.set _Z14rdwdot8_kernelIfEvPKT_S2_PS0_S0_S2_.private_seg_size, 0
	.set _Z14rdwdot8_kernelIfEvPKT_S2_PS0_S0_S2_.uses_vcc, 1
	.set _Z14rdwdot8_kernelIfEvPKT_S2_PS0_S0_S2_.uses_flat_scratch, 0
	.set _Z14rdwdot8_kernelIfEvPKT_S2_PS0_S0_S2_.has_dyn_sized_stack, 0
	.set _Z14rdwdot8_kernelIfEvPKT_S2_PS0_S0_S2_.has_recursion, 0
	.set _Z14rdwdot8_kernelIfEvPKT_S2_PS0_S0_S2_.has_indirect_call, 0
	.section	.AMDGPU.csdata,"",@progbits
; Kernel info:
; codeLenInByte = 3344
; TotalNumSgprs: 15
; NumVgprs: 18
; ScratchSize: 0
; MemoryBound: 0
; FloatMode: 240
; IeeeMode: 1
; LDSByteSize: 0 bytes/workgroup (compile time only)
; SGPRBlocks: 0
; VGPRBlocks: 2
; NumSGPRsForWavesPerEU: 15
; NumVGPRsForWavesPerEU: 18
; Occupancy: 16
; WaveLimiterHint : 0
; COMPUTE_PGM_RSRC2:SCRATCH_EN: 0
; COMPUTE_PGM_RSRC2:USER_SGPR: 6
; COMPUTE_PGM_RSRC2:TRAP_HANDLER: 0
; COMPUTE_PGM_RSRC2:TGID_X_EN: 1
; COMPUTE_PGM_RSRC2:TGID_Y_EN: 0
; COMPUTE_PGM_RSRC2:TGID_Z_EN: 0
; COMPUTE_PGM_RSRC2:TIDIG_COMP_CNT: 0
	.section	.text._Z14rdwdot9_kernelIfEvPKT_S2_PS0_S0_S2_,"axG",@progbits,_Z14rdwdot9_kernelIfEvPKT_S2_PS0_S0_S2_,comdat
	.protected	_Z14rdwdot9_kernelIfEvPKT_S2_PS0_S0_S2_ ; -- Begin function _Z14rdwdot9_kernelIfEvPKT_S2_PS0_S0_S2_
	.globl	_Z14rdwdot9_kernelIfEvPKT_S2_PS0_S0_S2_
	.p2align	8
	.type	_Z14rdwdot9_kernelIfEvPKT_S2_PS0_S0_S2_,@function
_Z14rdwdot9_kernelIfEvPKT_S2_PS0_S0_S2_: ; @_Z14rdwdot9_kernelIfEvPKT_S2_PS0_S0_S2_
; %bb.0:
	s_clause 0x5
	s_load_dwordx4 s[0:3], s[4:5], 0x0
	s_load_dwordx2 s[8:9], s[4:5], 0x10
	s_load_dword s7, s[4:5], 0x18
	s_load_dwordx2 s[10:11], s[4:5], 0x20
	s_load_dword s12, s[4:5], 0x28
	s_load_dword s4, s[4:5], 0x34
	s_waitcnt lgkmcnt(0)
	s_and_b32 s5, s4, 0xffff
	v_mad_u64_u32 v[3:4], null, s6, s5, v[0:1]
	s_mul_i32 s4, s12, s5
	s_mul_i32 s14, s4, 5
	;; [unrolled: 1-line block ×4, first 2 shown]
	s_lshl_b32 s13, s4, 2
	v_mad_u64_u32 v[0:1], null, s4, 26, v[3:4]
	v_mov_b32_e32 v1, 0
	s_lshl_b32 s6, s4, 1
	s_lshl_b32 s15, s4, 3
	v_lshlrev_b64 v[4:5], 2, v[0:1]
	v_add_nc_u32_e32 v0, s4, v0
	v_add_co_u32 v6, vcc_lo, s0, v4
	v_add_co_ci_u32_e64 v7, null, s1, v5, vcc_lo
	v_add_co_u32 v4, vcc_lo, s2, v4
	v_add_co_ci_u32_e64 v5, null, s3, v5, vcc_lo
	global_load_dword v2, v[6:7], off
	global_load_dword v4, v[4:5], off
	s_waitcnt vmcnt(0)
	v_sub_f32_e32 v2, v2, v4
	v_lshlrev_b64 v[4:5], 2, v[0:1]
	v_add_co_u32 v6, vcc_lo, s0, v4
	v_add_co_ci_u32_e64 v7, null, s1, v5, vcc_lo
	v_add_co_u32 v4, vcc_lo, s2, v4
	v_add_co_ci_u32_e64 v5, null, s3, v5, vcc_lo
	global_load_dword v0, v[6:7], off
	global_load_dword v4, v[4:5], off
	s_waitcnt vmcnt(0)
	v_sub_f32_e32 v0, v0, v4
	v_mov_b32_e32 v4, v1
	v_add_f32_e32 v2, v2, v0
	v_lshlrev_b64 v[4:5], 2, v[3:4]
	v_add_co_u32 v6, vcc_lo, s0, v4
	v_add_co_ci_u32_e64 v7, null, s1, v5, vcc_lo
	v_add_co_u32 v4, vcc_lo, s2, v4
	v_add_co_ci_u32_e64 v5, null, s3, v5, vcc_lo
	global_load_dword v0, v[6:7], off
	global_load_dword v4, v[4:5], off
	s_waitcnt vmcnt(0)
	v_sub_f32_e32 v7, v0, v4
	v_add_nc_u32_e32 v0, s4, v3
	v_lshlrev_b64 v[3:4], 2, v[0:1]
	v_add_nc_u32_e32 v0, s4, v0
	v_add_co_u32 v5, vcc_lo, s0, v3
	v_add_co_ci_u32_e64 v6, null, s1, v4, vcc_lo
	v_add_co_u32 v3, vcc_lo, s2, v3
	v_add_co_ci_u32_e64 v4, null, s3, v4, vcc_lo
	global_load_dword v5, v[5:6], off
	global_load_dword v3, v[3:4], off
	s_waitcnt vmcnt(0)
	v_sub_f32_e32 v3, v5, v3
	v_add_f32_e32 v7, v7, v3
	v_lshlrev_b64 v[3:4], 2, v[0:1]
	v_add_nc_u32_e32 v0, s4, v0
	v_add_co_u32 v5, vcc_lo, s0, v3
	v_add_co_ci_u32_e64 v6, null, s1, v4, vcc_lo
	v_add_co_u32 v3, vcc_lo, s2, v3
	v_add_co_ci_u32_e64 v4, null, s3, v4, vcc_lo
	global_load_dword v5, v[5:6], off
	global_load_dword v3, v[3:4], off
	s_waitcnt vmcnt(0)
	v_sub_f32_e32 v3, v5, v3
	v_sub_f32_e32 v7, v7, v3
	v_lshlrev_b64 v[3:4], 2, v[0:1]
	v_add_nc_u32_e32 v0, s14, v0
	v_add_co_u32 v5, vcc_lo, s0, v3
	v_add_co_ci_u32_e64 v6, null, s1, v4, vcc_lo
	v_add_co_u32 v3, vcc_lo, s2, v3
	v_add_co_ci_u32_e64 v4, null, s3, v4, vcc_lo
	global_load_dword v5, v[5:6], off
	global_load_dword v3, v[3:4], off
	s_waitcnt vmcnt(0)
	v_sub_f32_e32 v3, v5, v3
	v_sub_f32_e32 v4, v7, v3
	;; [unrolled: 1-line block ×3, first 2 shown]
	v_lshlrev_b64 v[3:4], 2, v[0:1]
	v_add_nc_u32_e32 v0, s4, v0
	v_add_co_u32 v5, vcc_lo, s0, v3
	v_add_co_ci_u32_e64 v6, null, s1, v4, vcc_lo
	v_add_co_u32 v3, vcc_lo, s2, v3
	v_add_co_ci_u32_e64 v4, null, s3, v4, vcc_lo
	global_load_dword v5, v[5:6], off
	global_load_dword v3, v[3:4], off
	s_waitcnt vmcnt(0)
	v_sub_f32_e32 v3, v5, v3
	v_sub_f32_e32 v7, v7, v3
	v_lshlrev_b64 v[3:4], 2, v[0:1]
	v_add_nc_u32_e32 v0, s5, v0
	v_add_co_u32 v5, vcc_lo, s0, v3
	v_add_co_ci_u32_e64 v6, null, s1, v4, vcc_lo
	v_add_co_u32 v3, vcc_lo, s2, v3
	v_add_co_ci_u32_e64 v4, null, s3, v4, vcc_lo
	global_load_dword v5, v[5:6], off
	global_load_dword v3, v[3:4], off
	s_waitcnt vmcnt(0)
	v_sub_f32_e32 v3, v5, v3
	v_add_f32_e32 v7, v7, v3
	v_lshlrev_b64 v[3:4], 2, v[0:1]
	v_add_nc_u32_e32 v0, s12, v0
	v_add_co_u32 v5, vcc_lo, s0, v3
	v_add_co_ci_u32_e64 v6, null, s1, v4, vcc_lo
	v_add_co_u32 v3, vcc_lo, s2, v3
	v_add_co_ci_u32_e64 v4, null, s3, v4, vcc_lo
	global_load_dword v5, v[5:6], off
	global_load_dword v3, v[3:4], off
	s_waitcnt vmcnt(0)
	v_sub_f32_e32 v3, v5, v3
	v_sub_f32_e32 v4, v7, v3
	v_sub_f32_e32 v7, v4, v3
	v_lshlrev_b64 v[3:4], 2, v[0:1]
	v_add_nc_u32_e32 v0, s4, v0
	v_add_co_u32 v5, vcc_lo, s0, v3
	v_add_co_ci_u32_e64 v6, null, s1, v4, vcc_lo
	v_add_co_u32 v3, vcc_lo, s2, v3
	v_add_co_ci_u32_e64 v4, null, s3, v4, vcc_lo
	global_load_dword v5, v[5:6], off
	global_load_dword v3, v[3:4], off
	s_waitcnt vmcnt(0)
	v_sub_f32_e32 v3, v5, v3
	v_add_f32_e32 v4, v7, v3
	v_add_f32_e32 v7, v3, v4
	v_lshlrev_b64 v[3:4], 2, v[0:1]
	v_add_nc_u32_e32 v0, s4, v0
	v_add_co_u32 v5, vcc_lo, s0, v3
	v_add_co_ci_u32_e64 v6, null, s1, v4, vcc_lo
	v_add_co_u32 v3, vcc_lo, s2, v3
	v_add_co_ci_u32_e64 v4, null, s3, v4, vcc_lo
	global_load_dword v5, v[5:6], off
	global_load_dword v3, v[3:4], off
	s_waitcnt vmcnt(0)
	v_sub_f32_e32 v3, v5, v3
	v_add_f32_e32 v7, v7, v3
	v_lshlrev_b64 v[3:4], 2, v[0:1]
	v_add_nc_u32_e32 v0, s13, v0
	v_add_co_u32 v5, vcc_lo, s0, v3
	v_add_co_ci_u32_e64 v6, null, s1, v4, vcc_lo
	v_add_co_u32 v3, vcc_lo, s2, v3
	v_add_co_ci_u32_e64 v4, null, s3, v4, vcc_lo
	global_load_dword v5, v[5:6], off
	global_load_dword v3, v[3:4], off
	s_waitcnt vmcnt(0)
	v_sub_f32_e32 v3, v5, v3
	v_sub_f32_e32 v7, v7, v3
	v_lshlrev_b64 v[3:4], 2, v[0:1]
	v_add_nc_u32_e32 v0, s4, v0
	v_add_co_u32 v5, vcc_lo, s0, v3
	v_add_co_ci_u32_e64 v6, null, s1, v4, vcc_lo
	v_add_co_u32 v3, vcc_lo, s2, v3
	v_add_co_ci_u32_e64 v4, null, s3, v4, vcc_lo
	global_load_dword v5, v[5:6], off
	global_load_dword v3, v[3:4], off
	s_waitcnt vmcnt(0)
	v_sub_f32_e32 v3, v5, v3
	v_add_f32_e32 v7, v7, v3
	v_lshlrev_b64 v[3:4], 2, v[0:1]
	v_add_nc_u32_e32 v0, s13, v0
	v_add_co_u32 v5, vcc_lo, s0, v3
	v_add_co_ci_u32_e64 v6, null, s1, v4, vcc_lo
	v_add_co_u32 v3, vcc_lo, s2, v3
	v_add_co_ci_u32_e64 v4, null, s3, v4, vcc_lo
	global_load_dword v5, v[5:6], off
	global_load_dword v3, v[3:4], off
	s_waitcnt vmcnt(0)
	v_sub_f32_e32 v3, v5, v3
	v_add_f32_e32 v3, v7, v3
	v_sub_f32_e32 v6, v3, v2
	v_lshlrev_b64 v[2:3], 2, v[0:1]
	v_add_nc_u32_e32 v0, s12, v0
	v_add_co_u32 v4, vcc_lo, s0, v2
	v_add_co_ci_u32_e64 v5, null, s1, v3, vcc_lo
	v_add_co_u32 v2, vcc_lo, s2, v2
	v_add_co_ci_u32_e64 v3, null, s3, v3, vcc_lo
	global_load_dword v4, v[4:5], off
	global_load_dword v2, v[2:3], off
	s_waitcnt vmcnt(0)
	v_sub_f32_e32 v2, v4, v2
	v_sub_f32_e32 v6, v6, v2
	v_lshlrev_b64 v[2:3], 2, v[0:1]
	v_add_nc_u32_e32 v0, s6, v0
	v_add_co_u32 v4, vcc_lo, s0, v2
	v_add_co_ci_u32_e64 v5, null, s1, v3, vcc_lo
	v_add_co_u32 v2, vcc_lo, s2, v2
	v_add_co_ci_u32_e64 v3, null, s3, v3, vcc_lo
	global_load_dword v4, v[4:5], off
	global_load_dword v2, v[2:3], off
	s_waitcnt vmcnt(0)
	v_sub_f32_e32 v2, v4, v2
	v_add_f32_e32 v6, v6, v2
	v_lshlrev_b64 v[2:3], 2, v[0:1]
	v_add_nc_u32_e32 v0, s15, v0
	v_add_co_u32 v4, vcc_lo, s0, v2
	v_add_co_ci_u32_e64 v5, null, s1, v3, vcc_lo
	v_add_co_u32 v2, vcc_lo, s2, v2
	v_add_co_ci_u32_e64 v3, null, s3, v3, vcc_lo
	global_load_dword v4, v[4:5], off
	global_load_dword v2, v[2:3], off
	s_waitcnt vmcnt(0)
	v_sub_f32_e32 v2, v4, v2
	v_sub_f32_e32 v6, v6, v2
	v_lshlrev_b64 v[2:3], 2, v[0:1]
	v_add_nc_u32_e32 v0, s6, v0
	v_add_co_u32 v4, vcc_lo, s0, v2
	v_add_co_ci_u32_e64 v5, null, s1, v3, vcc_lo
	v_add_co_u32 v2, vcc_lo, s2, v2
	v_add_co_ci_u32_e64 v3, null, s3, v3, vcc_lo
	global_load_dword v4, v[4:5], off
	global_load_dword v2, v[2:3], off
	s_waitcnt vmcnt(0)
	v_sub_f32_e32 v2, v4, v2
	v_add_f32_e32 v6, v6, v2
	;; [unrolled: 22-line block ×3, first 2 shown]
	v_lshlrev_b64 v[2:3], 2, v[0:1]
	v_add_nc_u32_e32 v0, s4, v0
	v_add_co_u32 v4, vcc_lo, s0, v2
	v_add_co_ci_u32_e64 v5, null, s1, v3, vcc_lo
	v_add_co_u32 v2, vcc_lo, s2, v2
	v_add_co_ci_u32_e64 v3, null, s3, v3, vcc_lo
	global_load_dword v4, v[4:5], off
	global_load_dword v2, v[2:3], off
	s_waitcnt vmcnt(0)
	v_sub_f32_e32 v2, v4, v2
	v_sub_f32_e32 v6, v6, v2
	v_lshlrev_b64 v[2:3], 2, v[0:1]
	v_add_nc_u32_e32 v0, s4, v0
	v_add_co_u32 v4, vcc_lo, s0, v2
	v_add_co_ci_u32_e64 v5, null, s1, v3, vcc_lo
	v_add_co_u32 v2, vcc_lo, s2, v2
	v_add_co_ci_u32_e64 v3, null, s3, v3, vcc_lo
	global_load_dword v4, v[4:5], off
	global_load_dword v2, v[2:3], off
	s_waitcnt vmcnt(0)
	v_sub_f32_e32 v2, v4, v2
	v_sub_f32_e32 v6, v6, v2
	v_lshlrev_b64 v[2:3], 2, v[0:1]
	v_add_nc_u32_e32 v0, s15, v0
	v_add_co_u32 v4, vcc_lo, s0, v2
	v_add_co_ci_u32_e64 v5, null, s1, v3, vcc_lo
	v_add_co_u32 v2, vcc_lo, s2, v2
	v_add_co_ci_u32_e64 v3, null, s3, v3, vcc_lo
	global_load_dword v4, v[4:5], off
	global_load_dword v2, v[2:3], off
	s_waitcnt vmcnt(0)
	v_sub_f32_e32 v2, v4, v2
	v_add_f32_e32 v6, v6, v2
	v_lshlrev_b64 v[2:3], 2, v[0:1]
	v_add_nc_u32_e32 v0, s6, v0
	v_add_co_u32 v4, vcc_lo, s0, v2
	v_add_co_ci_u32_e64 v5, null, s1, v3, vcc_lo
	v_add_co_u32 v2, vcc_lo, s2, v2
	v_add_co_ci_u32_e64 v3, null, s3, v3, vcc_lo
	global_load_dword v4, v[4:5], off
	global_load_dword v2, v[2:3], off
	s_waitcnt vmcnt(0)
	v_sub_f32_e32 v2, v4, v2
	v_sub_f32_e32 v6, v6, v2
	v_lshlrev_b64 v[2:3], 2, v[0:1]
	v_add_nc_u32_e32 v0, s15, v0
	v_add_co_u32 v4, vcc_lo, s0, v2
	v_add_co_ci_u32_e64 v5, null, s1, v3, vcc_lo
	v_add_co_u32 v2, vcc_lo, s2, v2
	v_add_co_ci_u32_e64 v3, null, s3, v3, vcc_lo
	global_load_dword v4, v[4:5], off
	global_load_dword v2, v[2:3], off
	s_waitcnt vmcnt(0)
	v_sub_f32_e32 v2, v4, v2
	v_add_f32_e32 v6, v6, v2
	v_lshlrev_b64 v[2:3], 2, v[0:1]
	v_add_nc_u32_e32 v0, s4, v0
	v_add_co_u32 v4, vcc_lo, s0, v2
	v_add_co_ci_u32_e64 v5, null, s1, v3, vcc_lo
	v_add_co_u32 v2, vcc_lo, s2, v2
	v_add_co_ci_u32_e64 v3, null, s3, v3, vcc_lo
	global_load_dword v4, v[4:5], off
	global_load_dword v2, v[2:3], off
	s_waitcnt vmcnt(0)
	v_sub_f32_e32 v2, v4, v2
	v_add_f32_e32 v6, v6, v2
	v_lshlrev_b64 v[2:3], 2, v[0:1]
	v_add_nc_u32_e32 v0, s5, v0
	v_add_co_u32 v4, vcc_lo, s0, v2
	v_add_co_ci_u32_e64 v5, null, s1, v3, vcc_lo
	v_add_co_u32 v2, vcc_lo, s2, v2
	v_add_co_ci_u32_e64 v3, null, s3, v3, vcc_lo
	global_load_dword v4, v[4:5], off
	global_load_dword v2, v[2:3], off
	s_waitcnt vmcnt(0)
	v_sub_f32_e32 v2, v4, v2
	v_sub_f32_e32 v6, v6, v2
	v_lshlrev_b64 v[2:3], 2, v[0:1]
	v_add_nc_u32_e32 v0, s4, v0
	v_add_co_u32 v4, vcc_lo, s0, v2
	v_add_co_ci_u32_e64 v5, null, s1, v3, vcc_lo
	v_add_co_u32 v2, vcc_lo, s2, v2
	v_add_co_ci_u32_e64 v3, null, s3, v3, vcc_lo
	global_load_dword v4, v[4:5], off
	global_load_dword v2, v[2:3], off
	s_waitcnt vmcnt(0)
	v_sub_f32_e32 v2, v4, v2
	v_sub_f32_e32 v6, v6, v2
	;; [unrolled: 11-line block ×3, first 2 shown]
	v_lshlrev_b64 v[2:3], 2, v[0:1]
	v_add_nc_u32_e32 v0, s6, v0
	v_add_co_u32 v4, vcc_lo, s0, v2
	v_add_co_ci_u32_e64 v5, null, s1, v3, vcc_lo
	v_add_co_u32 v2, vcc_lo, s2, v2
	v_add_co_ci_u32_e64 v3, null, s3, v3, vcc_lo
	global_load_dword v4, v[4:5], off
	global_load_dword v2, v[2:3], off
	s_waitcnt vmcnt(0)
	v_sub_f32_e32 v2, v4, v2
	v_add_f32_e32 v6, v6, v2
	v_lshlrev_b64 v[2:3], 2, v[0:1]
	v_add_co_u32 v4, vcc_lo, s0, v2
	v_add_co_ci_u32_e64 v5, null, s1, v3, vcc_lo
	v_add_co_u32 v2, vcc_lo, s2, v2
	v_add_co_ci_u32_e64 v3, null, s3, v3, vcc_lo
	global_load_dword v4, v[4:5], off
	global_load_dword v2, v[2:3], off
	s_waitcnt vmcnt(0)
	v_sub_f32_e32 v2, v4, v2
	v_add_f32_e32 v7, v6, v2
	v_mad_u64_u32 v[2:3], null, s4, 12, v[0:1]
	v_mov_b32_e32 v3, v1
	v_lshlrev_b64 v[3:4], 2, v[2:3]
	v_add_co_u32 v5, vcc_lo, s0, v3
	v_add_co_ci_u32_e64 v6, null, s1, v4, vcc_lo
	v_add_co_u32 v3, vcc_lo, s2, v3
	v_add_co_ci_u32_e64 v4, null, s3, v4, vcc_lo
	global_load_dword v0, v[5:6], off
	global_load_dword v3, v[3:4], off
	s_waitcnt vmcnt(0)
	v_sub_f32_e32 v0, v0, v3
	v_add_f32_e32 v6, v7, v0
	v_add_nc_u32_e32 v0, s6, v2
	v_lshlrev_b64 v[2:3], 2, v[0:1]
	v_add_nc_u32_e32 v0, s4, v0
	v_add_co_u32 v4, vcc_lo, s0, v2
	v_add_co_ci_u32_e64 v5, null, s1, v3, vcc_lo
	v_add_co_u32 v2, vcc_lo, s2, v2
	v_add_co_ci_u32_e64 v3, null, s3, v3, vcc_lo
	global_load_dword v4, v[4:5], off
	global_load_dword v2, v[2:3], off
	s_waitcnt vmcnt(0)
	v_sub_f32_e32 v2, v4, v2
	v_add_f32_e32 v6, v6, v2
	v_lshlrev_b64 v[2:3], 2, v[0:1]
	v_add_nc_u32_e32 v0, s12, v0
	v_add_co_u32 v4, vcc_lo, s0, v2
	v_add_co_ci_u32_e64 v5, null, s1, v3, vcc_lo
	v_add_co_u32 v2, vcc_lo, s2, v2
	v_add_co_ci_u32_e64 v3, null, s3, v3, vcc_lo
	global_load_dword v4, v[4:5], off
	global_load_dword v2, v[2:3], off
	s_waitcnt vmcnt(0)
	v_sub_f32_e32 v2, v4, v2
	v_sub_f32_e32 v6, v6, v2
	v_lshlrev_b64 v[2:3], 2, v[0:1]
	v_add_nc_u32_e32 v0, s4, v0
	v_add_co_u32 v4, vcc_lo, s0, v2
	v_add_co_ci_u32_e64 v5, null, s1, v3, vcc_lo
	v_add_co_u32 v2, vcc_lo, s2, v2
	v_add_co_ci_u32_e64 v3, null, s3, v3, vcc_lo
	global_load_dword v4, v[4:5], off
	global_load_dword v2, v[2:3], off
	s_waitcnt vmcnt(0)
	v_sub_f32_e32 v2, v4, v2
	v_add_f32_e32 v6, v6, v2
	v_lshlrev_b64 v[2:3], 2, v[0:1]
	v_add_nc_u32_e32 v0, s5, v0
	v_add_co_u32 v4, vcc_lo, s0, v2
	v_add_co_ci_u32_e64 v5, null, s1, v3, vcc_lo
	v_add_co_u32 v2, vcc_lo, s2, v2
	v_add_co_ci_u32_e64 v3, null, s3, v3, vcc_lo
	global_load_dword v4, v[4:5], off
	global_load_dword v2, v[2:3], off
	s_waitcnt vmcnt(0)
	v_sub_f32_e32 v2, v4, v2
	v_sub_f32_e32 v6, v6, v2
	v_lshlrev_b64 v[2:3], 2, v[0:1]
	v_add_nc_u32_e32 v0, s15, v0
	v_add_co_u32 v4, vcc_lo, s0, v2
	v_add_co_ci_u32_e64 v5, null, s1, v3, vcc_lo
	v_add_co_u32 v2, vcc_lo, s2, v2
	v_add_co_ci_u32_e64 v3, null, s3, v3, vcc_lo
	global_load_dword v4, v[4:5], off
	global_load_dword v2, v[2:3], off
	s_waitcnt vmcnt(0)
	v_sub_f32_e32 v2, v4, v2
	v_add_f32_e32 v6, v6, v2
	v_lshlrev_b64 v[2:3], 2, v[0:1]
	v_add_nc_u32_e32 v0, s4, v0
	v_add_co_u32 v4, vcc_lo, s0, v2
	v_add_co_ci_u32_e64 v5, null, s1, v3, vcc_lo
	v_add_co_u32 v2, vcc_lo, s2, v2
	v_add_co_ci_u32_e64 v3, null, s3, v3, vcc_lo
	global_load_dword v4, v[4:5], off
	global_load_dword v2, v[2:3], off
	s_waitcnt vmcnt(0)
	v_sub_f32_e32 v2, v4, v2
	v_sub_f32_e32 v6, v6, v2
	v_lshlrev_b64 v[2:3], 2, v[0:1]
	v_add_nc_u32_e32 v0, s14, v0
	v_add_co_u32 v4, vcc_lo, s0, v2
	v_add_co_ci_u32_e64 v5, null, s1, v3, vcc_lo
	v_add_co_u32 v2, vcc_lo, s2, v2
	v_add_co_ci_u32_e64 v3, null, s3, v3, vcc_lo
	global_load_dword v4, v[4:5], off
	global_load_dword v2, v[2:3], off
	s_waitcnt vmcnt(0)
	v_sub_f32_e32 v2, v4, v2
	v_sub_f32_e32 v6, v6, v2
	v_lshlrev_b64 v[2:3], 2, v[0:1]
	v_add_nc_u32_e32 v0, s14, v0
	v_add_co_u32 v4, vcc_lo, s0, v2
	v_add_co_ci_u32_e64 v5, null, s1, v3, vcc_lo
	v_add_co_u32 v2, vcc_lo, s2, v2
	v_add_co_ci_u32_e64 v3, null, s3, v3, vcc_lo
	global_load_dword v4, v[4:5], off
	global_load_dword v2, v[2:3], off
	s_waitcnt vmcnt(0)
	v_sub_f32_e32 v2, v4, v2
	v_sub_f32_e32 v6, v6, v2
	v_lshlrev_b64 v[2:3], 2, v[0:1]
	v_add_nc_u32_e32 v0, s6, v0
	v_add_co_u32 v4, vcc_lo, s0, v2
	v_add_co_ci_u32_e64 v5, null, s1, v3, vcc_lo
	v_add_co_u32 v2, vcc_lo, s2, v2
	v_add_co_ci_u32_e64 v3, null, s3, v3, vcc_lo
	global_load_dword v4, v[4:5], off
	global_load_dword v2, v[2:3], off
	s_waitcnt vmcnt(0)
	v_sub_f32_e32 v2, v4, v2
	v_add_f32_e32 v6, v6, v2
	v_lshlrev_b64 v[2:3], 2, v[0:1]
	v_add_nc_u32_e32 v0, s5, v0
	v_add_co_u32 v4, vcc_lo, s0, v2
	v_add_co_ci_u32_e64 v5, null, s1, v3, vcc_lo
	v_add_co_u32 v2, vcc_lo, s2, v2
	v_add_co_ci_u32_e64 v3, null, s3, v3, vcc_lo
	global_load_dword v4, v[4:5], off
	global_load_dword v2, v[2:3], off
	s_waitcnt vmcnt(0)
	v_sub_f32_e32 v2, v4, v2
	v_sub_f32_e32 v6, v6, v2
	v_lshlrev_b64 v[2:3], 2, v[0:1]
	v_add_nc_u32_e32 v0, s13, v0
	v_add_co_u32 v4, vcc_lo, s0, v2
	v_add_co_ci_u32_e64 v5, null, s1, v3, vcc_lo
	v_add_co_u32 v2, vcc_lo, s2, v2
	v_add_co_ci_u32_e64 v3, null, s3, v3, vcc_lo
	global_load_dword v4, v[4:5], off
	global_load_dword v2, v[2:3], off
	s_waitcnt vmcnt(0)
	v_sub_f32_e32 v2, v4, v2
	v_sub_f32_e32 v6, v6, v2
	v_lshlrev_b64 v[2:3], 2, v[0:1]
	v_add_co_u32 v4, vcc_lo, s0, v2
	v_add_co_ci_u32_e64 v5, null, s1, v3, vcc_lo
	v_add_co_u32 v2, vcc_lo, s2, v2
	v_add_co_ci_u32_e64 v3, null, s3, v3, vcc_lo
	global_load_dword v4, v[4:5], off
	global_load_dword v2, v[2:3], off
	s_waitcnt vmcnt(0)
	v_sub_f32_e32 v2, v4, v2
	v_add_f32_e32 v7, v6, v2
	v_mad_u64_u32 v[2:3], null, s4, 10, v[0:1]
	v_mov_b32_e32 v3, v1
	v_lshlrev_b64 v[3:4], 2, v[2:3]
	v_add_co_u32 v5, vcc_lo, s0, v3
	v_add_co_ci_u32_e64 v6, null, s1, v4, vcc_lo
	v_add_co_u32 v3, vcc_lo, s2, v3
	v_add_co_ci_u32_e64 v4, null, s3, v4, vcc_lo
	global_load_dword v0, v[5:6], off
	global_load_dword v3, v[3:4], off
	s_waitcnt vmcnt(0)
	v_sub_f32_e32 v0, v0, v3
	v_add_f32_e32 v6, v7, v0
	v_add_nc_u32_e32 v0, s4, v2
	v_lshlrev_b64 v[2:3], 2, v[0:1]
	v_add_nc_u32_e32 v0, s6, v0
	v_add_co_u32 v4, vcc_lo, s0, v2
	v_add_co_ci_u32_e64 v5, null, s1, v3, vcc_lo
	v_add_co_u32 v2, vcc_lo, s2, v2
	v_add_co_ci_u32_e64 v3, null, s3, v3, vcc_lo
	global_load_dword v4, v[4:5], off
	global_load_dword v2, v[2:3], off
	s_waitcnt vmcnt(0)
	v_sub_f32_e32 v2, v4, v2
	v_sub_f32_e32 v6, v6, v2
	v_lshlrev_b64 v[2:3], 2, v[0:1]
	v_add_nc_u32_e32 v0, s13, v0
	v_add_co_u32 v4, vcc_lo, s0, v2
	v_add_co_ci_u32_e64 v5, null, s1, v3, vcc_lo
	v_add_co_u32 v2, vcc_lo, s2, v2
	v_add_co_ci_u32_e64 v3, null, s3, v3, vcc_lo
	global_load_dword v4, v[4:5], off
	global_load_dword v2, v[2:3], off
	s_waitcnt vmcnt(0)
	v_sub_f32_e32 v2, v4, v2
	v_add_f32_e32 v6, v6, v2
	v_lshlrev_b64 v[2:3], 2, v[0:1]
	v_add_nc_u32_e32 v0, s12, v0
	v_add_co_u32 v4, vcc_lo, s0, v2
	v_add_co_ci_u32_e64 v5, null, s1, v3, vcc_lo
	v_add_co_u32 v2, vcc_lo, s2, v2
	v_add_co_ci_u32_e64 v3, null, s3, v3, vcc_lo
	global_load_dword v4, v[4:5], off
	global_load_dword v2, v[2:3], off
	s_waitcnt vmcnt(0)
	v_sub_f32_e32 v2, v4, v2
	v_add_f32_e32 v6, v6, v2
	v_lshlrev_b64 v[2:3], 2, v[0:1]
	v_add_nc_u32_e32 v0, s6, v0
	v_add_co_u32 v4, vcc_lo, s0, v2
	v_add_co_ci_u32_e64 v5, null, s1, v3, vcc_lo
	v_add_co_u32 v2, vcc_lo, s2, v2
	v_add_co_ci_u32_e64 v3, null, s3, v3, vcc_lo
	global_load_dword v4, v[4:5], off
	global_load_dword v2, v[2:3], off
	s_waitcnt vmcnt(0)
	v_sub_f32_e32 v2, v4, v2
	v_sub_f32_e32 v6, v6, v2
	v_lshlrev_b64 v[2:3], 2, v[0:1]
	v_add_co_u32 v4, vcc_lo, s0, v2
	v_add_co_ci_u32_e64 v5, null, s1, v3, vcc_lo
	v_add_co_u32 v2, vcc_lo, s2, v2
	v_add_co_ci_u32_e64 v3, null, s3, v3, vcc_lo
	global_load_dword v4, v[4:5], off
	global_load_dword v2, v[2:3], off
	s_waitcnt vmcnt(0)
	v_sub_f32_e32 v2, v4, v2
	v_add_f32_e32 v7, v6, v2
	v_mad_u64_u32 v[2:3], null, s4, 14, v[0:1]
	v_mov_b32_e32 v3, v1
	v_lshlrev_b64 v[3:4], 2, v[2:3]
	v_add_co_u32 v5, vcc_lo, s0, v3
	v_add_co_ci_u32_e64 v6, null, s1, v4, vcc_lo
	v_add_co_u32 v3, vcc_lo, s2, v3
	v_add_co_ci_u32_e64 v4, null, s3, v4, vcc_lo
	global_load_dword v0, v[5:6], off
	global_load_dword v3, v[3:4], off
	s_waitcnt vmcnt(0)
	v_sub_f32_e32 v0, v0, v3
	v_add_f32_e32 v6, v7, v0
	v_add_nc_u32_e32 v0, s13, v2
	v_lshlrev_b64 v[2:3], 2, v[0:1]
	v_add_nc_u32_e32 v0, s4, v0
	v_add_co_u32 v4, vcc_lo, s0, v2
	v_add_co_ci_u32_e64 v5, null, s1, v3, vcc_lo
	v_add_co_u32 v2, vcc_lo, s2, v2
	v_add_co_ci_u32_e64 v3, null, s3, v3, vcc_lo
	global_load_dword v4, v[4:5], off
	global_load_dword v2, v[2:3], off
	s_waitcnt vmcnt(0)
	v_sub_f32_e32 v2, v4, v2
	v_add_f32_e32 v6, v6, v2
	v_lshlrev_b64 v[2:3], 2, v[0:1]
	v_add_nc_u32_e32 v0, s5, v0
	v_add_co_u32 v4, vcc_lo, s0, v2
	v_add_co_ci_u32_e64 v5, null, s1, v3, vcc_lo
	v_add_co_u32 v2, vcc_lo, s2, v2
	v_add_co_ci_u32_e64 v3, null, s3, v3, vcc_lo
	global_load_dword v4, v[4:5], off
	global_load_dword v2, v[2:3], off
	s_waitcnt vmcnt(0)
	v_sub_f32_e32 v2, v4, v2
	v_sub_f32_e32 v6, v6, v2
	v_lshlrev_b64 v[2:3], 2, v[0:1]
	v_add_co_u32 v4, vcc_lo, s0, v2
	v_add_co_ci_u32_e64 v5, null, s1, v3, vcc_lo
	v_add_co_u32 v2, vcc_lo, s2, v2
	v_add_co_ci_u32_e64 v3, null, s3, v3, vcc_lo
	global_load_dword v4, v[4:5], off
	global_load_dword v2, v[2:3], off
	s_waitcnt vmcnt(0)
	v_sub_f32_e32 v2, v4, v2
	v_add_f32_e32 v7, v6, v2
	v_mad_u64_u32 v[2:3], null, s4, 7, v[0:1]
	v_mov_b32_e32 v3, v1
	v_lshlrev_b64 v[3:4], 2, v[2:3]
	v_add_co_u32 v5, vcc_lo, s0, v3
	v_add_co_ci_u32_e64 v6, null, s1, v4, vcc_lo
	v_add_co_u32 v3, vcc_lo, s2, v3
	v_add_co_ci_u32_e64 v4, null, s3, v4, vcc_lo
	global_load_dword v0, v[5:6], off
	global_load_dword v3, v[3:4], off
	s_waitcnt vmcnt(0)
	v_sub_f32_e32 v0, v0, v3
	v_add_f32_e32 v6, v7, v0
	v_add_nc_u32_e32 v0, s4, v2
	v_lshlrev_b64 v[2:3], 2, v[0:1]
	v_add_nc_u32_e32 v0, s5, v0
	v_add_co_u32 v4, vcc_lo, s0, v2
	v_add_co_ci_u32_e64 v5, null, s1, v3, vcc_lo
	v_add_co_u32 v2, vcc_lo, s2, v2
	v_add_co_ci_u32_e64 v3, null, s3, v3, vcc_lo
	global_load_dword v4, v[4:5], off
	global_load_dword v2, v[2:3], off
	s_waitcnt vmcnt(0)
	v_sub_f32_e32 v2, v4, v2
	v_sub_f32_e32 v6, v6, v2
	v_lshlrev_b64 v[2:3], 2, v[0:1]
	v_add_nc_u32_e32 v0, s6, v0
	v_add_co_u32 v4, vcc_lo, s0, v2
	v_add_co_ci_u32_e64 v5, null, s1, v3, vcc_lo
	v_add_co_u32 v2, vcc_lo, s2, v2
	v_add_co_ci_u32_e64 v3, null, s3, v3, vcc_lo
	global_load_dword v4, v[4:5], off
	global_load_dword v2, v[2:3], off
	s_waitcnt vmcnt(0)
	v_sub_f32_e32 v2, v4, v2
	v_sub_f32_e32 v4, v6, v2
	v_lshlrev_b64 v[2:3], 2, v[0:1]
	v_add_co_u32 v5, vcc_lo, s0, v2
	v_add_co_ci_u32_e64 v6, null, s1, v3, vcc_lo
	v_add_co_u32 v2, vcc_lo, s2, v2
	v_add_co_ci_u32_e64 v3, null, s3, v3, vcc_lo
	global_load_dword v5, v[5:6], off
	s_load_dword s0, s[10:11], 0x10
	global_load_dword v2, v[2:3], off
	s_waitcnt vmcnt(0)
	v_sub_f32_e32 v2, v5, v2
	v_add_f32_e32 v2, v4, v2
	v_mul_f32_e32 v2, s7, v2
	s_waitcnt lgkmcnt(0)
	v_mul_f32_e32 v4, s0, v2
	v_mad_u64_u32 v[2:3], null, 0xffffff39, s4, v[0:1]
	v_mov_b32_e32 v3, v1
	v_lshlrev_b64 v[0:1], 2, v[2:3]
	v_add_co_u32 v0, vcc_lo, s8, v0
	v_add_co_ci_u32_e64 v1, null, s9, v1, vcc_lo
	global_store_dword v[0:1], v4, off
	s_endpgm
	.section	.rodata,"a",@progbits
	.p2align	6, 0x0
	.amdhsa_kernel _Z14rdwdot9_kernelIfEvPKT_S2_PS0_S0_S2_
		.amdhsa_group_segment_fixed_size 0
		.amdhsa_private_segment_fixed_size 0
		.amdhsa_kernarg_size 296
		.amdhsa_user_sgpr_count 6
		.amdhsa_user_sgpr_private_segment_buffer 1
		.amdhsa_user_sgpr_dispatch_ptr 0
		.amdhsa_user_sgpr_queue_ptr 0
		.amdhsa_user_sgpr_kernarg_segment_ptr 1
		.amdhsa_user_sgpr_dispatch_id 0
		.amdhsa_user_sgpr_flat_scratch_init 0
		.amdhsa_user_sgpr_private_segment_size 0
		.amdhsa_wavefront_size32 1
		.amdhsa_uses_dynamic_stack 0
		.amdhsa_system_sgpr_private_segment_wavefront_offset 0
		.amdhsa_system_sgpr_workgroup_id_x 1
		.amdhsa_system_sgpr_workgroup_id_y 0
		.amdhsa_system_sgpr_workgroup_id_z 0
		.amdhsa_system_sgpr_workgroup_info 0
		.amdhsa_system_vgpr_workitem_id 0
		.amdhsa_next_free_vgpr 8
		.amdhsa_next_free_sgpr 16
		.amdhsa_reserve_vcc 1
		.amdhsa_reserve_flat_scratch 0
		.amdhsa_float_round_mode_32 0
		.amdhsa_float_round_mode_16_64 0
		.amdhsa_float_denorm_mode_32 3
		.amdhsa_float_denorm_mode_16_64 3
		.amdhsa_dx10_clamp 1
		.amdhsa_ieee_mode 1
		.amdhsa_fp16_overflow 0
		.amdhsa_workgroup_processor_mode 1
		.amdhsa_memory_ordered 1
		.amdhsa_forward_progress 1
		.amdhsa_shared_vgpr_count 0
		.amdhsa_exception_fp_ieee_invalid_op 0
		.amdhsa_exception_fp_denorm_src 0
		.amdhsa_exception_fp_ieee_div_zero 0
		.amdhsa_exception_fp_ieee_overflow 0
		.amdhsa_exception_fp_ieee_underflow 0
		.amdhsa_exception_fp_ieee_inexact 0
		.amdhsa_exception_int_div_zero 0
	.end_amdhsa_kernel
	.section	.text._Z14rdwdot9_kernelIfEvPKT_S2_PS0_S0_S2_,"axG",@progbits,_Z14rdwdot9_kernelIfEvPKT_S2_PS0_S0_S2_,comdat
.Lfunc_end25:
	.size	_Z14rdwdot9_kernelIfEvPKT_S2_PS0_S0_S2_, .Lfunc_end25-_Z14rdwdot9_kernelIfEvPKT_S2_PS0_S0_S2_
                                        ; -- End function
	.set _Z14rdwdot9_kernelIfEvPKT_S2_PS0_S0_S2_.num_vgpr, 8
	.set _Z14rdwdot9_kernelIfEvPKT_S2_PS0_S0_S2_.num_agpr, 0
	.set _Z14rdwdot9_kernelIfEvPKT_S2_PS0_S0_S2_.numbered_sgpr, 16
	.set _Z14rdwdot9_kernelIfEvPKT_S2_PS0_S0_S2_.num_named_barrier, 0
	.set _Z14rdwdot9_kernelIfEvPKT_S2_PS0_S0_S2_.private_seg_size, 0
	.set _Z14rdwdot9_kernelIfEvPKT_S2_PS0_S0_S2_.uses_vcc, 1
	.set _Z14rdwdot9_kernelIfEvPKT_S2_PS0_S0_S2_.uses_flat_scratch, 0
	.set _Z14rdwdot9_kernelIfEvPKT_S2_PS0_S0_S2_.has_dyn_sized_stack, 0
	.set _Z14rdwdot9_kernelIfEvPKT_S2_PS0_S0_S2_.has_recursion, 0
	.set _Z14rdwdot9_kernelIfEvPKT_S2_PS0_S0_S2_.has_indirect_call, 0
	.section	.AMDGPU.csdata,"",@progbits
; Kernel info:
; codeLenInByte = 4396
; TotalNumSgprs: 18
; NumVgprs: 8
; ScratchSize: 0
; MemoryBound: 0
; FloatMode: 240
; IeeeMode: 1
; LDSByteSize: 0 bytes/workgroup (compile time only)
; SGPRBlocks: 0
; VGPRBlocks: 0
; NumSGPRsForWavesPerEU: 18
; NumVGPRsForWavesPerEU: 8
; Occupancy: 16
; WaveLimiterHint : 0
; COMPUTE_PGM_RSRC2:SCRATCH_EN: 0
; COMPUTE_PGM_RSRC2:USER_SGPR: 6
; COMPUTE_PGM_RSRC2:TRAP_HANDLER: 0
; COMPUTE_PGM_RSRC2:TGID_X_EN: 1
; COMPUTE_PGM_RSRC2:TGID_Y_EN: 0
; COMPUTE_PGM_RSRC2:TGID_Z_EN: 0
; COMPUTE_PGM_RSRC2:TIDIG_COMP_CNT: 0
	.section	.text._Z15rdwdot10_kernelIfEvPKT_S2_PS0_S0_S2_,"axG",@progbits,_Z15rdwdot10_kernelIfEvPKT_S2_PS0_S0_S2_,comdat
	.protected	_Z15rdwdot10_kernelIfEvPKT_S2_PS0_S0_S2_ ; -- Begin function _Z15rdwdot10_kernelIfEvPKT_S2_PS0_S0_S2_
	.globl	_Z15rdwdot10_kernelIfEvPKT_S2_PS0_S0_S2_
	.p2align	8
	.type	_Z15rdwdot10_kernelIfEvPKT_S2_PS0_S0_S2_,@function
_Z15rdwdot10_kernelIfEvPKT_S2_PS0_S0_S2_: ; @_Z15rdwdot10_kernelIfEvPKT_S2_PS0_S0_S2_
; %bb.0:
	s_clause 0x5
	s_load_dwordx4 s[0:3], s[4:5], 0x0
	s_load_dwordx2 s[8:9], s[4:5], 0x10
	s_load_dword s7, s[4:5], 0x18
	s_load_dwordx2 s[10:11], s[4:5], 0x20
	s_load_dword s12, s[4:5], 0x28
	s_load_dword s4, s[4:5], 0x34
	v_mov_b32_e32 v3, 0
	s_waitcnt lgkmcnt(0)
	s_load_dword s21, s[10:11], 0x0
	s_and_b32 s4, s4, 0xffff
	v_mad_u64_u32 v[8:9], null, s6, s4, v[0:1]
	s_mul_i32 s12, s12, s4
	s_mul_i32 s5, s12, 11
	;; [unrolled: 1-line block ×3, first 2 shown]
	s_lshl_b32 s6, s12, 2
	s_mul_i32 s14, s12, 15
	v_add_nc_u32_e32 v2, s5, v8
	s_mul_i32 s13, s12, 6
	s_mul_i32 s22, s12, 5
	;; [unrolled: 1-line block ×3, first 2 shown]
	s_lshl_b32 s16, s12, 1
	v_lshlrev_b64 v[0:1], 2, v[2:3]
	v_add_nc_u32_e32 v2, s12, v2
	s_mul_i32 s23, s12, 3
	s_lshl_b32 s18, s12, 3
	s_lshl_b32 s19, s12, 4
	s_mul_i32 s17, s12, 14
	v_add_co_u32 v4, vcc_lo, s0, v0
	v_add_co_ci_u32_e64 v5, null, s1, v1, vcc_lo
	v_add_co_u32 v0, vcc_lo, s2, v0
	v_add_co_ci_u32_e64 v1, null, s3, v1, vcc_lo
	global_load_dword v4, v[4:5], off
	s_mul_i32 s20, s12, 12
	global_load_dword v0, v[0:1], off
	s_waitcnt vmcnt(0)
	v_sub_f32_e32 v6, v4, v0
	v_lshlrev_b64 v[0:1], 2, v[2:3]
	v_add_nc_u32_e32 v2, s12, v2
	v_add_co_u32 v4, vcc_lo, s0, v0
	v_add_co_ci_u32_e64 v5, null, s1, v1, vcc_lo
	v_add_co_u32 v0, vcc_lo, s2, v0
	v_add_co_ci_u32_e64 v1, null, s3, v1, vcc_lo
	global_load_dword v4, v[4:5], off
	global_load_dword v0, v[0:1], off
	s_waitcnt vmcnt(0)
	v_sub_f32_e32 v0, v4, v0
	v_add_f32_e32 v6, v6, v0
	v_lshlrev_b64 v[0:1], 2, v[2:3]
	v_add_nc_u32_e32 v2, s12, v2
	v_add_co_u32 v4, vcc_lo, s0, v0
	v_add_co_ci_u32_e64 v5, null, s1, v1, vcc_lo
	v_add_co_u32 v0, vcc_lo, s2, v0
	v_add_co_ci_u32_e64 v1, null, s3, v1, vcc_lo
	global_load_dword v4, v[4:5], off
	global_load_dword v0, v[0:1], off
	s_waitcnt vmcnt(0)
	v_sub_f32_e32 v0, v4, v0
	v_add_f32_e32 v6, v6, v0
	;; [unrolled: 11-line block ×3, first 2 shown]
	v_lshlrev_b64 v[0:1], 2, v[2:3]
	v_add_nc_u32_e32 v2, s12, v2
	v_add_co_u32 v4, vcc_lo, s0, v0
	v_add_co_ci_u32_e64 v5, null, s1, v1, vcc_lo
	v_add_co_u32 v0, vcc_lo, s2, v0
	v_add_co_ci_u32_e64 v1, null, s3, v1, vcc_lo
	global_load_dword v4, v[4:5], off
	global_load_dword v0, v[0:1], off
	s_waitcnt vmcnt(0)
	v_sub_f32_e32 v6, v4, v0
	v_lshlrev_b64 v[0:1], 2, v[2:3]
	v_add_nc_u32_e32 v2, s6, v2
	v_add_co_u32 v4, vcc_lo, s0, v0
	v_add_co_ci_u32_e64 v5, null, s1, v1, vcc_lo
	v_add_co_u32 v0, vcc_lo, s2, v0
	v_add_co_ci_u32_e64 v1, null, s3, v1, vcc_lo
	global_load_dword v4, v[4:5], off
	global_load_dword v0, v[0:1], off
	s_waitcnt vmcnt(0)
	v_sub_f32_e32 v0, v4, v0
	v_add_f32_e32 v39, v6, v0
	v_lshlrev_b64 v[0:1], 2, v[2:3]
	v_add_nc_u32_e32 v2, s12, v2
	v_add_co_u32 v4, vcc_lo, s0, v0
	v_add_co_ci_u32_e64 v5, null, s1, v1, vcc_lo
	v_add_co_u32 v0, vcc_lo, s2, v0
	v_add_co_ci_u32_e64 v1, null, s3, v1, vcc_lo
	global_load_dword v4, v[4:5], off
	global_load_dword v0, v[0:1], off
	s_waitcnt vmcnt(0)
	v_sub_f32_e32 v6, v4, v0
	v_lshlrev_b64 v[0:1], 2, v[2:3]
	v_add_co_u32 v4, vcc_lo, s0, v0
	v_add_co_ci_u32_e64 v5, null, s1, v1, vcc_lo
	v_add_co_u32 v0, vcc_lo, s2, v0
	v_add_co_ci_u32_e64 v1, null, s3, v1, vcc_lo
	global_load_dword v4, v[4:5], off
	global_load_dword v0, v[0:1], off
	s_waitcnt vmcnt(0)
	v_sub_f32_e32 v0, v4, v0
	v_add_f32_e32 v38, v6, v0
	v_mad_u64_u32 v[0:1], null, 0xffffffe9, s12, v[2:3]
	v_mov_b32_e32 v1, v3
	v_lshlrev_b64 v[1:2], 2, v[0:1]
	v_add_co_u32 v4, vcc_lo, s0, v1
	v_add_co_ci_u32_e64 v5, null, s1, v2, vcc_lo
	v_add_co_u32 v1, vcc_lo, s2, v1
	v_add_co_ci_u32_e64 v2, null, s3, v2, vcc_lo
	global_load_dword v4, v[4:5], off
	global_load_dword v1, v[1:2], off
	v_add_nc_u32_e32 v2, s12, v0
	s_waitcnt vmcnt(0)
	v_sub_f32_e32 v6, v4, v1
	v_lshlrev_b64 v[0:1], 2, v[2:3]
	v_add_nc_u32_e32 v2, s12, v2
	v_add_co_u32 v4, vcc_lo, s0, v0
	v_add_co_ci_u32_e64 v5, null, s1, v1, vcc_lo
	global_load_dword v7, v[4:5], off
	v_add_co_u32 v4, vcc_lo, s2, v0
	v_add_co_ci_u32_e64 v5, null, s3, v1, vcc_lo
	global_load_dword v4, v[4:5], off
	s_waitcnt vmcnt(0)
	v_sub_f32_e32 v4, v7, v4
	v_add_f32_e32 v9, v6, v4
	v_lshlrev_b64 v[4:5], 2, v[2:3]
	v_add_nc_u32_e32 v2, s12, v2
	v_add_co_u32 v6, vcc_lo, s0, v4
	v_add_co_ci_u32_e64 v7, null, s1, v5, vcc_lo
	v_add_co_u32 v4, vcc_lo, s2, v4
	v_add_co_ci_u32_e64 v5, null, s3, v5, vcc_lo
	global_load_dword v6, v[6:7], off
	global_load_dword v4, v[4:5], off
	s_waitcnt vmcnt(0)
	v_sub_f32_e32 v4, v6, v4
	v_add_f32_e32 v9, v9, v4
	v_lshlrev_b64 v[4:5], 2, v[2:3]
	v_add_co_u32 v6, vcc_lo, s0, v4
	v_add_co_ci_u32_e64 v7, null, s1, v5, vcc_lo
	v_add_co_u32 v4, vcc_lo, s2, v4
	v_add_co_ci_u32_e64 v5, null, s3, v5, vcc_lo
	global_load_dword v2, v[6:7], off
	global_load_dword v4, v[4:5], off
	s_waitcnt vmcnt(0)
	v_sub_f32_e32 v2, v2, v4
	v_add_f32_e32 v9, v9, v2
	v_add_nc_u32_e32 v2, s12, v8
	v_lshlrev_b64 v[4:5], 2, v[2:3]
	v_add_nc_u32_e32 v2, s12, v2
	v_add_co_u32 v6, vcc_lo, s0, v4
	v_add_co_ci_u32_e64 v7, null, s1, v5, vcc_lo
	v_add_co_u32 v4, vcc_lo, s2, v4
	v_add_co_ci_u32_e64 v5, null, s3, v5, vcc_lo
	global_load_dword v6, v[6:7], off
	v_lshlrev_b64 v[16:17], 2, v[2:3]
	v_add_nc_u32_e32 v2, s14, v2
	global_load_dword v4, v[4:5], off
	s_waitcnt vmcnt(0)
	v_sub_f32_e32 v10, v6, v4
	v_add_co_u32 v4, vcc_lo, s0, v16
	v_add_co_ci_u32_e64 v5, null, s1, v17, vcc_lo
	v_add_co_u32 v6, vcc_lo, s2, v16
	v_add_co_ci_u32_e64 v7, null, s3, v17, vcc_lo
	global_load_dword v11, v[4:5], off
	global_load_dword v12, v[6:7], off
	s_waitcnt vmcnt(0)
	v_sub_f32_e32 v11, v11, v12
	v_sub_f32_e64 v11, -v10, v11
	v_add_f32_e32 v9, v9, v11
	v_lshlrev_b64 v[11:12], 2, v[2:3]
	v_add_nc_u32_e32 v2, s13, v2
	v_add_co_u32 v13, vcc_lo, s0, v11
	v_add_co_ci_u32_e64 v14, null, s1, v12, vcc_lo
	v_add_co_u32 v11, vcc_lo, s2, v11
	v_add_co_ci_u32_e64 v12, null, s3, v12, vcc_lo
	global_load_dword v13, v[13:14], off
	global_load_dword v11, v[11:12], off
	s_waitcnt vmcnt(0)
	v_sub_f32_e32 v37, v13, v11
	v_lshlrev_b64 v[11:12], 2, v[2:3]
	v_add_nc_u32_e32 v2, s4, v2
	v_add_f32_e32 v9, v9, v37
	v_add_co_u32 v13, vcc_lo, s0, v11
	v_add_co_ci_u32_e64 v14, null, s1, v12, vcc_lo
	v_add_co_u32 v11, vcc_lo, s2, v11
	v_add_co_ci_u32_e64 v12, null, s3, v12, vcc_lo
	global_load_dword v13, v[13:14], off
	global_load_dword v11, v[11:12], off
	s_waitcnt vmcnt(0)
	v_sub_f32_e32 v11, v13, v11
	v_add_f32_e32 v9, v9, v11
	v_lshlrev_b64 v[11:12], 2, v[2:3]
	v_add_nc_u32_e32 v2, s22, v2
	v_add_co_u32 v13, vcc_lo, s0, v11
	v_add_co_ci_u32_e64 v14, null, s1, v12, vcc_lo
	v_add_co_u32 v11, vcc_lo, s2, v11
	v_add_co_ci_u32_e64 v12, null, s3, v12, vcc_lo
	global_load_dword v13, v[13:14], off
	global_load_dword v11, v[11:12], off
	s_waitcnt vmcnt(0)
	v_sub_f32_e32 v11, v13, v11
	v_sub_f32_e32 v9, v9, v11
	v_lshlrev_b64 v[11:12], 2, v[2:3]
	v_add_nc_u32_e32 v2, s13, v2
	v_add_co_u32 v13, vcc_lo, s0, v11
	v_add_co_ci_u32_e64 v14, null, s1, v12, vcc_lo
	v_add_co_u32 v11, vcc_lo, s2, v11
	v_add_co_ci_u32_e64 v12, null, s3, v12, vcc_lo
	global_load_dword v13, v[13:14], off
	global_load_dword v11, v[11:12], off
	s_waitcnt vmcnt(0)
	v_sub_f32_e32 v11, v13, v11
	v_sub_f32_e32 v9, v9, v11
	v_lshlrev_b64 v[11:12], 2, v[2:3]
	v_add_nc_u32_e32 v2, s4, v2
	v_add_co_u32 v13, vcc_lo, s0, v11
	v_add_co_ci_u32_e64 v14, null, s1, v12, vcc_lo
	v_add_co_u32 v11, vcc_lo, s2, v11
	v_add_co_ci_u32_e64 v12, null, s3, v12, vcc_lo
	global_load_dword v13, v[13:14], off
	global_load_dword v11, v[11:12], off
	s_waitcnt vmcnt(0)
	v_sub_f32_e32 v11, v13, v11
	v_add_f32_e32 v9, v9, v11
	v_lshlrev_b64 v[11:12], 2, v[2:3]
	v_add_nc_u32_e32 v2, s15, v2
	v_add_co_u32 v13, vcc_lo, s0, v11
	v_add_co_ci_u32_e64 v14, null, s1, v12, vcc_lo
	v_add_co_u32 v11, vcc_lo, s2, v11
	v_add_co_ci_u32_e64 v12, null, s3, v12, vcc_lo
	global_load_dword v13, v[13:14], off
	global_load_dword v11, v[11:12], off
	s_waitcnt vmcnt(0)
	v_sub_f32_e32 v11, v13, v11
	v_sub_f32_e32 v9, v9, v11
	v_lshlrev_b64 v[11:12], 2, v[2:3]
	v_add_nc_u32_e32 v2, s16, v2
	v_add_co_u32 v13, vcc_lo, s0, v11
	v_add_co_ci_u32_e64 v14, null, s1, v12, vcc_lo
	v_add_co_u32 v11, vcc_lo, s2, v11
	v_add_co_ci_u32_e64 v12, null, s3, v12, vcc_lo
	global_load_dword v13, v[13:14], off
	global_load_dword v11, v[11:12], off
	s_waitcnt vmcnt(0)
	v_sub_f32_e32 v11, v13, v11
	v_add_f32_e32 v9, v9, v11
	v_lshlrev_b64 v[11:12], 2, v[2:3]
	v_add_nc_u32_e32 v2, s12, v2
	v_add_co_u32 v13, vcc_lo, s0, v11
	v_add_co_ci_u32_e64 v14, null, s1, v12, vcc_lo
	v_add_co_u32 v11, vcc_lo, s2, v11
	v_add_co_ci_u32_e64 v12, null, s3, v12, vcc_lo
	global_load_dword v13, v[13:14], off
	global_load_dword v11, v[11:12], off
	s_waitcnt vmcnt(0)
	v_sub_f32_e32 v11, v13, v11
	v_add_f32_e32 v9, v9, v11
	v_lshlrev_b64 v[11:12], 2, v[2:3]
	v_add_nc_u32_e32 v2, s23, v2
	v_add_co_u32 v13, vcc_lo, s0, v11
	v_add_co_ci_u32_e64 v14, null, s1, v12, vcc_lo
	v_add_co_u32 v11, vcc_lo, s2, v11
	v_add_co_ci_u32_e64 v12, null, s3, v12, vcc_lo
	global_load_dword v13, v[13:14], off
	global_load_dword v11, v[11:12], off
	s_waitcnt vmcnt(0)
	v_sub_f32_e32 v24, v13, v11
	v_lshlrev_b64 v[11:12], 2, v[2:3]
	v_add_nc_u32_e32 v2, s18, v2
	v_add_f32_e32 v9, v9, v24
	v_add_co_u32 v13, vcc_lo, s0, v11
	v_add_co_ci_u32_e64 v14, null, s1, v12, vcc_lo
	v_add_co_u32 v11, vcc_lo, s2, v11
	v_add_co_ci_u32_e64 v12, null, s3, v12, vcc_lo
	global_load_dword v13, v[13:14], off
	global_load_dword v11, v[11:12], off
	s_waitcnt vmcnt(0)
	v_sub_f32_e32 v11, v13, v11
	v_sub_f32_e32 v9, v9, v11
	v_lshlrev_b64 v[11:12], 2, v[2:3]
	v_add_co_u32 v13, vcc_lo, s0, v11
	v_add_co_ci_u32_e64 v14, null, s1, v12, vcc_lo
	v_add_co_u32 v11, vcc_lo, s2, v11
	v_add_co_ci_u32_e64 v12, null, s3, v12, vcc_lo
	global_load_dword v13, v[13:14], off
	global_load_dword v11, v[11:12], off
	s_waitcnt vmcnt(0)
	v_sub_f32_e32 v11, v13, v11
	v_add_f32_e32 v9, v9, v11
	v_mad_u64_u32 v[11:12], null, s12, 24, v[2:3]
	v_mov_b32_e32 v12, v3
	v_lshlrev_b64 v[12:13], 2, v[11:12]
	v_add_co_u32 v14, vcc_lo, s0, v12
	v_add_co_ci_u32_e64 v15, null, s1, v13, vcc_lo
	v_add_co_u32 v12, vcc_lo, s2, v12
	v_add_co_ci_u32_e64 v13, null, s3, v13, vcc_lo
	global_load_dword v2, v[14:15], off
	global_load_dword v12, v[12:13], off
	s_waitcnt vmcnt(0)
	v_sub_f32_e32 v2, v2, v12
	v_add_f32_e32 v9, v9, v2
	v_add_nc_u32_e32 v2, s13, v11
	v_lshlrev_b64 v[11:12], 2, v[2:3]
	v_add_co_u32 v13, vcc_lo, s0, v11
	v_add_co_ci_u32_e64 v14, null, s1, v12, vcc_lo
	v_add_co_u32 v11, vcc_lo, s2, v11
	v_add_co_ci_u32_e64 v12, null, s3, v12, vcc_lo
	global_load_dword v13, v[13:14], off
	global_load_dword v11, v[11:12], off
	s_waitcnt vmcnt(0)
	v_sub_f32_e32 v11, v13, v11
	v_add_f32_e32 v9, v9, v11
	v_mad_u64_u32 v[11:12], null, s12, 25, v[2:3]
	v_mov_b32_e32 v12, v3
	v_lshlrev_b64 v[12:13], 2, v[11:12]
	v_add_co_u32 v14, vcc_lo, s0, v12
	v_add_co_ci_u32_e64 v15, null, s1, v13, vcc_lo
	v_add_co_u32 v12, vcc_lo, s2, v12
	v_add_co_ci_u32_e64 v13, null, s3, v13, vcc_lo
	global_load_dword v2, v[14:15], off
	global_load_dword v12, v[12:13], off
	s_waitcnt vmcnt(0)
	v_sub_f32_e32 v2, v2, v12
	v_add_f32_e32 v9, v9, v2
	v_add_nc_u32_e32 v2, s13, v11
	v_lshlrev_b64 v[11:12], 2, v[2:3]
	v_add_nc_u32_e32 v2, s12, v2
	v_add_co_u32 v13, vcc_lo, s0, v11
	v_add_co_ci_u32_e64 v14, null, s1, v12, vcc_lo
	v_add_co_u32 v11, vcc_lo, s2, v11
	v_add_co_ci_u32_e64 v12, null, s3, v12, vcc_lo
	global_load_dword v13, v[13:14], off
	global_load_dword v11, v[11:12], off
	s_waitcnt vmcnt(0)
	v_sub_f32_e32 v11, v13, v11
	v_add_f32_e32 v9, v9, v11
	v_lshlrev_b64 v[11:12], 2, v[2:3]
	v_add_nc_u32_e32 v2, s19, v2
	v_add_co_u32 v13, vcc_lo, s0, v11
	v_add_co_ci_u32_e64 v14, null, s1, v12, vcc_lo
	v_add_co_u32 v11, vcc_lo, s2, v11
	v_add_co_ci_u32_e64 v12, null, s3, v12, vcc_lo
	global_load_dword v13, v[13:14], off
	global_load_dword v11, v[11:12], off
	s_waitcnt vmcnt(0)
	v_sub_f32_e32 v11, v13, v11
	v_add_f32_e32 v9, v9, v11
	;; [unrolled: 11-line block ×8, first 2 shown]
	v_lshlrev_b64 v[11:12], 2, v[2:3]
	v_add_co_u32 v13, vcc_lo, s0, v11
	v_add_co_ci_u32_e64 v14, null, s1, v12, vcc_lo
	v_add_co_u32 v11, vcc_lo, s2, v11
	v_add_co_ci_u32_e64 v12, null, s3, v12, vcc_lo
	global_load_dword v13, v[13:14], off
	global_load_dword v11, v[11:12], off
	s_waitcnt vmcnt(0)
	v_sub_f32_e32 v11, v13, v11
	v_add_f32_e32 v9, v9, v11
	v_mul_f32_e32 v9, s7, v9
	s_waitcnt lgkmcnt(0)
	v_mul_f32_e32 v13, s21, v9
	v_mov_b32_e32 v9, v3
	s_mul_i32 s21, s12, 17
	v_lshlrev_b64 v[8:9], 2, v[8:9]
	v_add_co_u32 v11, vcc_lo, s8, v8
	v_add_co_ci_u32_e64 v12, null, s9, v9, vcc_lo
	global_store_dword v[11:12], v13, off
	v_add_co_u32 v11, vcc_lo, s0, v8
	v_add_co_ci_u32_e64 v12, null, s1, v9, vcc_lo
	v_add_co_u32 v8, vcc_lo, s2, v8
	v_add_co_ci_u32_e64 v9, null, s3, v9, vcc_lo
	global_load_dword v11, v[11:12], off
	v_mad_u64_u32 v[12:13], null, 0xffffff3c, s12, v[2:3]
	global_load_dword v8, v[8:9], off
	v_mov_b32_e32 v13, v3
	v_lshlrev_b64 v[18:19], 2, v[12:13]
	s_waitcnt vmcnt(0)
	v_sub_f32_e32 v40, v11, v8
	v_add_co_u32 v8, vcc_lo, s0, v18
	v_add_co_ci_u32_e64 v9, null, s1, v19, vcc_lo
	v_sub_f32_e32 v14, v40, v10
	v_add_co_u32 v10, vcc_lo, s2, v18
	v_add_co_ci_u32_e64 v11, null, s3, v19, vcc_lo
	global_load_dword v2, v[8:9], off
	global_load_dword v13, v[10:11], off
	s_waitcnt vmcnt(0)
	v_sub_f32_e32 v2, v2, v13
	v_add_f32_e32 v20, v14, v2
	v_add_nc_u32_e32 v2, s13, v12
	v_lshlrev_b64 v[12:13], 2, v[2:3]
	v_add_nc_u32_e32 v2, s12, v2
	v_add_co_u32 v14, vcc_lo, s0, v12
	v_add_co_ci_u32_e64 v15, null, s1, v13, vcc_lo
	v_add_co_u32 v12, vcc_lo, s2, v12
	v_add_co_ci_u32_e64 v13, null, s3, v13, vcc_lo
	global_load_dword v14, v[14:15], off
	global_load_dword v12, v[12:13], off
	s_waitcnt vmcnt(0)
	v_sub_f32_e32 v12, v14, v12
	v_sub_f32_e32 v20, v20, v12
	v_lshlrev_b64 v[12:13], 2, v[2:3]
	v_add_nc_u32_e32 v2, s13, v2
	v_add_co_u32 v14, vcc_lo, s0, v12
	v_add_co_ci_u32_e64 v15, null, s1, v13, vcc_lo
	v_add_co_u32 v12, vcc_lo, s2, v12
	v_add_co_ci_u32_e64 v13, null, s3, v13, vcc_lo
	global_load_dword v14, v[14:15], off
	global_load_dword v12, v[12:13], off
	s_waitcnt vmcnt(0)
	v_sub_f32_e32 v41, v14, v12
	v_lshlrev_b64 v[14:15], 2, v[2:3]
	v_add_nc_u32_e32 v2, s23, v2
	v_sub_f32_e32 v12, v20, v41
	v_sub_f32_e32 v20, v12, v41
	v_add_co_u32 v12, vcc_lo, s0, v14
	v_add_co_ci_u32_e64 v13, null, s1, v15, vcc_lo
	v_add_co_u32 v14, vcc_lo, s2, v14
	v_add_co_ci_u32_e64 v15, null, s3, v15, vcc_lo
	global_load_dword v21, v[12:13], off
	global_load_dword v22, v[14:15], off
	s_waitcnt vmcnt(0)
	v_sub_f32_e32 v21, v21, v22
	v_add_f32_e32 v25, v20, v21
	v_lshlrev_b64 v[20:21], 2, v[2:3]
	v_add_nc_u32_e32 v2, s13, v2
	v_add_co_u32 v22, vcc_lo, s0, v20
	v_add_co_ci_u32_e64 v23, null, s1, v21, vcc_lo
	v_add_co_u32 v20, vcc_lo, s2, v20
	v_add_co_ci_u32_e64 v21, null, s3, v21, vcc_lo
	global_load_dword v22, v[22:23], off
	global_load_dword v20, v[20:21], off
	s_waitcnt vmcnt(0)
	v_sub_f32_e32 v42, v22, v20
	v_lshlrev_b64 v[20:21], 2, v[2:3]
	v_add_nc_u32_e32 v2, s23, v2
	v_sub_f32_e32 v25, v25, v42
	v_add_co_u32 v22, vcc_lo, s0, v20
	v_add_co_ci_u32_e64 v23, null, s1, v21, vcc_lo
	v_add_co_u32 v20, vcc_lo, s2, v20
	v_add_co_ci_u32_e64 v21, null, s3, v21, vcc_lo
	global_load_dword v22, v[22:23], off
	global_load_dword v20, v[20:21], off
	s_waitcnt vmcnt(0)
	v_sub_f32_e32 v20, v22, v20
	v_sub_f32_e32 v25, v25, v20
	v_lshlrev_b64 v[20:21], 2, v[2:3]
	v_add_nc_u32_e32 v2, s23, v2
	v_add_co_u32 v22, vcc_lo, s0, v20
	v_add_co_ci_u32_e64 v23, null, s1, v21, vcc_lo
	v_add_co_u32 v20, vcc_lo, s2, v20
	v_add_co_ci_u32_e64 v21, null, s3, v21, vcc_lo
	global_load_dword v22, v[22:23], off
	global_load_dword v20, v[20:21], off
	s_waitcnt vmcnt(0)
	v_sub_f32_e32 v20, v22, v20
	v_lshlrev_b64 v[22:23], 2, v[2:3]
	v_add_nc_u32_e32 v2, s16, v2
	v_sub_f32_e32 v25, v25, v20
	v_add_co_u32 v20, vcc_lo, s0, v22
	v_add_co_ci_u32_e64 v21, null, s1, v23, vcc_lo
	v_add_co_u32 v22, vcc_lo, s2, v22
	v_add_co_ci_u32_e64 v23, null, s3, v23, vcc_lo
	global_load_dword v26, v[20:21], off
	global_load_dword v27, v[22:23], off
	s_waitcnt vmcnt(0)
	v_sub_f32_e32 v26, v26, v27
	v_add_f32_e32 v29, v25, v26
	v_lshlrev_b64 v[25:26], 2, v[2:3]
	v_add_nc_u32_e32 v2, s6, v2
	v_add_co_u32 v27, vcc_lo, s0, v25
	v_add_co_ci_u32_e64 v28, null, s1, v26, vcc_lo
	v_add_co_u32 v25, vcc_lo, s2, v25
	v_add_co_ci_u32_e64 v26, null, s3, v26, vcc_lo
	global_load_dword v27, v[27:28], off
	global_load_dword v25, v[25:26], off
	s_waitcnt vmcnt(0)
	v_sub_f32_e32 v25, v27, v25
	v_sub_f32_e32 v27, v29, v25
	v_lshlrev_b64 v[25:26], 2, v[2:3]
	v_add_nc_u32_e32 v2, s22, v2
	v_add_co_u32 v28, vcc_lo, s0, v25
	v_add_co_ci_u32_e64 v29, null, s1, v26, vcc_lo
	v_add_co_u32 v30, vcc_lo, s2, v25
	v_add_co_ci_u32_e64 v31, null, s3, v26, vcc_lo
	global_load_dword v32, v[28:29], off
	global_load_dword v25, v[30:31], off
	s_waitcnt vmcnt(0)
	v_sub_f32_e32 v25, v32, v25
	v_add_f32_e32 v27, v27, v25
	v_lshlrev_b64 v[25:26], 2, v[2:3]
	v_add_nc_u32_e32 v2, s12, v2
	v_add_co_u32 v32, vcc_lo, s0, v25
	v_add_co_ci_u32_e64 v33, null, s1, v26, vcc_lo
	v_add_co_u32 v25, vcc_lo, s2, v25
	v_add_co_ci_u32_e64 v26, null, s3, v26, vcc_lo
	global_load_dword v32, v[32:33], off
	global_load_dword v25, v[25:26], off
	s_waitcnt vmcnt(0)
	v_sub_f32_e32 v25, v32, v25
	v_sub_f32_e32 v27, v27, v25
	v_lshlrev_b64 v[25:26], 2, v[2:3]
	v_add_nc_u32_e32 v2, s13, v2
	v_add_co_u32 v32, vcc_lo, s0, v25
	v_add_co_ci_u32_e64 v33, null, s1, v26, vcc_lo
	v_add_co_u32 v25, vcc_lo, s2, v25
	v_add_co_ci_u32_e64 v26, null, s3, v26, vcc_lo
	global_load_dword v32, v[32:33], off
	global_load_dword v25, v[25:26], off
	s_waitcnt vmcnt(0)
	v_sub_f32_e32 v25, v32, v25
	v_sub_f32_e32 v27, v27, v25
	;; [unrolled: 11-line block ×3, first 2 shown]
	v_sub_f32_e32 v32, v25, v24
	v_lshlrev_b64 v[24:25], 2, v[2:3]
	v_add_nc_u32_e32 v2, s5, v2
	v_add_co_u32 v26, vcc_lo, s0, v24
	v_add_co_ci_u32_e64 v27, null, s1, v25, vcc_lo
	v_add_co_u32 v24, vcc_lo, s2, v24
	v_add_co_ci_u32_e64 v25, null, s3, v25, vcc_lo
	global_load_dword v26, v[26:27], off
	global_load_dword v24, v[24:25], off
	s_waitcnt vmcnt(0)
	v_sub_f32_e32 v24, v26, v24
	v_sub_f32_e32 v32, v32, v24
	v_lshlrev_b64 v[24:25], 2, v[2:3]
	v_add_nc_u32_e32 v2, s13, v2
	v_add_co_u32 v26, vcc_lo, s0, v24
	v_add_co_ci_u32_e64 v27, null, s1, v25, vcc_lo
	v_add_co_u32 v24, vcc_lo, s2, v24
	v_add_co_ci_u32_e64 v25, null, s3, v25, vcc_lo
	global_load_dword v26, v[26:27], off
	global_load_dword v24, v[24:25], off
	s_waitcnt vmcnt(0)
	v_sub_f32_e32 v24, v26, v24
	;; [unrolled: 11-line block ×3, first 2 shown]
	v_lshlrev_b64 v[26:27], 2, v[2:3]
	v_add_nc_u32_e32 v2, s21, v2
	v_sub_f32_e32 v32, v32, v24
	v_add_co_u32 v24, vcc_lo, s0, v26
	v_add_co_ci_u32_e64 v25, null, s1, v27, vcc_lo
	v_add_co_u32 v26, vcc_lo, s2, v26
	v_add_co_ci_u32_e64 v27, null, s3, v27, vcc_lo
	global_load_dword v33, v[24:25], off
	global_load_dword v34, v[26:27], off
	s_waitcnt vmcnt(0)
	v_sub_f32_e32 v33, v33, v34
	v_add_f32_e32 v43, v32, v33
	v_lshlrev_b64 v[32:33], 2, v[2:3]
	v_add_nc_u32_e32 v2, s6, v2
	v_add_co_u32 v34, vcc_lo, s0, v32
	v_add_co_ci_u32_e64 v35, null, s1, v33, vcc_lo
	v_add_co_u32 v32, vcc_lo, s2, v32
	v_add_co_ci_u32_e64 v33, null, s3, v33, vcc_lo
	global_load_dword v34, v[34:35], off
	global_load_dword v32, v[32:33], off
	s_waitcnt vmcnt(0)
	v_sub_f32_e32 v32, v34, v32
	v_sub_f32_e32 v43, v43, v32
	v_lshlrev_b64 v[32:33], 2, v[2:3]
	v_add_nc_u32_e32 v2, s13, v2
	v_add_co_u32 v34, vcc_lo, s0, v32
	v_add_co_ci_u32_e64 v35, null, s1, v33, vcc_lo
	v_add_co_u32 v32, vcc_lo, s2, v32
	v_add_co_ci_u32_e64 v33, null, s3, v33, vcc_lo
	global_load_dword v34, v[34:35], off
	global_load_dword v32, v[32:33], off
	s_waitcnt vmcnt(0)
	v_sub_f32_e32 v32, v34, v32
	v_sub_f32_e32 v43, v43, v32
	;; [unrolled: 11-line block ×9, first 2 shown]
	v_lshlrev_b64 v[32:33], 2, v[2:3]
	v_add_nc_u32_e32 v2, s23, v2
	v_add_co_u32 v34, vcc_lo, s0, v32
	v_add_co_ci_u32_e64 v35, null, s1, v33, vcc_lo
	v_add_co_u32 v32, vcc_lo, s2, v32
	v_add_co_ci_u32_e64 v33, null, s3, v33, vcc_lo
	global_load_dword v34, v[34:35], off
	global_load_dword v32, v[32:33], off
	s_waitcnt vmcnt(0)
	v_sub_f32_e32 v32, v34, v32
	v_lshlrev_b64 v[34:35], 2, v[2:3]
	v_add_nc_u32_e32 v2, s20, v2
	v_sub_f32_e32 v43, v43, v32
	v_add_co_u32 v32, vcc_lo, s0, v34
	v_add_co_ci_u32_e64 v33, null, s1, v35, vcc_lo
	v_add_co_u32 v34, vcc_lo, s2, v34
	v_add_co_ci_u32_e64 v35, null, s3, v35, vcc_lo
	global_load_dword v44, v[32:33], off
	global_load_dword v45, v[34:35], off
	s_waitcnt vmcnt(0)
	v_sub_f32_e32 v44, v44, v45
	v_add_f32_e32 v47, v43, v44
	v_lshlrev_b64 v[43:44], 2, v[2:3]
	v_add_nc_u32_e32 v2, s4, v2
	s_load_dwordx2 s[4:5], s[10:11], 0x8
	v_add_co_u32 v45, vcc_lo, s0, v43
	v_add_co_ci_u32_e64 v46, null, s1, v44, vcc_lo
	v_add_co_u32 v43, vcc_lo, s2, v43
	v_add_co_ci_u32_e64 v44, null, s3, v44, vcc_lo
	global_load_dword v45, v[45:46], off
	global_load_dword v43, v[43:44], off
	s_waitcnt vmcnt(0)
	v_sub_f32_e32 v43, v45, v43
	v_sub_f32_e32 v47, v47, v43
	v_lshlrev_b64 v[43:44], 2, v[2:3]
	v_add_nc_u32_e32 v2, s12, v2
	v_add_co_u32 v45, vcc_lo, s0, v43
	v_add_co_ci_u32_e64 v46, null, s1, v44, vcc_lo
	v_add_co_u32 v43, vcc_lo, s2, v43
	v_add_co_ci_u32_e64 v44, null, s3, v44, vcc_lo
	global_load_dword v45, v[45:46], off
	global_load_dword v43, v[43:44], off
	s_waitcnt vmcnt(0)
	v_sub_f32_e32 v43, v45, v43
	v_sub_f32_e32 v47, v47, v43
	v_lshlrev_b64 v[43:44], 2, v[2:3]
	v_add_nc_u32_e32 v2, s12, v2
	;; [unrolled: 11-line block ×9, first 2 shown]
	v_add_co_u32 v45, vcc_lo, s0, v43
	v_add_co_ci_u32_e64 v46, null, s1, v44, vcc_lo
	v_add_co_u32 v43, vcc_lo, s2, v43
	v_add_co_ci_u32_e64 v44, null, s3, v44, vcc_lo
	global_load_dword v45, v[45:46], off
	global_load_dword v43, v[43:44], off
	s_waitcnt vmcnt(0)
	v_sub_f32_e32 v43, v45, v43
	v_sub_f32_e32 v47, v47, v43
	v_lshlrev_b64 v[43:44], 2, v[2:3]
	v_add_co_u32 v45, vcc_lo, s0, v43
	v_add_co_ci_u32_e64 v46, null, s1, v44, vcc_lo
	v_add_co_u32 v43, vcc_lo, s2, v43
	v_add_co_ci_u32_e64 v44, null, s3, v44, vcc_lo
	global_load_dword v45, v[45:46], off
	v_add_co_u32 v16, vcc_lo, s8, v16
	global_load_dword v43, v[43:44], off
	v_add_co_ci_u32_e64 v17, null, s9, v17, vcc_lo
	s_waitcnt vmcnt(0)
	v_sub_f32_e32 v43, v45, v43
	v_sub_f32_e32 v43, v47, v43
	v_mul_f32_e32 v43, s7, v43
	s_waitcnt lgkmcnt(0)
	v_mul_f32_e32 v43, s4, v43
	s_mul_i32 s4, s12, 13
	global_store_dword v[16:17], v43, off
	v_sub_f32_e32 v16, v41, v40
	v_mad_u64_u32 v[40:41], null, 0xffffff4c, s12, v[2:3]
	v_mov_b32_e32 v41, v3
	v_sub_f32_e32 v16, v16, v36
	v_add_f32_e32 v16, v37, v16
	v_lshlrev_b64 v[36:37], 2, v[40:41]
	v_add_f32_e32 v42, v16, v42
	v_add_co_u32 v16, vcc_lo, s0, v36
	v_add_co_ci_u32_e64 v17, null, s1, v37, vcc_lo
	v_add_co_u32 v36, vcc_lo, s2, v36
	v_add_co_ci_u32_e64 v37, null, s3, v37, vcc_lo
	global_load_dword v2, v[16:17], off
	global_load_dword v41, v[36:37], off
	;; [unrolled: 1-line block ×4, first 2 shown]
	s_waitcnt vmcnt(2)
	v_sub_f32_e32 v2, v2, v41
	s_waitcnt vmcnt(0)
	v_sub_f32_e32 v20, v20, v21
	v_add_f32_e32 v2, v42, v2
	v_add_f32_e32 v2, v39, v2
	v_sub_f32_e32 v2, v2, v20
	global_load_dword v20, v[28:29], off
	global_load_dword v21, v[30:31], off
	s_waitcnt vmcnt(0)
	v_sub_f32_e32 v20, v20, v21
	v_sub_f32_e32 v2, v2, v20
	v_mad_u64_u32 v[20:21], null, s12, 26, v[40:41]
	v_mov_b32_e32 v21, v3
	v_lshlrev_b64 v[21:22], 2, v[20:21]
	v_add_co_u32 v28, vcc_lo, s0, v21
	v_add_co_ci_u32_e64 v29, null, s1, v22, vcc_lo
	v_add_co_u32 v21, vcc_lo, s2, v21
	v_add_co_ci_u32_e64 v22, null, s3, v22, vcc_lo
	global_load_dword v23, v[28:29], off
	global_load_dword v21, v[21:22], off
	s_waitcnt vmcnt(0)
	v_sub_f32_e32 v21, v23, v21
	v_sub_f32_e32 v28, v2, v21
	v_add_nc_u32_e32 v2, s6, v20
	v_lshlrev_b64 v[20:21], 2, v[2:3]
	v_add_nc_u32_e32 v2, s12, v2
	v_add_co_u32 v22, vcc_lo, s0, v20
	v_add_co_ci_u32_e64 v23, null, s1, v21, vcc_lo
	v_add_co_u32 v20, vcc_lo, s2, v20
	v_add_co_ci_u32_e64 v21, null, s3, v21, vcc_lo
	global_load_dword v22, v[22:23], off
	global_load_dword v20, v[20:21], off
	s_waitcnt vmcnt(0)
	v_sub_f32_e32 v20, v22, v20
	v_sub_f32_e32 v28, v28, v20
	v_lshlrev_b64 v[20:21], 2, v[2:3]
	v_add_nc_u32_e32 v2, s4, v2
	v_add_co_u32 v22, vcc_lo, s0, v20
	v_add_co_ci_u32_e64 v23, null, s1, v21, vcc_lo
	v_add_co_u32 v20, vcc_lo, s2, v20
	v_add_co_ci_u32_e64 v21, null, s3, v21, vcc_lo
	global_load_dword v22, v[22:23], off
	global_load_dword v20, v[20:21], off
	s_waitcnt vmcnt(0)
	v_sub_f32_e32 v20, v22, v20
	v_sub_f32_e32 v28, v28, v20
	v_lshlrev_b64 v[20:21], 2, v[2:3]
	v_add_nc_u32_e32 v2, s12, v2
	v_add_co_u32 v22, vcc_lo, s0, v20
	v_add_co_ci_u32_e64 v23, null, s1, v21, vcc_lo
	v_add_co_u32 v20, vcc_lo, s2, v20
	v_add_co_ci_u32_e64 v21, null, s3, v21, vcc_lo
	global_load_dword v22, v[22:23], off
	global_load_dword v20, v[20:21], off
	s_waitcnt vmcnt(0)
	v_sub_f32_e32 v20, v22, v20
	v_lshlrev_b64 v[22:23], 2, v[2:3]
	v_add_nc_u32_e32 v2, s15, v2
	v_sub_f32_e32 v28, v28, v20
	v_add_co_u32 v20, vcc_lo, s0, v22
	v_add_co_ci_u32_e64 v21, null, s1, v23, vcc_lo
	v_add_co_u32 v22, vcc_lo, s2, v22
	v_add_co_ci_u32_e64 v23, null, s3, v23, vcc_lo
	global_load_dword v29, v[20:21], off
	global_load_dword v30, v[22:23], off
	s_waitcnt vmcnt(0)
	v_sub_f32_e32 v29, v29, v30
	v_sub_f32_e32 v39, v28, v29
	v_lshlrev_b64 v[28:29], 2, v[2:3]
	v_add_nc_u32_e32 v2, s18, v2
	v_add_co_u32 v30, vcc_lo, s0, v28
	v_add_co_ci_u32_e64 v31, null, s1, v29, vcc_lo
	v_add_co_u32 v28, vcc_lo, s2, v28
	v_add_co_ci_u32_e64 v29, null, s3, v29, vcc_lo
	global_load_dword v30, v[30:31], off
	global_load_dword v28, v[28:29], off
	;; [unrolled: 1-line block ×4, first 2 shown]
	s_waitcnt vmcnt(2)
	v_sub_f32_e32 v28, v30, v28
	s_waitcnt vmcnt(0)
	v_sub_f32_e32 v24, v24, v25
	v_sub_f32_e32 v28, v39, v28
	;; [unrolled: 1-line block ×3, first 2 shown]
	v_lshlrev_b64 v[24:25], 2, v[2:3]
	v_add_nc_u32_e32 v2, s12, v2
	v_add_co_u32 v26, vcc_lo, s0, v24
	v_add_co_ci_u32_e64 v27, null, s1, v25, vcc_lo
	v_add_co_u32 v24, vcc_lo, s2, v24
	v_add_co_ci_u32_e64 v25, null, s3, v25, vcc_lo
	global_load_dword v26, v[26:27], off
	global_load_dword v24, v[24:25], off
	s_waitcnt vmcnt(0)
	v_sub_f32_e32 v24, v26, v24
	v_sub_f32_e32 v28, v28, v24
	v_lshlrev_b64 v[24:25], 2, v[2:3]
	v_add_nc_u32_e32 v2, s21, v2
	v_add_co_u32 v26, vcc_lo, s0, v24
	v_add_co_ci_u32_e64 v27, null, s1, v25, vcc_lo
	v_add_co_u32 v24, vcc_lo, s2, v24
	v_add_co_ci_u32_e64 v25, null, s3, v25, vcc_lo
	global_load_dword v26, v[26:27], off
	global_load_dword v24, v[24:25], off
	s_waitcnt vmcnt(0)
	v_sub_f32_e32 v24, v26, v24
	v_add_f32_e32 v28, v28, v24
	v_lshlrev_b64 v[24:25], 2, v[2:3]
	v_add_nc_u32_e32 v2, s15, v2
	v_add_co_u32 v26, vcc_lo, s0, v24
	v_add_co_ci_u32_e64 v27, null, s1, v25, vcc_lo
	v_add_co_u32 v24, vcc_lo, s2, v24
	v_add_co_ci_u32_e64 v25, null, s3, v25, vcc_lo
	global_load_dword v26, v[26:27], off
	global_load_dword v24, v[24:25], off
	s_waitcnt vmcnt(0)
	v_sub_f32_e32 v24, v26, v24
	v_sub_f32_e32 v28, v28, v24
	v_lshlrev_b64 v[24:25], 2, v[2:3]
	v_add_nc_u32_e32 v2, s14, v2
	v_add_co_u32 v26, vcc_lo, s0, v24
	v_add_co_ci_u32_e64 v27, null, s1, v25, vcc_lo
	v_add_co_u32 v24, vcc_lo, s2, v24
	v_add_co_ci_u32_e64 v25, null, s3, v25, vcc_lo
	global_load_dword v26, v[26:27], off
	global_load_dword v24, v[24:25], off
	s_waitcnt vmcnt(0)
	v_sub_f32_e32 v24, v26, v24
	v_sub_f32_e32 v28, v28, v24
	;; [unrolled: 11-line block ×3, first 2 shown]
	v_lshlrev_b64 v[24:25], 2, v[2:3]
	v_add_nc_u32_e32 v2, s16, v2
	v_add_co_u32 v26, vcc_lo, s0, v24
	v_add_co_ci_u32_e64 v27, null, s1, v25, vcc_lo
	v_add_co_u32 v24, vcc_lo, s2, v24
	v_add_co_ci_u32_e64 v25, null, s3, v25, vcc_lo
	global_load_dword v26, v[26:27], off
	global_load_dword v24, v[24:25], off
	s_waitcnt vmcnt(0)
	v_sub_f32_e32 v24, v26, v24
	global_load_dword v25, v[32:33], off
	global_load_dword v26, v[34:35], off
	v_sub_f32_e32 v24, v28, v24
	s_waitcnt vmcnt(0)
	v_sub_f32_e32 v25, v25, v26
	v_sub_f32_e32 v28, v24, v25
	v_lshlrev_b64 v[24:25], 2, v[2:3]
	v_add_nc_u32_e32 v2, s4, v2
	v_add_co_u32 v26, vcc_lo, s0, v24
	v_add_co_ci_u32_e64 v27, null, s1, v25, vcc_lo
	v_add_co_u32 v24, vcc_lo, s2, v24
	v_add_co_ci_u32_e64 v25, null, s3, v25, vcc_lo
	global_load_dword v26, v[26:27], off
	global_load_dword v24, v[24:25], off
	s_waitcnt vmcnt(0)
	v_sub_f32_e32 v24, v26, v24
	v_sub_f32_e32 v28, v28, v24
	v_lshlrev_b64 v[24:25], 2, v[2:3]
	v_add_nc_u32_e32 v2, s12, v2
	v_add_co_u32 v26, vcc_lo, s0, v24
	v_add_co_ci_u32_e64 v27, null, s1, v25, vcc_lo
	v_add_co_u32 v24, vcc_lo, s2, v24
	v_add_co_ci_u32_e64 v25, null, s3, v25, vcc_lo
	global_load_dword v26, v[26:27], off
	global_load_dword v24, v[24:25], off
	;; [unrolled: 11-line block ×6, first 2 shown]
	s_waitcnt vmcnt(0)
	v_sub_f32_e32 v24, v26, v24
	v_add_f32_e32 v28, v28, v24
	v_lshlrev_b64 v[24:25], 2, v[2:3]
	v_add_nc_u32_e32 v2, s19, v2
	v_add_co_u32 v26, vcc_lo, s0, v24
	v_add_co_ci_u32_e64 v27, null, s1, v25, vcc_lo
	v_add_co_u32 v24, vcc_lo, s2, v24
	v_add_co_ci_u32_e64 v25, null, s3, v25, vcc_lo
	global_load_dword v26, v[26:27], off
	global_load_dword v24, v[24:25], off
	s_waitcnt vmcnt(0)
	v_sub_f32_e32 v24, v26, v24
	v_add_f32_e32 v28, v28, v24
	v_lshlrev_b64 v[24:25], 2, v[2:3]
	v_add_co_u32 v26, vcc_lo, s0, v24
	v_add_co_ci_u32_e64 v27, null, s1, v25, vcc_lo
	v_add_co_u32 v24, vcc_lo, s2, v24
	v_add_co_ci_u32_e64 v25, null, s3, v25, vcc_lo
	global_load_dword v26, v[26:27], off
	v_add_co_u32 v18, vcc_lo, s8, v18
	global_load_dword v24, v[24:25], off
	v_add_co_ci_u32_e64 v19, null, s9, v19, vcc_lo
	s_waitcnt vmcnt(0)
	v_sub_f32_e32 v24, v26, v24
	v_sub_f32_e32 v24, v28, v24
	v_mul_f32_e32 v24, s7, v24
	v_mul_f32_e32 v24, s5, v24
	global_store_dword v[18:19], v24, off
	global_load_dword v4, v[4:5], off
	global_load_dword v5, v[6:7], off
	s_waitcnt vmcnt(0)
	v_sub_f32_e32 v4, v4, v5
	global_load_dword v5, v[8:9], off
	global_load_dword v6, v[10:11], off
	s_waitcnt vmcnt(0)
	v_sub_f32_e32 v5, v5, v6
	v_add_f32_e32 v9, v4, v5
	v_mad_u64_u32 v[4:5], null, 0xffffff3e, s12, v[2:3]
	v_mov_b32_e32 v5, v3
	v_lshlrev_b64 v[5:6], 2, v[4:5]
	v_add_co_u32 v7, vcc_lo, s0, v5
	v_add_co_ci_u32_e64 v8, null, s1, v6, vcc_lo
	v_add_co_u32 v5, vcc_lo, s2, v5
	v_add_co_ci_u32_e64 v6, null, s3, v6, vcc_lo
	global_load_dword v2, v[7:8], off
	global_load_dword v5, v[5:6], off
	s_waitcnt vmcnt(0)
	v_sub_f32_e32 v2, v2, v5
	global_load_dword v5, v[12:13], off
	global_load_dword v6, v[14:15], off
	v_add_f32_e32 v2, v9, v2
	s_waitcnt vmcnt(0)
	v_sub_f32_e32 v5, v5, v6
	v_add_f32_e32 v2, v2, v5
	global_load_dword v5, v[16:17], off
	global_load_dword v6, v[36:37], off
	s_waitcnt vmcnt(0)
	v_sub_f32_e32 v5, v5, v6
	v_add_f32_e32 v8, v2, v5
	v_add_nc_u32_e32 v2, s19, v4
	v_lshlrev_b64 v[4:5], 2, v[2:3]
	v_add_nc_u32_e32 v2, s20, v2
	v_add_co_u32 v6, vcc_lo, s0, v4
	v_add_co_ci_u32_e64 v7, null, s1, v5, vcc_lo
	v_add_co_u32 v4, vcc_lo, s2, v4
	v_add_co_ci_u32_e64 v5, null, s3, v5, vcc_lo
	global_load_dword v6, v[6:7], off
	global_load_dword v4, v[4:5], off
	s_waitcnt vmcnt(0)
	v_sub_f32_e32 v4, v6, v4
	v_add_f32_e32 v4, v8, v4
	v_add_f32_e32 v8, v38, v4
	v_lshlrev_b64 v[4:5], 2, v[2:3]
	v_add_nc_u32_e32 v2, s18, v2
	v_add_co_u32 v6, vcc_lo, s0, v4
	v_add_co_ci_u32_e64 v7, null, s1, v5, vcc_lo
	v_add_co_u32 v4, vcc_lo, s2, v4
	v_add_co_ci_u32_e64 v5, null, s3, v5, vcc_lo
	global_load_dword v6, v[6:7], off
	global_load_dword v4, v[4:5], off
	s_waitcnt vmcnt(0)
	v_sub_f32_e32 v4, v6, v4
	v_sub_f32_e32 v8, v8, v4
	v_lshlrev_b64 v[4:5], 2, v[2:3]
	v_add_nc_u32_e32 v2, s15, v2
	v_add_co_u32 v6, vcc_lo, s0, v4
	v_add_co_ci_u32_e64 v7, null, s1, v5, vcc_lo
	v_add_co_u32 v4, vcc_lo, s2, v4
	v_add_co_ci_u32_e64 v5, null, s3, v5, vcc_lo
	global_load_dword v6, v[6:7], off
	global_load_dword v4, v[4:5], off
	s_waitcnt vmcnt(0)
	v_sub_f32_e32 v4, v6, v4
	v_add_f32_e32 v8, v8, v4
	v_lshlrev_b64 v[4:5], 2, v[2:3]
	v_add_co_u32 v6, vcc_lo, s0, v4
	v_add_co_ci_u32_e64 v7, null, s1, v5, vcc_lo
	v_add_co_u32 v4, vcc_lo, s2, v4
	v_add_co_ci_u32_e64 v5, null, s3, v5, vcc_lo
	global_load_dword v6, v[6:7], off
	global_load_dword v4, v[4:5], off
	s_waitcnt vmcnt(0)
	v_sub_f32_e32 v4, v6, v4
	global_load_dword v5, v[20:21], off
	global_load_dword v6, v[22:23], off
	v_add_f32_e32 v4, v8, v4
	s_waitcnt vmcnt(0)
	v_sub_f32_e32 v5, v5, v6
	v_add_f32_e32 v9, v4, v5
	v_mad_u64_u32 v[4:5], null, s12, 20, v[2:3]
	v_mov_b32_e32 v5, v3
	v_lshlrev_b64 v[5:6], 2, v[4:5]
	v_add_co_u32 v7, vcc_lo, s0, v5
	v_add_co_ci_u32_e64 v8, null, s1, v6, vcc_lo
	v_add_co_u32 v5, vcc_lo, s2, v5
	v_add_co_ci_u32_e64 v6, null, s3, v6, vcc_lo
	global_load_dword v2, v[7:8], off
	global_load_dword v5, v[5:6], off
	s_waitcnt vmcnt(0)
	v_sub_f32_e32 v2, v2, v5
	v_add_f32_e32 v8, v9, v2
	v_add_nc_u32_e32 v2, s13, v4
	v_lshlrev_b64 v[4:5], 2, v[2:3]
	v_add_nc_u32_e32 v2, s12, v2
	v_add_co_u32 v6, vcc_lo, s0, v4
	v_add_co_ci_u32_e64 v7, null, s1, v5, vcc_lo
	v_add_co_u32 v4, vcc_lo, s2, v4
	v_add_co_ci_u32_e64 v5, null, s3, v5, vcc_lo
	global_load_dword v6, v[6:7], off
	global_load_dword v4, v[4:5], off
	s_waitcnt vmcnt(0)
	v_sub_f32_e32 v4, v6, v4
	v_add_f32_e32 v8, v8, v4
	v_lshlrev_b64 v[4:5], 2, v[2:3]
	v_add_nc_u32_e32 v2, s21, v2
	v_add_co_u32 v6, vcc_lo, s0, v4
	v_add_co_ci_u32_e64 v7, null, s1, v5, vcc_lo
	v_add_co_u32 v4, vcc_lo, s2, v4
	v_add_co_ci_u32_e64 v5, null, s3, v5, vcc_lo
	global_load_dword v6, v[6:7], off
	global_load_dword v4, v[4:5], off
	s_waitcnt vmcnt(0)
	v_sub_f32_e32 v4, v6, v4
	v_add_f32_e32 v8, v8, v4
	;; [unrolled: 11-line block ×4, first 2 shown]
	v_lshlrev_b64 v[4:5], 2, v[2:3]
	v_add_co_u32 v6, vcc_lo, s0, v4
	v_add_co_ci_u32_e64 v7, null, s1, v5, vcc_lo
	v_add_co_u32 v4, vcc_lo, s2, v4
	v_add_co_ci_u32_e64 v5, null, s3, v5, vcc_lo
	global_load_dword v6, v[6:7], off
	global_load_dword v4, v[4:5], off
	s_waitcnt vmcnt(0)
	v_sub_f32_e32 v4, v6, v4
	v_add_f32_e32 v9, v8, v4
	v_mad_u64_u32 v[4:5], null, s12, 27, v[2:3]
	v_mov_b32_e32 v5, v3
	v_lshlrev_b64 v[5:6], 2, v[4:5]
	v_add_co_u32 v7, vcc_lo, s0, v5
	v_add_co_ci_u32_e64 v8, null, s1, v6, vcc_lo
	v_add_co_u32 v5, vcc_lo, s2, v5
	v_add_co_ci_u32_e64 v6, null, s3, v6, vcc_lo
	global_load_dword v2, v[7:8], off
	global_load_dword v5, v[5:6], off
	s_waitcnt vmcnt(0)
	v_sub_f32_e32 v2, v2, v5
	v_add_f32_e32 v8, v9, v2
	v_add_nc_u32_e32 v2, s13, v4
	v_lshlrev_b64 v[4:5], 2, v[2:3]
	v_add_nc_u32_e32 v2, s14, v2
	v_add_co_u32 v6, vcc_lo, s0, v4
	v_add_co_ci_u32_e64 v7, null, s1, v5, vcc_lo
	v_add_co_u32 v4, vcc_lo, s2, v4
	v_add_co_ci_u32_e64 v5, null, s3, v5, vcc_lo
	global_load_dword v6, v[6:7], off
	global_load_dword v4, v[4:5], off
	s_waitcnt vmcnt(0)
	v_sub_f32_e32 v4, v6, v4
	v_add_f32_e32 v8, v8, v4
	v_lshlrev_b64 v[4:5], 2, v[2:3]
	v_add_nc_u32_e32 v2, s15, v2
	v_add_co_u32 v6, vcc_lo, s0, v4
	v_add_co_ci_u32_e64 v7, null, s1, v5, vcc_lo
	v_add_co_u32 v4, vcc_lo, s2, v4
	v_add_co_ci_u32_e64 v5, null, s3, v5, vcc_lo
	global_load_dword v6, v[6:7], off
	global_load_dword v4, v[4:5], off
	s_waitcnt vmcnt(0)
	v_sub_f32_e32 v4, v6, v4
	v_add_f32_e32 v8, v8, v4
	v_lshlrev_b64 v[4:5], 2, v[2:3]
	v_add_co_u32 v6, vcc_lo, s0, v4
	v_add_co_ci_u32_e64 v7, null, s1, v5, vcc_lo
	v_add_co_u32 v4, vcc_lo, s2, v4
	v_add_co_ci_u32_e64 v5, null, s3, v5, vcc_lo
	global_load_dword v6, v[6:7], off
	global_load_dword v4, v[4:5], off
	s_waitcnt vmcnt(0)
	v_sub_f32_e32 v4, v6, v4
	v_add_f32_e32 v9, v8, v4
	v_mad_u64_u32 v[4:5], null, s12, 21, v[2:3]
	v_mov_b32_e32 v5, v3
	v_lshlrev_b64 v[5:6], 2, v[4:5]
	v_add_co_u32 v7, vcc_lo, s0, v5
	v_add_co_ci_u32_e64 v8, null, s1, v6, vcc_lo
	v_add_co_u32 v5, vcc_lo, s2, v5
	v_add_co_ci_u32_e64 v6, null, s3, v6, vcc_lo
	global_load_dword v2, v[7:8], off
	global_load_dword v5, v[5:6], off
	s_waitcnt vmcnt(0)
	v_sub_f32_e32 v2, v2, v5
	v_add_f32_e32 v8, v9, v2
	v_add_nc_u32_e32 v2, s17, v4
	v_lshlrev_b64 v[4:5], 2, v[2:3]
	v_add_nc_u32_e32 v2, s13, v2
	v_add_co_u32 v6, vcc_lo, s0, v4
	v_add_co_ci_u32_e64 v7, null, s1, v5, vcc_lo
	v_add_co_u32 v4, vcc_lo, s2, v4
	v_add_co_ci_u32_e64 v5, null, s3, v5, vcc_lo
	global_load_dword v6, v[6:7], off
	v_lshlrev_b64 v[2:3], 2, v[2:3]
	global_load_dword v4, v[4:5], off
	v_add_co_u32 v5, vcc_lo, s0, v2
	s_load_dword s0, s[10:11], 0x14
	s_waitcnt vmcnt(0)
	v_sub_f32_e32 v4, v6, v4
	v_add_co_ci_u32_e64 v6, null, s1, v3, vcc_lo
	v_add_co_u32 v2, vcc_lo, s2, v2
	v_add_co_ci_u32_e64 v3, null, s3, v3, vcc_lo
	global_load_dword v5, v[5:6], off
	v_add_f32_e32 v4, v8, v4
	v_add_co_u32 v0, vcc_lo, s8, v0
	global_load_dword v2, v[2:3], off
	v_add_co_ci_u32_e64 v1, null, s9, v1, vcc_lo
	s_waitcnt vmcnt(0)
	v_sub_f32_e32 v2, v5, v2
	v_add_f32_e32 v2, v4, v2
	v_mul_f32_e32 v2, s7, v2
	s_waitcnt lgkmcnt(0)
	v_mul_f32_e32 v2, s0, v2
	global_store_dword v[0:1], v2, off
	s_endpgm
	.section	.rodata,"a",@progbits
	.p2align	6, 0x0
	.amdhsa_kernel _Z15rdwdot10_kernelIfEvPKT_S2_PS0_S0_S2_
		.amdhsa_group_segment_fixed_size 0
		.amdhsa_private_segment_fixed_size 0
		.amdhsa_kernarg_size 296
		.amdhsa_user_sgpr_count 6
		.amdhsa_user_sgpr_private_segment_buffer 1
		.amdhsa_user_sgpr_dispatch_ptr 0
		.amdhsa_user_sgpr_queue_ptr 0
		.amdhsa_user_sgpr_kernarg_segment_ptr 1
		.amdhsa_user_sgpr_dispatch_id 0
		.amdhsa_user_sgpr_flat_scratch_init 0
		.amdhsa_user_sgpr_private_segment_size 0
		.amdhsa_wavefront_size32 1
		.amdhsa_uses_dynamic_stack 0
		.amdhsa_system_sgpr_private_segment_wavefront_offset 0
		.amdhsa_system_sgpr_workgroup_id_x 1
		.amdhsa_system_sgpr_workgroup_id_y 0
		.amdhsa_system_sgpr_workgroup_id_z 0
		.amdhsa_system_sgpr_workgroup_info 0
		.amdhsa_system_vgpr_workitem_id 0
		.amdhsa_next_free_vgpr 48
		.amdhsa_next_free_sgpr 24
		.amdhsa_reserve_vcc 1
		.amdhsa_reserve_flat_scratch 0
		.amdhsa_float_round_mode_32 0
		.amdhsa_float_round_mode_16_64 0
		.amdhsa_float_denorm_mode_32 3
		.amdhsa_float_denorm_mode_16_64 3
		.amdhsa_dx10_clamp 1
		.amdhsa_ieee_mode 1
		.amdhsa_fp16_overflow 0
		.amdhsa_workgroup_processor_mode 1
		.amdhsa_memory_ordered 1
		.amdhsa_forward_progress 1
		.amdhsa_shared_vgpr_count 0
		.amdhsa_exception_fp_ieee_invalid_op 0
		.amdhsa_exception_fp_denorm_src 0
		.amdhsa_exception_fp_ieee_div_zero 0
		.amdhsa_exception_fp_ieee_overflow 0
		.amdhsa_exception_fp_ieee_underflow 0
		.amdhsa_exception_fp_ieee_inexact 0
		.amdhsa_exception_int_div_zero 0
	.end_amdhsa_kernel
	.section	.text._Z15rdwdot10_kernelIfEvPKT_S2_PS0_S0_S2_,"axG",@progbits,_Z15rdwdot10_kernelIfEvPKT_S2_PS0_S0_S2_,comdat
.Lfunc_end26:
	.size	_Z15rdwdot10_kernelIfEvPKT_S2_PS0_S0_S2_, .Lfunc_end26-_Z15rdwdot10_kernelIfEvPKT_S2_PS0_S0_S2_
                                        ; -- End function
	.set _Z15rdwdot10_kernelIfEvPKT_S2_PS0_S0_S2_.num_vgpr, 48
	.set _Z15rdwdot10_kernelIfEvPKT_S2_PS0_S0_S2_.num_agpr, 0
	.set _Z15rdwdot10_kernelIfEvPKT_S2_PS0_S0_S2_.numbered_sgpr, 24
	.set _Z15rdwdot10_kernelIfEvPKT_S2_PS0_S0_S2_.num_named_barrier, 0
	.set _Z15rdwdot10_kernelIfEvPKT_S2_PS0_S0_S2_.private_seg_size, 0
	.set _Z15rdwdot10_kernelIfEvPKT_S2_PS0_S0_S2_.uses_vcc, 1
	.set _Z15rdwdot10_kernelIfEvPKT_S2_PS0_S0_S2_.uses_flat_scratch, 0
	.set _Z15rdwdot10_kernelIfEvPKT_S2_PS0_S0_S2_.has_dyn_sized_stack, 0
	.set _Z15rdwdot10_kernelIfEvPKT_S2_PS0_S0_S2_.has_recursion, 0
	.set _Z15rdwdot10_kernelIfEvPKT_S2_PS0_S0_S2_.has_indirect_call, 0
	.section	.AMDGPU.csdata,"",@progbits
; Kernel info:
; codeLenInByte = 9024
; TotalNumSgprs: 26
; NumVgprs: 48
; ScratchSize: 0
; MemoryBound: 0
; FloatMode: 240
; IeeeMode: 1
; LDSByteSize: 0 bytes/workgroup (compile time only)
; SGPRBlocks: 0
; VGPRBlocks: 5
; NumSGPRsForWavesPerEU: 26
; NumVGPRsForWavesPerEU: 48
; Occupancy: 16
; WaveLimiterHint : 0
; COMPUTE_PGM_RSRC2:SCRATCH_EN: 0
; COMPUTE_PGM_RSRC2:USER_SGPR: 6
; COMPUTE_PGM_RSRC2:TRAP_HANDLER: 0
; COMPUTE_PGM_RSRC2:TGID_X_EN: 1
; COMPUTE_PGM_RSRC2:TGID_Y_EN: 0
; COMPUTE_PGM_RSRC2:TGID_Z_EN: 0
; COMPUTE_PGM_RSRC2:TIDIG_COMP_CNT: 0
	.section	.text._Z11ratt_kernelIdEvPKT_PS0_S0_,"axG",@progbits,_Z11ratt_kernelIdEvPKT_PS0_S0_,comdat
	.protected	_Z11ratt_kernelIdEvPKT_PS0_S0_ ; -- Begin function _Z11ratt_kernelIdEvPKT_PS0_S0_
	.globl	_Z11ratt_kernelIdEvPKT_PS0_S0_
	.p2align	8
	.type	_Z11ratt_kernelIdEvPKT_PS0_S0_,@function
_Z11ratt_kernelIdEvPKT_PS0_S0_:         ; @_Z11ratt_kernelIdEvPKT_PS0_S0_
; %bb.0:
	s_clause 0x3
	s_load_dword s0, s[4:5], 0x24
	s_load_dwordx4 s[8:11], s[4:5], 0x0
	s_load_dwordx2 s[2:3], s[4:5], 0x10
	s_load_dword s33, s[4:5], 0x18
	s_mov_b32 s12, 0xa0e410b6
	s_mov_b32 s13, 0xc0bc54dc
	;; [unrolled: 1-line block ×16, first 2 shown]
	s_waitcnt lgkmcnt(0)
	s_and_b32 s0, s0, 0xffff
	s_mov_b32 s22, 0x14761f6e
	v_mad_u64_u32 v[0:1], null, s6, s0, v[0:1]
	v_mov_b32_e32 v1, 0
	s_mov_b32 s6, 0x6b47b09a
	s_mov_b32 s7, 0x3fc38538
	;; [unrolled: 1-line block ×5, first 2 shown]
	v_lshlrev_b64 v[6:7], 3, v[0:1]
	s_mov_b32 s34, 0x11122322
	s_mov_b32 s35, 0x3f811111
	;; [unrolled: 1-line block ×5, first 2 shown]
	v_add_co_u32 v2, vcc_lo, s8, v6
	v_add_co_ci_u32_e64 v3, null, s9, v7, vcc_lo
	s_mov_b32 s8, 0xbf559e2b
	s_mov_b32 s9, 0x3fc3ab76
	;; [unrolled: 1-line block ×3, first 2 shown]
	global_load_dwordx2 v[2:3], v[2:3], off
	s_mul_i32 s33, s33, s0
	s_mov_b32 s39, 0xbfeb851e
	v_add_nc_u32_e32 v0, s33, v0
	s_mov_b32 s38, 0xb851eb85
	s_mov_b32 s40, 0x7e0fd058
	;; [unrolled: 1-line block ×3, first 2 shown]
	v_add_co_u32 v6, s1, s10, v6
	v_add_co_ci_u32_e64 v7, null, s11, v7, s1
	s_mov_b32 s4, 0x27fd750b
	s_mov_b32 s42, 0x851eb852
	;; [unrolled: 1-line block ×40, first 2 shown]
	s_waitcnt vmcnt(0)
	v_mul_f64 v[10:11], s[2:3], v[2:3]
	s_mov_b32 s3, 0x3fe55555
	s_mov_b32 s2, 0x55555555
	v_frexp_mant_f64_e32 v[2:3], v[10:11]
	v_cmp_gt_f64_e32 vcc_lo, s[2:3], v[2:3]
	s_mov_b32 s2, 0x55555780
	v_cndmask_b32_e64 v4, 0, 1, vcc_lo
	v_ldexp_f64 v[2:3], v[2:3], v4
	v_add_f64 v[4:5], v[2:3], 1.0
	v_add_f64 v[14:15], v[2:3], -1.0
	v_rcp_f64_e32 v[8:9], v[4:5]
	v_add_f64 v[16:17], v[4:5], -1.0
	v_add_f64 v[2:3], v[2:3], -v[16:17]
	v_fma_f64 v[12:13], -v[4:5], v[8:9], 1.0
	v_fma_f64 v[8:9], v[12:13], v[8:9], v[8:9]
	v_fma_f64 v[12:13], -v[4:5], v[8:9], 1.0
	v_fma_f64 v[8:9], v[12:13], v[8:9], v[8:9]
	v_mul_f64 v[12:13], v[14:15], v[8:9]
	v_mul_f64 v[18:19], v[4:5], v[12:13]
	v_fma_f64 v[4:5], v[12:13], v[4:5], -v[18:19]
	v_fma_f64 v[2:3], v[12:13], v[2:3], v[4:5]
	v_add_f64 v[4:5], v[18:19], v[2:3]
	v_add_f64 v[16:17], v[14:15], -v[4:5]
	v_add_f64 v[18:19], v[4:5], -v[18:19]
	;; [unrolled: 1-line block ×4, first 2 shown]
	v_frexp_exp_i32_f64_e32 v18, v[10:11]
	v_add_f64 v[4:5], v[14:15], -v[4:5]
	v_add_f64 v[2:3], v[2:3], v[4:5]
	v_add_f64 v[2:3], v[16:17], v[2:3]
	v_mul_f64 v[2:3], v[8:9], v[2:3]
	v_add_f64 v[4:5], v[12:13], v[2:3]
	v_mul_f64 v[8:9], v[4:5], v[4:5]
	v_fma_f64 v[14:15], v[8:9], s[8:9], s[6:7]
	s_mov_b32 s6, 0xd7f4df2e
	s_mov_b32 s7, 0x3fc7474d
	v_mul_f64 v[16:17], v[4:5], v[8:9]
	s_mov_b32 s9, 0x3c7abc9e
	s_mov_b32 s8, 0x3b39803f
	v_fma_f64 v[14:15], v[8:9], v[14:15], s[6:7]
	s_mov_b32 s6, 0x16291751
	s_mov_b32 s7, 0x3fcc71c0
	v_fma_f64 v[14:15], v[8:9], v[14:15], s[6:7]
	;; [unrolled: 3-line block ×5, first 2 shown]
	v_ldexp_f64 v[14:15], v[4:5], 1
	v_add_f64 v[4:5], v[4:5], -v[12:13]
	s_mov_b32 s2, 0xde416957
	s_mov_b32 s3, 0x40400661
	v_mul_f64 v[8:9], v[16:17], v[8:9]
	v_subrev_co_ci_u32_e64 v16, null, 0, v18, vcc_lo
	v_add_f64 v[2:3], v[2:3], -v[4:5]
	v_cvt_f64_i32_e32 v[16:17], v16
	v_add_f64 v[12:13], v[14:15], v[8:9]
	v_ldexp_f64 v[2:3], v[2:3], 1
	v_mul_f64 v[18:19], v[16:17], s[6:7]
	v_add_f64 v[4:5], v[12:13], -v[14:15]
	v_fma_f64 v[14:15], v[16:17], s[6:7], -v[18:19]
	s_mov_b32 s7, 0xbfe62e42
	v_add_f64 v[4:5], v[8:9], -v[4:5]
	v_fma_f64 v[8:9], v[16:17], s[8:9], v[14:15]
	s_mov_b32 s9, 0xbc7abc9e
	v_add_f64 v[2:3], v[2:3], v[4:5]
	v_div_scale_f64 v[4:5], null, v[10:11], v[10:11], 1.0
	v_add_f64 v[14:15], v[18:19], v[8:9]
	v_add_f64 v[16:17], v[12:13], v[2:3]
	v_rcp_f64_e32 v[20:21], v[4:5]
	v_add_f64 v[18:19], v[14:15], -v[18:19]
	v_add_f64 v[22:23], v[14:15], v[16:17]
	v_add_f64 v[12:13], v[16:17], -v[12:13]
	v_fma_f64 v[24:25], -v[4:5], v[20:21], 1.0
	v_add_f64 v[8:9], v[8:9], -v[18:19]
	v_add_f64 v[26:27], v[22:23], -v[14:15]
	v_add_f64 v[2:3], v[2:3], -v[12:13]
	v_fma_f64 v[20:21], v[20:21], v[24:25], v[20:21]
	v_add_f64 v[24:25], v[22:23], -v[26:27]
	v_add_f64 v[12:13], v[16:17], -v[26:27]
	v_div_scale_f64 v[16:17], vcc_lo, 1.0, v[10:11], 1.0
	v_fma_f64 v[28:29], -v[4:5], v[20:21], 1.0
	v_add_f64 v[14:15], v[14:15], -v[24:25]
	v_fma_f64 v[18:19], v[20:21], v[28:29], v[20:21]
	v_add_f64 v[20:21], v[8:9], v[2:3]
	v_add_f64 v[12:13], v[12:13], v[14:15]
	v_mul_f64 v[14:15], v[16:17], v[18:19]
	v_add_f64 v[24:25], v[20:21], -v[8:9]
	v_add_f64 v[12:13], v[20:21], v[12:13]
	v_fma_f64 v[4:5], -v[4:5], v[14:15], v[16:17]
	v_add_f64 v[16:17], v[20:21], -v[24:25]
	v_add_f64 v[20:21], v[22:23], v[12:13]
	v_div_fmas_f64 v[4:5], v[4:5], v[18:19], v[14:15]
	v_add_f64 v[14:15], v[2:3], -v[24:25]
	v_add_f64 v[8:9], v[8:9], -v[16:17]
	v_cmp_class_f64_e64 vcc_lo, v[10:11], 0x204
	v_add_f64 v[16:17], v[20:21], -v[22:23]
	v_div_fixup_f64 v[2:3], v[4:5], v[10:11], 1.0
	v_add_f64 v[4:5], v[14:15], v[8:9]
	v_add_f64 v[12:13], v[12:13], -v[16:17]
	v_fma_f64 v[8:9], v[2:3], s[12:13], s[2:3]
	s_mov_b32 s12, 0x652b82fe
	s_mov_b32 s13, 0x3ff71547
	;; [unrolled: 1-line block ×4, first 2 shown]
	v_add_f64 v[4:5], v[4:5], v[12:13]
	v_mul_f64 v[12:13], v[8:9], s[12:13]
	v_cmp_ngt_f64_e64 s0, 0xc090cc00, v[8:9]
	v_add_f64 v[4:5], v[20:21], v[4:5]
	v_rndne_f64_e32 v[18:19], v[12:13]
	v_cndmask_b32_e32 v4, v4, v10, vcc_lo
	v_cndmask_b32_e32 v5, v5, v11, vcc_lo
	v_cmp_ngt_f64_e32 vcc_lo, 0, v[10:11]
	v_cndmask_b32_e32 v5, 0x7ff80000, v5, vcc_lo
	v_cmp_nge_f64_e32 vcc_lo, 0, v[10:11]
	v_cndmask_b32_e32 v4, 0, v4, vcc_lo
	v_cmp_neq_f64_e32 vcc_lo, 0, v[10:11]
	v_fma_f64 v[10:11], v[18:19], s[6:7], v[8:9]
	v_cndmask_b32_e32 v5, 0xfff00000, v5, vcc_lo
	v_fma_f64 v[20:21], v[18:19], s[8:9], v[10:11]
	v_cmp_nlt_f64_e32 vcc_lo, 0x40900000, v[8:9]
	v_lshlrev_b64 v[8:9], 3, v[0:1]
	v_add_nc_u32_e32 v0, s33, v0
	v_fma_f64 v[12:13], v[4:5], s[36:37], s[2:3]
	s_mov_b32 s2, 0x8c436fc1
	s_mov_b32 s3, 0x403330d7
	s_lshl_b32 s37, s33, 1
	v_fma_f64 v[14:15], v[4:5], s[44:45], s[2:3]
	s_mov_b32 s2, 0x36cdf267
	s_mov_b32 s3, 0xc0a8ba77
	;; [unrolled: 1-line block ×3, first 2 shown]
	v_fma_f64 v[16:17], v[2:3], s[2:3], v[12:13]
	s_mov_b32 s2, 0xf75104d5
	s_mov_b32 s3, 0xc09af821
	v_fma_f64 v[12:13], v[20:21], s[16:17], s[14:15]
	v_fma_f64 v[10:11], v[2:3], s[2:3], v[14:15]
	s_mov_b32 s2, 0x748a1598
	s_mov_b32 s3, 0x4024f73f
	v_fma_f64 v[24:25], v[4:5], s[26:27], s[2:3]
	s_mov_b32 s2, 0xfe47992
	s_mov_b32 s3, 0x40909726
	s_mov_b32 s27, 0xbfe33333
	v_mul_f64 v[14:15], v[16:17], s[12:13]
	v_fma_f64 v[12:13], v[20:21], v[12:13], s[18:19]
	v_mul_f64 v[26:27], v[10:11], s[12:13]
	v_fma_f64 v[24:25], v[2:3], s[2:3], v[24:25]
	s_mov_b32 s2, 0x63aaca44
	s_mov_b32 s3, 0x404384f0
	v_rndne_f64_e32 v[22:23], v[14:15]
	v_fma_f64 v[12:13], v[20:21], v[12:13], s[20:21]
	v_rndne_f64_e32 v[30:31], v[26:27]
	v_mul_f64 v[26:27], v[24:25], s[12:13]
	v_fma_f64 v[14:15], v[22:23], s[6:7], v[16:17]
	v_cvt_i32_f64_e32 v60, v[22:23]
	v_fma_f64 v[38:39], v[20:21], v[12:13], s[22:23]
	v_fma_f64 v[28:29], v[30:31], s[6:7], v[10:11]
	v_fma_f64 v[12:13], v[4:5], s[26:27], s[2:3]
	s_mov_b32 s2, 0x6e6b17a6
	s_mov_b32 s3, 0x4046c53b
	v_rndne_f64_e32 v[32:33], v[26:27]
	s_mov_b32 s26, 11
	s_mov_b32 s27, 0x3fe00000
	v_fma_f64 v[36:37], v[22:23], s[8:9], v[14:15]
	v_fma_f64 v[22:23], v[4:5], s[42:43], s[4:5]
	s_mov_b32 s4, 0xcf27f0e0
	v_fma_f64 v[14:15], v[20:21], v[38:39], s[24:25]
	v_fma_f64 v[34:35], v[30:31], s[8:9], v[28:29]
	v_mul_f64 v[40:41], v[12:13], s[12:13]
	s_mov_b32 s5, 0x403fef61
	s_mov_b32 s42, 0xbda9435b
	v_fma_f64 v[28:29], v[32:33], s[6:7], v[24:25]
	s_mov_b32 s43, 0xc0751a88
	v_fma_f64 v[26:27], v[36:37], s[16:17], s[14:15]
	v_fma_f64 v[14:15], v[20:21], v[14:15], s[34:35]
	;; [unrolled: 1-line block ×4, first 2 shown]
	v_rndne_f64_e32 v[28:29], v[40:41]
	v_fma_f64 v[26:27], v[36:37], v[26:27], s[18:19]
	v_fma_f64 v[14:15], v[20:21], v[14:15], s[30:31]
	;; [unrolled: 1-line block ×5, first 2 shown]
	v_cvt_i32_f64_e32 v63, v[28:29]
	v_fma_f64 v[26:27], v[36:37], v[26:27], s[20:21]
	v_fma_f64 v[48:49], v[20:21], v[14:15], s[28:29]
	;; [unrolled: 1-line block ×4, first 2 shown]
	s_mov_b32 s2, 0x84ed3a2b
	s_mov_b32 s3, 0x40453cf2
	v_fma_f64 v[40:41], v[42:43], v[40:41], s[18:19]
	v_fma_f64 v[46:47], v[28:29], s[8:9], v[44:45]
	;; [unrolled: 1-line block ×5, first 2 shown]
	v_mul_f64 v[48:49], v[14:15], s[12:13]
	v_fma_f64 v[40:41], v[42:43], v[40:41], s[20:21]
	v_fma_f64 v[50:51], v[46:47], s[16:17], s[14:15]
	v_fma_f64 v[26:27], v[36:37], v[26:27], s[24:25]
	v_fma_f64 v[44:45], v[20:21], v[44:45], 1.0
	v_fma_f64 v[38:39], v[34:35], v[38:39], s[24:25]
	v_fma_f64 v[40:41], v[42:43], v[40:41], s[22:23]
	;; [unrolled: 1-line block ×3, first 2 shown]
	v_rndne_f64_e32 v[26:27], v[48:49]
	v_fma_f64 v[48:49], v[46:47], v[50:51], s[18:19]
	v_cvt_i32_f64_e32 v50, v[18:19]
	v_fma_f64 v[38:39], v[34:35], v[38:39], s[34:35]
	v_fma_f64 v[18:19], v[20:21], v[44:45], 1.0
	v_fma_f64 v[40:41], v[42:43], v[40:41], s[24:25]
	v_fma_f64 v[20:21], v[36:37], v[52:53], s[30:31]
	;; [unrolled: 1-line block ×4, first 2 shown]
	v_add_co_u32 v52, s1, s10, v8
	v_fma_f64 v[38:39], v[34:35], v[38:39], s[30:31]
	v_ldexp_f64 v[18:19], v[18:19], v50
	v_add_co_ci_u32_e64 v53, null, s11, v9, s1
	v_fma_f64 v[40:41], v[42:43], v[40:41], s[34:35]
	v_cmp_nlt_f64_e64 s1, 0x40900000, v[24:25]
	v_fma_f64 v[20:21], v[36:37], v[20:21], s[28:29]
	v_fma_f64 v[50:51], v[26:27], s[8:9], v[44:45]
	v_fma_f64 v[44:45], v[46:47], v[48:49], s[22:23]
	v_lshlrev_b64 v[48:49], 3, v[0:1]
	v_add_nc_u32_e32 v0, s33, v0
	v_fma_f64 v[38:39], v[34:35], v[38:39], s[28:29]
	v_cndmask_b32_e32 v19, 0x7ff00000, v19, vcc_lo
	s_and_b32 vcc_lo, s0, vcc_lo
	v_fma_f64 v[40:41], v[42:43], v[40:41], s[30:31]
	v_cndmask_b32_e32 v56, 0, v18, vcc_lo
	v_cndmask_b32_e64 v57, 0, v19, s0
	v_fma_f64 v[18:19], v[4:5], s[38:39], s[2:3]
	s_mov_b32 s39, 0xbffb851e
	v_lshlrev_b64 v[8:9], 3, v[0:1]
	v_add_nc_u32_e32 v0, s33, v0
	v_add_co_u32 v48, vcc_lo, s10, v48
	global_store_dwordx2 v[6:7], v[56:57], off
	v_add_co_ci_u32_e64 v49, null, s11, v49, vcc_lo
	v_lshlrev_b64 v[6:7], 3, v[0:1]
	v_fma_f64 v[20:21], v[36:37], v[20:21], s[26:27]
	v_fma_f64 v[54:55], v[50:51], s[16:17], s[14:15]
	;; [unrolled: 1-line block ×3, first 2 shown]
	v_add_co_u32 v56, vcc_lo, s10, v8
	v_fma_f64 v[38:39], v[34:35], v[38:39], s[26:27]
	v_add_co_ci_u32_e64 v57, null, s11, v9, vcc_lo
	v_cmp_ngt_f64_e64 s0, 0xc090cc00, v[16:17]
	v_fma_f64 v[40:41], v[42:43], v[40:41], s[28:29]
	s_mov_b32 s2, 0x41c16b70
	s_mov_b32 s3, 0x40465a31
	v_add_nc_u32_e32 v0, s33, v0
	v_fma_f64 v[58:59], v[36:37], v[20:21], 1.0
	v_fma_f64 v[20:21], v[4:5], s[38:39], s[40:41]
	v_fma_f64 v[8:9], v[50:51], v[54:55], s[18:19]
	;; [unrolled: 1-line block ×3, first 2 shown]
	v_add_co_u32 v54, vcc_lo, s10, v6
	v_fma_f64 v[38:39], v[34:35], v[38:39], 1.0
	v_add_co_ci_u32_e64 v55, null, s11, v7, vcc_lo
	v_cmp_nlt_f64_e32 vcc_lo, 0x40900000, v[16:17]
	s_mov_b32 s39, 0xbff3d70a
	s_mov_b32 s38, 0x3d70a3d7
	;; [unrolled: 1-line block ×4, first 2 shown]
	v_fma_f64 v[6:7], v[36:37], v[58:59], 1.0
	v_fma_f64 v[36:37], v[42:43], v[40:41], s[26:27]
	v_mul_f64 v[40:41], v[18:19], s[12:13]
	v_mul_f64 v[58:59], v[20:21], s[12:13]
	v_fma_f64 v[8:9], v[50:51], v[8:9], s[20:21]
	v_fma_f64 v[44:45], v[46:47], v[44:45], s[30:31]
	v_fma_f64 v[34:35], v[34:35], v[38:39], 1.0
	v_ldexp_f64 v[6:7], v[6:7], v60
	v_mul_f64 v[60:61], v[22:23], s[12:13]
	v_fma_f64 v[36:37], v[42:43], v[36:37], 1.0
	v_rndne_f64_e32 v[38:39], v[40:41]
	v_rndne_f64_e32 v[40:41], v[58:59]
	v_fma_f64 v[58:59], v[50:51], v[8:9], s[22:23]
	v_fma_f64 v[44:45], v[46:47], v[44:45], s[28:29]
	v_cndmask_b32_e32 v7, 0x7ff00000, v7, vcc_lo
	v_rndne_f64_e32 v[8:9], v[60:61]
	v_fma_f64 v[36:37], v[42:43], v[36:37], 1.0
	v_fma_f64 v[42:43], v[38:39], s[6:7], v[18:19]
	v_cvt_i32_f64_e32 v60, v[30:31]
	v_fma_f64 v[16:17], v[40:41], s[6:7], v[20:21]
	v_fma_f64 v[30:31], v[50:51], v[58:59], s[24:25]
	;; [unrolled: 1-line block ×3, first 2 shown]
	v_cvt_i32_f64_e32 v61, v[32:33]
	s_and_b32 vcc_lo, s0, vcc_lo
	v_fma_f64 v[44:45], v[38:39], s[8:9], v[42:43]
	v_ldexp_f64 v[32:33], v[34:35], v60
	v_fma_f64 v[34:35], v[8:9], s[6:7], v[22:23]
	v_fma_f64 v[42:43], v[40:41], s[8:9], v[16:17]
	;; [unrolled: 1-line block ×3, first 2 shown]
	v_fma_f64 v[30:31], v[46:47], v[58:59], 1.0
	v_ldexp_f64 v[58:59], v[36:37], v61
	v_cndmask_b32_e64 v61, 0, v7, s0
	v_cndmask_b32_e32 v60, 0, v6, vcc_lo
	v_fma_f64 v[6:7], v[4:5], s[38:39], s[2:3]
	v_cmp_nlt_f64_e32 vcc_lo, 0x40900000, v[10:11]
	v_cmp_ngt_f64_e64 s0, 0xc090cc00, v[10:11]
	v_cmp_ngt_f64_e64 s2, 0xc090cc00, v[24:25]
	global_store_dwordx2 v[52:53], v[60:61], off
	v_fma_f64 v[10:11], v[4:5], s[40:41], s[4:5]
	s_mov_b32 s4, 0x69f7eb5f
	s_mov_b32 s5, 0x403d0281
	;; [unrolled: 1-line block ×4, first 2 shown]
	v_fma_f64 v[36:37], v[8:9], s[8:9], v[34:35]
	v_fma_f64 v[34:35], v[44:45], s[16:17], s[14:15]
	;; [unrolled: 1-line block ×4, first 2 shown]
	v_fma_f64 v[30:31], v[46:47], v[30:31], 1.0
	v_cndmask_b32_e64 v65, 0x7ff00000, v59, s1
	v_mul_f64 v[46:47], v[6:7], s[12:13]
	v_cndmask_b32_e32 v60, 0x7ff00000, v33, vcc_lo
	s_and_b32 vcc_lo, s0, vcc_lo
	v_cndmask_b32_e32 v59, 0, v32, vcc_lo
	s_and_b32 vcc_lo, s2, s1
	v_cndmask_b32_e64 v60, 0, v60, s0
	v_cmp_ngt_f64_e64 s0, 0xc090cc00, v[12:13]
	global_store_dwordx2 v[48:49], v[59:60], off
	v_fma_f64 v[24:25], v[36:37], s[16:17], s[14:15]
	v_fma_f64 v[33:34], v[44:45], v[34:35], s[18:19]
	v_fma_f64 v[52:53], v[42:43], v[52:53], s[18:19]
	v_fma_f64 v[16:17], v[50:51], v[16:17], s[28:29]
	v_ldexp_f64 v[63:64], v[30:31], v63
	v_cndmask_b32_e64 v31, 0, v65, s2
	v_cndmask_b32_e32 v30, 0, v58, vcc_lo
	v_rndne_f64_e32 v[28:29], v[46:47]
	v_mul_f64 v[46:47], v[10:11], s[12:13]
	v_cmp_nlt_f64_e32 vcc_lo, 0x40900000, v[12:13]
	v_cvt_i32_f64_e32 v58, v[26:27]
	global_store_dwordx2 v[56:57], v[30:31], off
	v_cmp_ngt_f64_e64 s2, 0xc090cc00, v[14:15]
	v_fma_f64 v[24:25], v[36:37], v[24:25], s[18:19]
	v_fma_f64 v[32:33], v[44:45], v[33:34], s[20:21]
	;; [unrolled: 1-line block ×8, first 2 shown]
	v_fma_f64 v[61:62], v[50:51], v[16:17], 1.0
	v_fma_f64 v[16:17], v[2:3], s[42:43], s[4:5]
	v_rndne_f64_e32 v[24:25], v[46:47]
	s_mov_b32 s5, 0x43abc16d
	v_fma_f64 v[34:35], v[28:29], s[8:9], v[48:49]
	s_mov_b32 s4, 0x674ec800
	s_mov_b32 s42, 0x9d39614b
	v_mul_f64 v[12:13], v[2:3], s[4:5]
	s_mov_b32 s43, 0x403e70bf
	s_mov_b32 s5, 0x439bc16d
	v_fma_f64 v[46:47], v[36:37], v[52:53], s[22:23]
	v_fma_f64 v[32:33], v[44:45], v[32:33], s[24:25]
	;; [unrolled: 1-line block ×3, first 2 shown]
	v_fma_f64 v[50:51], v[50:51], v[61:62], 1.0
	v_mul_f64 v[52:53], v[16:17], s[12:13]
	v_fma_f64 v[30:31], v[24:25], s[6:7], v[10:11]
	v_cndmask_b32_e32 v59, 0x7ff00000, v64, vcc_lo
	v_fma_f64 v[56:57], v[34:35], s[16:17], s[14:15]
	s_and_b32 vcc_lo, s0, vcc_lo
	v_cvt_i32_f64_e32 v64, v[40:41]
	global_store_dwordx2 v[54:55], v[12:13], off
	v_lshlrev_b64 v[12:13], 3, v[0:1]
	v_add_nc_u32_e32 v0, s33, v0
	v_add_co_u32 v12, s1, s10, v12
	v_add_co_ci_u32_e64 v13, null, s11, v13, s1
	v_cmp_nlt_f64_e64 s1, 0x40900000, v[14:15]
	v_fma_f64 v[46:47], v[36:37], v[46:47], s[24:25]
	v_fma_f64 v[32:33], v[44:45], v[32:33], s[34:35]
	;; [unrolled: 1-line block ×3, first 2 shown]
	v_ldexp_f64 v[50:51], v[50:51], v58
	v_rndne_f64_e32 v[26:27], v[52:53]
	v_fma_f64 v[30:31], v[24:25], s[8:9], v[30:31]
	v_cndmask_b32_e64 v15, 0, v59, s0
	v_fma_f64 v[52:53], v[34:35], v[56:57], s[18:19]
	v_cndmask_b32_e32 v14, 0, v63, vcc_lo
	v_cvt_i32_f64_e32 v63, v[38:39]
	global_store_dwordx2 v[12:13], v[14:15], off
	v_lshlrev_b64 v[12:13], 3, v[0:1]
	v_add_nc_u32_e32 v0, s33, v0
	v_lshlrev_b64 v[14:15], 3, v[0:1]
	v_add_co_u32 v12, vcc_lo, s10, v12
	v_fma_f64 v[32:33], v[44:45], v[32:33], s[30:31]
	v_fma_f64 v[48:49], v[42:43], v[48:49], s[30:31]
	;; [unrolled: 1-line block ×5, first 2 shown]
	v_cndmask_b32_e64 v60, 0x7ff00000, v51, s1
	v_fma_f64 v[51:52], v[34:35], v[52:53], s[20:21]
	v_add_nc_u32_e32 v0, s33, v0
	v_add_co_ci_u32_e64 v13, null, s11, v13, vcc_lo
	s_and_b32 vcc_lo, s2, s1
	s_mov_b32 s0, 0x85f9a0d8
	s_mov_b32 s1, 0x443dd0c8
	v_fma_f64 v[58:59], v[44:45], v[32:33], s[28:29]
	v_fma_f64 v[48:49], v[42:43], v[48:49], s[28:29]
	v_fma_f64 v[46:47], v[36:37], v[46:47], s[30:31]
	v_fma_f64 v[32:33], v[26:27], s[8:9], v[54:55]
	v_fma_f64 v[53:54], v[30:31], v[56:57], s[18:19]
	v_cndmask_b32_e32 v57, 0, v50, vcc_lo
	v_fma_f64 v[51:52], v[34:35], v[51:52], s[22:23]
	v_cvt_i32_f64_e32 v27, v[26:27]
	v_fma_f64 v[55:56], v[44:45], v[58:59], s[26:27]
	v_fma_f64 v[48:49], v[42:43], v[48:49], s[26:27]
	v_add_co_u32 v59, vcc_lo, s10, v14
	v_cndmask_b32_e64 v58, 0, v60, s2
	v_add_co_ci_u32_e64 v60, null, s11, v15, vcc_lo
	v_lshlrev_b64 v[14:15], 3, v[0:1]
	v_fma_f64 v[46:47], v[36:37], v[46:47], s[28:29]
	global_store_dwordx2 v[12:13], v[57:58], off
	v_fma_f64 v[12:13], v[32:33], s[16:17], s[14:15]
	v_fma_f64 v[53:54], v[30:31], v[53:54], s[20:21]
	;; [unrolled: 1-line block ×3, first 2 shown]
	v_add_co_u32 v57, vcc_lo, s10, v14
	v_add_co_ci_u32_e64 v58, null, s11, v15, vcc_lo
	v_mul_f64 v[14:15], v[2:3], v[2:3]
	s_mov_b32 s2, 0x53bc0487
	s_mov_b32 s3, 0x4492a27d
	v_add_nc_u32_e32 v0, s33, v0
	v_fma_f64 v[55:56], v[44:45], v[55:56], 1.0
	v_fma_f64 v[48:49], v[42:43], v[48:49], 1.0
	v_fma_f64 v[46:47], v[36:37], v[46:47], s[26:27]
	v_fma_f64 v[61:62], v[32:33], v[12:13], s[18:19]
	;; [unrolled: 1-line block ×4, first 2 shown]
	s_mov_b32 s42, 0xb03ef78d
	s_mov_b32 s46, 0x2107b78
	;; [unrolled: 1-line block ×4, first 2 shown]
	v_mul_f64 v[38:39], v[14:15], s[0:1]
	s_mov_b32 s0, 0xd3d0c000
	s_mov_b32 s1, 0x437aa535
	v_fma_f64 v[40:41], v[44:45], v[55:56], 1.0
	v_mul_f64 v[44:45], v[14:15], s[2:3]
	v_fma_f64 v[42:43], v[42:43], v[48:49], 1.0
	v_fma_f64 v[48:49], v[30:31], v[53:54], s[22:23]
	v_fma_f64 v[14:15], v[2:3], s[58:59], s[48:49]
	v_mul_f64 v[54:55], v[2:3], s[4:5]
	s_mov_b32 s2, 0xdbdd0b08
	s_mov_b32 s3, 0x403f77e3
	v_fma_f64 v[46:47], v[36:37], v[46:47], 1.0
	v_cmp_ngt_f64_e64 s4, 0xc090cc00, v[22:23]
	v_fma_f64 v[52:53], v[32:33], v[61:62], s[20:21]
	v_cvt_i32_f64_e32 v62, v[8:9]
	v_fma_f64 v[50:51], v[34:35], v[50:51], s[30:31]
	s_mov_b32 s48, 0xe5400000
	s_mov_b32 s49, 0x42b2309c
	s_mov_b32 s59, 0x40067ae1
	global_store_dwordx2 v[59:60], v[38:39], off
	v_lshlrev_b64 v[38:39], 3, v[0:1]
	v_add_nc_u32_e32 v0, s33, v0
	v_ldexp_f64 v[40:41], v[40:41], v63
	global_store_dwordx2 v[57:58], v[44:45], off
	v_mul_f64 v[44:45], v[12:13], s[12:13]
	v_fma_f64 v[48:49], v[30:31], v[48:49], s[24:25]
	v_mul_f64 v[56:57], v[14:15], s[12:13]
	v_add_co_u32 v8, vcc_lo, s10, v38
	v_add_co_ci_u32_e64 v9, null, s11, v39, vcc_lo
	v_fma_f64 v[46:47], v[36:37], v[46:47], 1.0
	v_fma_f64 v[52:53], v[32:33], v[52:53], s[22:23]
	v_lshlrev_b64 v[36:37], 3, v[0:1]
	global_store_dwordx2 v[8:9], v[54:55], off
	v_mul_f64 v[54:55], v[2:3], s[0:1]
	v_fma_f64 v[8:9], v[2:3], s[56:57], s[2:3]
	v_add_nc_u32_e32 v0, s33, v0
	v_cmp_ngt_f64_e64 s0, 0xc090cc00, v[18:19]
	v_add_co_u32 v58, vcc_lo, s10, v36
	v_add_co_ci_u32_e64 v59, null, s11, v37, vcc_lo
	v_lshlrev_b64 v[60:61], 3, v[0:1]
	v_add_nc_u32_e32 v0, s33, v0
	v_ldexp_f64 v[42:43], v[42:43], v64
	v_rndne_f64_e32 v[38:39], v[44:45]
	v_fma_f64 v[44:45], v[30:31], v[48:49], s[34:35]
	v_fma_f64 v[48:49], v[34:35], v[50:51], s[28:29]
	v_add_co_u32 v50, vcc_lo, s10, v60
	v_rndne_f64_e32 v[36:37], v[56:57]
	v_add_co_ci_u32_e64 v51, null, s11, v61, vcc_lo
	v_cmp_nlt_f64_e32 vcc_lo, 0x40900000, v[18:19]
	v_lshlrev_b64 v[18:19], 3, v[0:1]
	v_cmp_nlt_f64_e64 s1, 0x40900000, v[20:21]
	v_cmp_ngt_f64_e64 s2, 0xc090cc00, v[20:21]
	v_ldexp_f64 v[46:47], v[46:47], v62
	v_fma_f64 v[52:53], v[32:33], v[52:53], s[24:25]
	v_mul_f64 v[56:57], v[8:9], s[12:13]
	v_add_co_u32 v20, s3, s10, v18
	v_add_co_ci_u32_e64 v21, null, s11, v19, s3
	global_store_dwordx2 v[58:59], v[54:55], off
	v_cmp_nlt_f64_e64 s3, 0x40900000, v[22:23]
	v_fma_f64 v[18:19], v[2:3], s[46:47], s[42:43]
	v_fma_f64 v[54:55], v[38:39], s[6:7], v[12:13]
	;; [unrolled: 1-line block ×3, first 2 shown]
	v_add_nc_u32_e32 v0, s33, v0
	s_mov_b32 s42, 0x9a415f46
	s_mov_b32 s43, 0xc0b79699
	v_fma_f64 v[22:23], v[36:37], s[6:7], v[14:15]
	s_mov_b32 s46, 0x57d1782d
	s_mov_b32 s47, 0xc0b2cac0
	v_cndmask_b32_e32 v41, 0x7ff00000, v41, vcc_lo
	s_and_b32 vcc_lo, s0, vcc_lo
	v_cndmask_b32_e64 v43, 0x7ff00000, v43, s1
	v_cndmask_b32_e32 v60, 0, v40, vcc_lo
	s_and_b32 vcc_lo, s2, s1
	v_fma_f64 v[52:53], v[32:33], v[52:53], s[34:35]
	v_cndmask_b32_e32 v62, 0, v42, vcc_lo
	v_cndmask_b32_e64 v63, 0, v43, s2
	v_rndne_f64_e32 v[42:43], v[56:57]
	v_cndmask_b32_e64 v61, 0, v41, s0
	s_mov_b32 s0, 0x5d8bcc51
	s_mov_b32 s1, 0x4040d5ec
	v_cndmask_b32_e64 v64, 0x7ff00000, v47, s3
	v_fma_f64 v[47:48], v[34:35], v[48:49], s[26:27]
	v_fma_f64 v[44:45], v[38:39], s[8:9], v[54:55]
	;; [unrolled: 1-line block ×3, first 2 shown]
	global_store_dwordx2 v[50:51], v[60:61], off
	v_mul_f64 v[49:50], v[18:19], s[12:13]
	global_store_dwordx2 v[20:21], v[62:63], off
	v_fma_f64 v[40:41], v[36:37], s[8:9], v[22:23]
	v_cvt_i32_f64_e32 v62, v[28:29]
	v_fma_f64 v[28:29], v[2:3], s[42:43], s[0:1]
	v_cndmask_b32_e64 v61, 0, v64, s4
	v_cmp_ngt_f64_e64 s0, 0xc090cc00, v[6:7]
	s_mov_b32 s43, 0xc09c4e51
	s_mov_b32 s42, 0xeb851eb8
	v_cvt_i32_f64_e32 v63, v[36:37]
	s_mov_b32 s57, 0x407f7377
	v_fma_f64 v[20:21], v[42:43], s[6:7], v[8:9]
	v_fma_f64 v[22:23], v[34:35], v[47:48], 1.0
	v_fma_f64 v[47:48], v[32:33], v[52:53], s[30:31]
	v_fma_f64 v[56:57], v[44:45], s[16:17], s[14:15]
	;; [unrolled: 1-line block ×3, first 2 shown]
	v_lshlrev_b64 v[51:52], 3, v[0:1]
	v_add_nc_u32_e32 v0, s33, v0
	v_fma_f64 v[58:59], v[40:41], s[16:17], s[14:15]
	v_add_co_u32 v51, vcc_lo, s10, v51
	v_add_co_ci_u32_e64 v52, null, s11, v52, vcc_lo
	s_and_b32 vcc_lo, s4, s3
	s_mov_b32 s2, 0x303c07f
	v_cndmask_b32_e32 v60, 0, v46, vcc_lo
	s_mov_b32 s3, 0x40304f08
	s_mov_b32 s4, 0xd0e057c4
	s_mov_b32 s5, 0x403def00
	global_store_dwordx2 v[51:52], v[60:61], off
	v_fma_f64 v[22:23], v[34:35], v[22:23], 1.0
	v_fma_f64 v[46:47], v[32:33], v[47:48], s[28:29]
	v_rndne_f64_e32 v[34:35], v[49:50]
	v_fma_f64 v[48:49], v[30:31], v[53:54], 1.0
	v_fma_f64 v[53:54], v[42:43], s[8:9], v[20:21]
	v_fma_f64 v[20:21], v[44:45], v[56:57], s[18:19]
	;; [unrolled: 1-line block ×3, first 2 shown]
	v_lshlrev_b64 v[57:58], 3, v[0:1]
	v_mul_f64 v[50:51], v[28:29], s[12:13]
	v_cvt_i32_f64_e32 v52, v[24:25]
	v_add_nc_u32_e32 v0, s33, v0
	v_add_co_u32 v57, vcc_lo, s10, v57
	v_add_co_ci_u32_e64 v58, null, s11, v58, vcc_lo
	v_cmp_nlt_f64_e32 vcc_lo, 0x40900000, v[6:7]
	v_fma_f64 v[6:7], v[4:5], 2.0, s[2:3]
	s_mov_b32 s2, 0xe1719f8
	s_mov_b32 s3, 0xc0a47174
	v_ldexp_f64 v[22:23], v[22:23], v62
	v_fma_f64 v[46:47], v[32:33], v[46:47], s[26:27]
	v_fma_f64 v[59:60], v[34:35], s[6:7], v[18:19]
	v_fma_f64 v[30:31], v[30:31], v[48:49], 1.0
	v_fma_f64 v[48:49], v[53:54], s[16:17], s[14:15]
	v_fma_f64 v[20:21], v[44:45], v[20:21], s[20:21]
	v_fma_f64 v[55:56], v[40:41], v[55:56], s[20:21]
	v_cndmask_b32_e32 v25, 0x7ff00000, v23, vcc_lo
	v_fma_f64 v[23:24], v[32:33], v[46:47], 1.0
	v_rndne_f64_e32 v[46:47], v[50:51]
	v_fma_f64 v[50:51], v[34:35], s[8:9], v[59:60]
	v_fma_f64 v[48:49], v[53:54], v[48:49], s[18:19]
	;; [unrolled: 1-line block ×5, first 2 shown]
	s_and_b32 vcc_lo, s0, vcc_lo
	v_cndmask_b32_e64 v26, 0, v25, s0
	v_cndmask_b32_e32 v25, 0, v22, vcc_lo
	v_cmp_nlt_f64_e32 vcc_lo, 0x40900000, v[10:11]
	v_cmp_ngt_f64_e64 s0, 0xc090cc00, v[10:11]
	v_cmp_ngt_f64_e64 s2, 0xc090cc00, v[16:17]
	global_store_dwordx2 v[57:58], v[25:26], off
	v_ldexp_f64 v[57:58], v[30:31], v52
	v_fma_f64 v[6:7], v[32:33], v[23:24], 1.0
	v_fma_f64 v[23:24], v[46:47], s[6:7], v[28:29]
	v_fma_f64 v[32:33], v[50:51], s[16:17], s[14:15]
	;; [unrolled: 1-line block ×4, first 2 shown]
	v_mul_f64 v[25:26], v[20:21], s[12:13]
	v_fma_f64 v[55:56], v[40:41], v[55:56], s[24:25]
	v_cndmask_b32_e32 v52, 0x7ff00000, v58, vcc_lo
	s_and_b32 vcc_lo, s0, vcc_lo
	v_ldexp_f64 v[6:7], v[6:7], v27
	v_fma_f64 v[30:31], v[46:47], s[8:9], v[23:24]
	v_fma_f64 v[22:23], v[50:51], v[32:33], s[18:19]
	;; [unrolled: 1-line block ×4, first 2 shown]
	v_rndne_f64_e32 v[24:25], v[25:26]
	v_lshlrev_b64 v[32:33], 3, v[0:1]
	v_fma_f64 v[55:56], v[40:41], v[55:56], s[34:35]
	v_add_nc_u32_e32 v0, s33, v0
	v_add_co_u32 v10, s1, s10, v32
	v_add_co_ci_u32_e64 v11, null, s11, v33, s1
	v_cmp_nlt_f64_e64 s1, 0x40900000, v[16:17]
	v_cndmask_b32_e32 v16, 0, v57, vcc_lo
	v_cndmask_b32_e64 v17, 0, v52, s0
	v_cvt_i32_f64_e32 v52, v[38:39]
	v_fma_f64 v[26:27], v[30:31], s[16:17], s[14:15]
	v_fma_f64 v[22:23], v[50:51], v[22:23], s[20:21]
	;; [unrolled: 1-line block ×5, first 2 shown]
	global_store_dwordx2 v[10:11], v[16:17], off
	v_lshlrev_b64 v[10:11], 3, v[0:1]
	v_fma_f64 v[55:56], v[40:41], v[55:56], s[30:31]
	v_add_nc_u32_e32 v0, s33, v0
	v_add_co_u32 v16, vcc_lo, s10, v10
	v_add_co_ci_u32_e64 v17, null, s11, v11, vcc_lo
	v_cndmask_b32_e64 v7, 0x7ff00000, v7, s1
	s_and_b32 vcc_lo, s2, s1
	s_mov_b32 s0, 0xb025cd19
	v_cndmask_b32_e32 v6, 0, v6, vcc_lo
	s_mov_b32 s1, 0x40301494
	v_cndmask_b32_e64 v7, 0, v7, s2
	v_fma_f64 v[26:27], v[30:31], v[26:27], s[18:19]
	v_fma_f64 v[59:60], v[50:51], v[22:23], s[22:23]
	;; [unrolled: 1-line block ×6, first 2 shown]
	v_lshlrev_b64 v[57:58], 3, v[0:1]
	v_add_nc_u32_e32 v0, s33, v0
	global_store_dwordx2 v[16:17], v[6:7], off
	v_fma_f64 v[55:56], v[40:41], v[55:56], s[28:29]
	s_mov_b32 s2, 0x4ddb5526
	s_mov_b32 s3, 0xc06420f0
	v_lshlrev_b64 v[6:7], 3, v[0:1]
	v_add_co_u32 v57, vcc_lo, s10, v57
	v_add_co_ci_u32_e64 v58, null, s11, v58, vcc_lo
	s_mov_b32 s4, 0x1124eb7
	v_add_co_u32 v61, vcc_lo, s10, v6
	v_add_co_ci_u32_e64 v62, null, s11, v7, vcc_lo
	v_fma_f64 v[26:27], v[30:31], v[26:27], s[20:21]
	v_fma_f64 v[59:60], v[50:51], v[59:60], s[24:25]
	v_mul_f64 v[16:17], v[22:23], s[12:13]
	v_fma_f64 v[6:7], v[44:45], v[48:49], s[26:27]
	v_fma_f64 v[38:39], v[53:54], v[32:33], s[30:31]
	v_fma_f64 v[36:37], v[10:11], s[16:17], s[14:15]
	v_cmp_nlt_f64_e32 vcc_lo, 0x40900000, v[12:13]
	s_mov_b32 s5, 0x4040ff3d
	v_add_nc_u32_e32 v0, s33, v0
	v_fma_f64 v[48:49], v[40:41], v[55:56], s[26:27]
	s_mov_b32 s43, 0x3fdeb851
	v_fma_f64 v[26:27], v[30:31], v[26:27], s[22:23]
	v_fma_f64 v[55:56], v[50:51], v[59:60], s[34:35]
	v_rndne_f64_e32 v[32:33], v[16:17]
	v_fma_f64 v[6:7], v[44:45], v[6:7], 1.0
	v_fma_f64 v[16:17], v[53:54], v[38:39], s[28:29]
	v_fma_f64 v[36:37], v[10:11], v[36:37], s[18:19]
	v_cvt_i32_f64_e32 v59, v[42:43]
	v_cvt_i32_f64_e32 v60, v[46:47]
	v_fma_f64 v[38:39], v[40:41], v[48:49], 1.0
	v_fma_f64 v[26:27], v[30:31], v[26:27], s[24:25]
	v_fma_f64 v[48:49], v[50:51], v[55:56], s[30:31]
	v_fma_f64 v[55:56], v[4:5], 2.0, s[0:1]
	v_fma_f64 v[44:45], v[44:45], v[6:7], 1.0
	v_fma_f64 v[6:7], v[32:33], s[6:7], v[22:23]
	v_fma_f64 v[16:17], v[53:54], v[16:17], s[26:27]
	;; [unrolled: 1-line block ×3, first 2 shown]
	v_cmp_ngt_f64_e64 s0, 0xc090cc00, v[12:13]
	v_fma_f64 v[12:13], v[2:3], s[2:3], s[54:55]
	v_fma_f64 v[38:39], v[40:41], v[38:39], 1.0
	v_cmp_nlt_f64_e64 s1, 0x40900000, v[14:15]
	v_cmp_ngt_f64_e64 s2, 0xc090cc00, v[14:15]
	v_fma_f64 v[26:27], v[30:31], v[26:27], s[34:35]
	v_fma_f64 v[48:49], v[50:51], v[48:49], s[28:29]
	;; [unrolled: 1-line block ×3, first 2 shown]
	v_fma_f64 v[16:17], v[53:54], v[16:17], 1.0
	v_fma_f64 v[6:7], v[2:3], s[50:51], v[55:56]
	v_fma_f64 v[36:37], v[10:11], v[36:37], s[22:23]
	v_ldexp_f64 v[55:56], v[44:45], v52
	v_ldexp_f64 v[38:39], v[38:39], v63
	v_fma_f64 v[26:27], v[30:31], v[26:27], s[30:31]
	v_fma_f64 v[48:49], v[50:51], v[48:49], s[26:27]
	;; [unrolled: 1-line block ×3, first 2 shown]
	v_fma_f64 v[52:53], v[53:54], v[16:17], 1.0
	v_mul_f64 v[16:17], v[6:7], s[12:13]
	v_fma_f64 v[36:37], v[10:11], v[36:37], s[24:25]
	v_cndmask_b32_e32 v54, 0x7ff00000, v56, vcc_lo
	v_cvt_i32_f64_e32 v56, v[34:35]
	s_and_b32 vcc_lo, s0, vcc_lo
	v_cndmask_b32_e64 v39, 0x7ff00000, v39, s1
	v_cndmask_b32_e32 v46, 0, v55, vcc_lo
	v_cndmask_b32_e64 v47, 0, v54, s0
	s_and_b32 vcc_lo, s2, s1
	v_cmp_nlt_f64_e64 s1, 0x40900000, v[18:19]
	v_cmp_ngt_f64_e64 s0, 0xc090cc00, v[8:9]
	global_store_dwordx2 v[57:58], v[46:47], off
	v_fma_f64 v[26:27], v[30:31], v[26:27], s[28:29]
	v_fma_f64 v[48:49], v[50:51], v[48:49], 1.0
	v_fma_f64 v[42:43], v[40:41], v[42:43], s[18:19]
	v_rndne_f64_e32 v[44:45], v[16:17]
	v_fma_f64 v[16:17], v[10:11], v[36:37], s[34:35]
	v_fma_f64 v[26:27], v[30:31], v[26:27], s[26:27]
	v_fma_f64 v[36:37], v[50:51], v[48:49], 1.0
	v_mul_f64 v[48:49], v[12:13], s[12:13]
	v_fma_f64 v[34:35], v[40:41], v[42:43], s[20:21]
	v_fma_f64 v[14:15], v[44:45], s[6:7], v[6:7]
	v_fma_f64 v[42:43], v[10:11], v[16:17], s[30:31]
	v_fma_f64 v[16:17], v[2:3], s[46:47], s[4:5]
	s_mov_b32 s4, 0xefea0847
	s_mov_b32 s5, 0x40410400
	;; [unrolled: 1-line block ×4, first 2 shown]
	v_fma_f64 v[50:51], v[30:31], v[26:27], 1.0
	v_ldexp_f64 v[54:55], v[36:37], v56
	v_rndne_f64_e32 v[26:27], v[48:49]
	v_cndmask_b32_e32 v36, 0, v38, vcc_lo
	v_fma_f64 v[34:35], v[40:41], v[34:35], s[22:23]
	v_cndmask_b32_e64 v37, 0, v39, s2
	v_fma_f64 v[48:49], v[44:45], s[8:9], v[14:15]
	v_fma_f64 v[14:15], v[10:11], v[42:43], s[28:29]
	v_mul_f64 v[46:47], v[16:17], s[12:13]
	v_lshlrev_b64 v[42:43], 3, v[0:1]
	v_cmp_ngt_f64_e64 s2, 0xc090cc00, v[18:19]
	global_store_dwordx2 v[61:62], v[36:37], off
	v_add_nc_u32_e32 v0, s33, v0
	v_cvt_i32_f64_e32 v62, v[24:25]
	v_add_co_u32 v42, vcc_lo, s10, v42
	v_add_co_ci_u32_e64 v43, null, s11, v43, vcc_lo
	v_cmp_nlt_f64_e32 vcc_lo, 0x40900000, v[8:9]
	v_lshlrev_b64 v[38:39], 3, v[0:1]
	v_add_nc_u32_e32 v0, s33, v0
	v_fma_f64 v[30:31], v[30:31], v[50:51], 1.0
	v_ldexp_f64 v[50:51], v[52:53], v59
	v_fma_f64 v[52:53], v[26:27], s[6:7], v[12:13]
	v_cndmask_b32_e64 v55, 0x7ff00000, v55, s1
	v_fma_f64 v[34:35], v[40:41], v[34:35], s[24:25]
	v_lshlrev_b64 v[8:9], 3, v[0:1]
	v_fma_f64 v[56:57], v[48:49], s[16:17], s[14:15]
	v_fma_f64 v[58:59], v[10:11], v[14:15], s[26:27]
	v_fma_f64 v[14:15], v[2:3], s[68:69], s[4:5]
	v_cmp_ngt_f64_e64 s4, 0xc090cc00, v[28:29]
	v_add_nc_u32_e32 v0, s33, v0
	v_ldexp_f64 v[60:61], v[30:31], v60
	v_rndne_f64_e32 v[30:31], v[46:47]
	v_fma_f64 v[36:37], v[26:27], s[8:9], v[52:53]
	v_add_co_u32 v46, s3, s10, v38
	v_fma_f64 v[18:19], v[40:41], v[34:35], s[34:35]
	v_fma_f64 v[34:35], v[48:49], v[56:57], s[18:19]
	v_add_co_ci_u32_e64 v47, null, s11, v39, s3
	v_fma_f64 v[38:39], v[10:11], v[58:59], 1.0
	v_cndmask_b32_e32 v51, 0x7ff00000, v51, vcc_lo
	s_and_b32 vcc_lo, s0, vcc_lo
	v_add_co_u32 v8, s3, s10, v8
	v_cndmask_b32_e32 v50, 0, v50, vcc_lo
	s_and_b32 vcc_lo, s2, s1
	v_add_co_ci_u32_e64 v9, null, s11, v9, s3
	v_cmp_nlt_f64_e64 s3, 0x40900000, v[28:29]
	v_mul_f64 v[28:29], v[14:15], s[12:13]
	v_cndmask_b32_e64 v53, 0, v55, s2
	v_cndmask_b32_e32 v52, 0, v54, vcc_lo
	v_cndmask_b32_e64 v51, 0, v51, s0
	v_fma_f64 v[54:55], v[30:31], s[6:7], v[16:17]
	v_fma_f64 v[24:25], v[36:37], s[16:17], s[14:15]
	s_mov_b32 s0, 0xe810f5f2
	s_mov_b32 s1, 0x4031ada7
	v_fma_f64 v[18:19], v[40:41], v[18:19], s[30:31]
	v_fma_f64 v[34:35], v[48:49], v[34:35], s[20:21]
	;; [unrolled: 1-line block ×3, first 2 shown]
	s_mov_b32 s0, 0x432e52fa
	v_fma_f64 v[56:57], v[10:11], v[38:39], 1.0
	v_mov_b32_e32 v10, s48
	v_mov_b32_e32 v11, s49
	s_mov_b32 s1, 0xc0419cd2
	s_mov_b32 s46, 0xea4a8c15
	;; [unrolled: 1-line block ×3, first 2 shown]
	global_store_dwordx2 v[42:43], v[10:11], off
	global_store_dwordx2 v[46:47], v[50:51], off
	;; [unrolled: 1-line block ×3, first 2 shown]
	v_rndne_f64_e32 v[38:39], v[28:29]
	v_lshlrev_b64 v[46:47], 3, v[0:1]
	v_cndmask_b32_e64 v61, 0x7ff00000, v61, s3
	v_add_nc_u32_e32 v0, s33, v0
	v_fma_f64 v[42:43], v[30:31], s[8:9], v[54:55]
	v_fma_f64 v[24:25], v[36:37], v[24:25], s[18:19]
	v_add_co_u32 v52, vcc_lo, s10, v46
	v_fma_f64 v[28:29], v[40:41], v[18:19], s[28:29]
	v_fma_f64 v[34:35], v[48:49], v[34:35], s[22:23]
	;; [unrolled: 1-line block ×3, first 2 shown]
	s_mov_b32 s0, 0x4ffbc0d6
	s_mov_b32 s1, 0x403193a3
	v_add_co_ci_u32_e64 v53, null, s11, v47, vcc_lo
	v_fma_f64 v[54:55], 0x3ff80000, v[4:5], s[0:1]
	s_and_b32 vcc_lo, s4, s3
	v_cndmask_b32_e64 v59, 0, v61, s4
	v_cndmask_b32_e32 v58, 0, v60, vcc_lo
	s_mov_b32 s0, 0x7e90ff97
	s_mov_b32 s1, 0xc0e38f01
	v_fma_f64 v[50:51], v[38:39], s[6:7], v[14:15]
	v_cmp_nlt_f64_e32 vcc_lo, 0x40900000, v[20:21]
	global_store_dwordx2 v[52:53], v[58:59], off
	v_lshlrev_b64 v[52:53], 3, v[0:1]
	v_fma_f64 v[8:9], v[42:43], s[16:17], s[14:15]
	v_fma_f64 v[24:25], v[36:37], v[24:25], s[20:21]
	v_ldexp_f64 v[56:57], v[56:57], v62
	v_cvt_i32_f64_e32 v62, v[32:33]
	v_add_nc_u32_e32 v0, s33, v0
	v_fma_f64 v[28:29], v[40:41], v[28:29], s[26:27]
	v_fma_f64 v[34:35], v[48:49], v[34:35], s[24:25]
	v_mul_f64 v[60:61], v[18:19], s[12:13]
	s_mov_b32 s2, 0xa049b703
	s_mov_b32 s4, 0x6dc5d639
	;; [unrolled: 1-line block ×4, first 2 shown]
	v_fma_f64 v[46:47], v[38:39], s[8:9], v[50:51]
	v_fma_f64 v[8:9], v[42:43], v[8:9], s[18:19]
	;; [unrolled: 1-line block ×4, first 2 shown]
	v_cmp_ngt_f64_e64 s0, 0xc090cc00, v[20:21]
	v_add_co_u32 v20, s1, s10, v52
	v_fma_f64 v[28:29], v[40:41], v[28:29], 1.0
	v_fma_f64 v[58:59], v[48:49], v[34:35], s[34:35]
	v_rndne_f64_e32 v[34:35], v[60:61]
	v_add_co_ci_u32_e64 v21, null, s11, v53, s1
	v_cndmask_b32_e32 v57, 0x7ff00000, v57, vcc_lo
	v_fma_f64 v[52:53], v[46:47], s[16:17], s[14:15]
	v_fma_f64 v[8:9], v[42:43], v[8:9], s[20:21]
	;; [unrolled: 1-line block ×3, first 2 shown]
	s_and_b32 vcc_lo, s0, vcc_lo
	v_cndmask_b32_e64 v57, 0, v57, s0
	v_cndmask_b32_e32 v56, 0, v56, vcc_lo
	v_fma_f64 v[54:55], v[40:41], v[28:29], 1.0
	v_fma_f64 v[28:29], v[48:49], v[58:59], s[30:31]
	v_mul_f64 v[40:41], v[24:25], s[12:13]
	v_fma_f64 v[58:59], v[34:35], s[6:7], v[18:19]
	global_store_dwordx2 v[20:21], v[56:57], off
	v_lshlrev_b64 v[20:21], 3, v[0:1]
	v_cmp_ngt_f64_e64 s0, 0xc090cc00, v[22:23]
	v_add_nc_u32_e32 v0, s33, v0
	v_add_co_u32 v20, vcc_lo, s10, v20
	v_fma_f64 v[52:53], v[46:47], v[52:53], s[18:19]
	v_add_co_ci_u32_e64 v21, null, s11, v21, vcc_lo
	v_fma_f64 v[8:9], v[42:43], v[8:9], s[22:23]
	v_fma_f64 v[50:51], v[36:37], v[50:51], s[34:35]
	v_cmp_nlt_f64_e32 vcc_lo, 0x40900000, v[22:23]
	v_ldexp_f64 v[54:55], v[54:55], v62
	v_fma_f64 v[60:61], v[48:49], v[28:29], s[28:29]
	v_rndne_f64_e32 v[28:29], v[40:41]
	v_fma_f64 v[40:41], v[34:35], s[8:9], v[58:59]
	v_fma_f64 v[32:33], v[46:47], v[52:53], s[20:21]
	;; [unrolled: 1-line block ×10, first 2 shown]
	v_fma_f64 v[52:53], v[48:49], v[52:53], 1.0
	v_fma_f64 v[32:33], v[28:29], s[8:9], v[56:57]
	v_fma_f64 v[56:57], v[40:41], v[58:59], s[18:19]
	v_cvt_i32_f64_e32 v29, v[28:29]
	v_fma_f64 v[58:59], v[46:47], v[60:61], s[24:25]
	v_cvt_i32_f64_e32 v60, v[44:45]
	v_cndmask_b32_e32 v61, 0x7ff00000, v55, vcc_lo
	v_fma_f64 v[8:9], v[42:43], v[8:9], s[30:31]
	v_fma_f64 v[50:51], v[36:37], v[50:51], s[26:27]
	s_and_b32 vcc_lo, s0, vcc_lo
	v_fma_f64 v[48:49], v[48:49], v[52:53], 1.0
	v_fma_f64 v[52:53], v[32:33], s[16:17], s[14:15]
	v_fma_f64 v[56:57], v[40:41], v[56:57], s[20:21]
	;; [unrolled: 1-line block ×4, first 2 shown]
	v_fma_f64 v[50:51], v[36:37], v[50:51], 1.0
	v_fma_f64 v[8:9], v[2:3], s[4:5], s[2:3]
	s_mov_b32 s2, 0xcc02a272
	s_mov_b32 s3, 0x40405221
	;; [unrolled: 1-line block ×4, first 2 shown]
	v_ldexp_f64 v[48:49], v[48:49], v60
	v_fma_f64 v[22:23], v[32:33], v[52:53], s[18:19]
	v_fma_f64 v[52:53], v[40:41], v[56:57], s[22:23]
	v_cndmask_b32_e32 v57, 0, v54, vcc_lo
	v_cmp_nlt_f64_e32 vcc_lo, 0x40900000, v[6:7]
	v_fma_f64 v[44:45], v[46:47], v[44:45], s[30:31]
	v_fma_f64 v[55:56], v[42:43], v[58:59], s[26:27]
	v_fma_f64 v[36:37], v[36:37], v[50:51], 1.0
	v_mul_f64 v[50:51], v[8:9], s[12:13]
	v_cndmask_b32_e64 v58, 0, v61, s0
	v_cmp_ngt_f64_e64 s0, 0xc090cc00, v[6:7]
	v_cvt_i32_f64_e32 v61, v[26:27]
	v_lshlrev_b64 v[6:7], 3, v[0:1]
	v_add_nc_u32_e32 v0, s33, v0
	v_fma_f64 v[59:60], v[32:33], v[22:23], s[20:21]
	v_fma_f64 v[22:23], v[2:3], s[46:47], s[2:3]
	;; [unrolled: 1-line block ×3, first 2 shown]
	global_store_dwordx2 v[20:21], v[57:58], off
	v_cndmask_b32_e32 v62, 0x7ff00000, v49, vcc_lo
	v_lshlrev_b64 v[20:21], 3, v[0:1]
	v_add_nc_u32_e32 v0, s33, v0
	v_add_co_u32 v49, s1, s10, v6
	s_mov_b32 s2, 0x84a0e411
	s_mov_b32 s3, 0xc08a42f9
	;; [unrolled: 1-line block ×4, first 2 shown]
	v_fma_f64 v[52:53], v[42:43], v[55:56], 1.0
	v_fma_f64 v[54:55], v[46:47], v[44:45], s[28:29]
	v_rndne_f64_e32 v[44:45], v[50:51]
	v_add_co_ci_u32_e64 v50, null, s11, v7, s1
	s_and_b32 vcc_lo, s0, vcc_lo
	v_ldexp_f64 v[36:37], v[36:37], v61
	v_cndmask_b32_e64 v61, 0, v62, s0
	v_fma_f64 v[56:57], v[32:33], v[59:60], s[22:23]
	v_lshlrev_b64 v[62:63], 3, v[0:1]
	v_cndmask_b32_e32 v60, 0, v48, vcc_lo
	v_mul_f64 v[58:59], v[22:23], s[12:13]
	v_fma_f64 v[26:27], v[40:41], v[26:27], s[34:35]
	v_fma_f64 v[6:7], v[2:3], s[62:63], s[60:61]
	v_cvt_i32_f64_e32 v48, v[30:31]
	global_store_dwordx2 v[49:50], v[60:61], off
	v_add_co_u32 v60, vcc_lo, s10, v62
	v_add_co_ci_u32_e64 v61, null, s11, v63, vcc_lo
	v_fma_f64 v[62:63], v[4:5], s[52:53], s[4:5]
	v_cmp_nlt_f64_e32 vcc_lo, 0x40900000, v[12:13]
	v_fma_f64 v[51:52], v[42:43], v[52:53], 1.0
	v_fma_f64 v[53:54], v[46:47], v[54:55], s[26:27]
	v_fma_f64 v[30:31], v[44:45], s[6:7], v[8:9]
	v_cmp_ngt_f64_e64 s0, 0xc090cc00, v[12:13]
	v_add_co_u32 v20, s1, s10, v20
	v_add_co_ci_u32_e64 v21, null, s11, v21, s1
	v_fma_f64 v[55:56], v[32:33], v[56:57], s[24:25]
	v_cmp_nlt_f64_e64 s1, 0x40900000, v[16:17]
	s_mov_b32 s4, 0xf1843c3a
	v_rndne_f64_e32 v[42:43], v[58:59]
	v_fma_f64 v[26:27], v[40:41], v[26:27], s[30:31]
	v_mul_f64 v[57:58], v[6:7], s[12:13]
	s_mov_b32 s5, 0x403cdad3
	v_add_nc_u32_e32 v0, s33, v0
	s_mov_b32 s60, 0x6a627469
	s_mov_b32 s61, 0x402a3ea6
	;; [unrolled: 1-line block ×4, first 2 shown]
	v_fma_f64 v[12:13], v[2:3], s[2:3], v[62:63]
	v_cndmask_b32_e32 v59, 0x7ff00000, v37, vcc_lo
	v_ldexp_f64 v[50:51], v[51:52], v48
	v_fma_f64 v[53:54], v[46:47], v[53:54], 1.0
	v_fma_f64 v[48:49], v[44:45], s[8:9], v[30:31]
	v_cvt_i32_f64_e32 v62, v[38:39]
	v_cmp_ngt_f64_e64 s2, 0xc090cc00, v[16:17]
	s_and_b32 vcc_lo, s0, vcc_lo
	v_cndmask_b32_e64 v52, 0, v59, s0
	v_cmp_ngt_f64_e64 s0, 0xc090cc00, v[14:15]
	v_fma_f64 v[55:56], v[32:33], v[55:56], s[34:35]
	v_cvt_i32_f64_e32 v63, v[34:35]
	v_cvt_i32_f64_e32 v44, v[44:45]
	v_fma_f64 v[37:38], v[42:43], s[6:7], v[22:23]
	v_fma_f64 v[26:27], v[40:41], v[26:27], s[28:29]
	v_rndne_f64_e32 v[30:31], v[57:58]
	s_mov_b32 s53, 0xbfe0a3d7
	v_cndmask_b32_e64 v57, 0x7ff00000, v51, s1
	v_fma_f64 v[46:47], v[46:47], v[53:54], 1.0
	v_fma_f64 v[16:17], v[48:49], s[16:17], s[14:15]
	v_cndmask_b32_e32 v51, 0, v36, vcc_lo
	s_and_b32 vcc_lo, s2, s1
	v_fma_f64 v[53:54], v[32:33], v[55:56], s[30:31]
	v_mul_f64 v[55:56], v[12:13], s[12:13]
	global_store_dwordx2 v[20:21], v[51:52], off
	v_fma_f64 v[38:39], v[42:43], s[8:9], v[37:38]
	v_fma_f64 v[26:27], v[40:41], v[26:27], s[26:27]
	;; [unrolled: 1-line block ×4, first 2 shown]
	s_mov_b32 s4, 0x9778572a
	s_mov_b32 s5, 0x4043e28b
	;; [unrolled: 1-line block ×4, first 2 shown]
	v_ldexp_f64 v[46:47], v[46:47], v62
	v_fma_f64 v[16:17], v[48:49], v[16:17], s[18:19]
	v_fma_f64 v[53:54], v[32:33], v[53:54], s[28:29]
	v_rndne_f64_e32 v[36:37], v[55:56]
	v_cndmask_b32_e64 v56, 0, v57, s2
	v_cndmask_b32_e32 v55, 0, v50, vcc_lo
	v_fma_f64 v[26:27], v[40:41], v[26:27], 1.0
	v_fma_f64 v[57:58], v[38:39], s[16:17], s[14:15]
	v_fma_f64 v[50:51], v[30:31], s[8:9], v[51:52]
	v_cmp_nlt_f64_e32 vcc_lo, 0x40900000, v[14:15]
	global_store_dwordx2 v[60:61], v[55:56], off
	v_mul_f64 v[55:56], v[20:21], s[12:13]
	s_mov_b32 s2, 0x572ebafe
	s_mov_b32 s3, 0x403bb79a
	v_fma_f64 v[59:60], v[48:49], v[16:17], s[20:21]
	v_lshlrev_b64 v[16:17], 3, v[0:1]
	v_add_nc_u32_e32 v0, s33, v0
	v_fma_f64 v[52:53], v[32:33], v[53:54], s[26:27]
	v_fma_f64 v[61:62], v[36:37], s[6:7], v[12:13]
	v_add_co_u32 v14, s1, s10, v16
	v_fma_f64 v[26:27], v[40:41], v[26:27], 1.0
	v_fma_f64 v[40:41], v[38:39], v[57:58], s[18:19]
	v_add_co_ci_u32_e64 v15, null, s11, v17, s1
	v_cndmask_b32_e32 v47, 0x7ff00000, v47, vcc_lo
	v_rndne_f64_e32 v[16:17], v[55:56]
	v_fma_f64 v[54:55], v[50:51], s[16:17], s[14:15]
	s_and_b32 vcc_lo, s0, vcc_lo
	v_cndmask_b32_e64 v47, 0, v47, s0
	v_cndmask_b32_e32 v46, 0, v46, vcc_lo
	v_cmp_nlt_f64_e32 vcc_lo, 0x40900000, v[18:19]
	v_fma_f64 v[56:57], v[48:49], v[59:60], s[22:23]
	v_cmp_ngt_f64_e64 s0, 0xc090cc00, v[18:19]
	v_fma_f64 v[18:19], v[4:5], s[42:43], s[2:3]
	s_mov_b32 s2, 0x3f85510d
	s_mov_b32 s3, 0x40605ac3
	global_store_dwordx2 v[14:15], v[46:47], off
	v_fma_f64 v[52:53], v[32:33], v[52:53], 1.0
	v_fma_f64 v[34:35], v[36:37], s[8:9], v[61:62]
	v_lshlrev_b64 v[14:15], 3, v[0:1]
	v_add_nc_u32_e32 v0, s33, v0
	v_ldexp_f64 v[26:27], v[26:27], v63
	v_fma_f64 v[40:41], v[38:39], v[40:41], s[20:21]
	s_mov_b32 s43, 0xc0cc4e51
	v_add_co_u32 v14, s1, s10, v14
	v_fma_f64 v[58:59], v[16:17], s[6:7], v[20:21]
	v_fma_f64 v[54:55], v[50:51], v[54:55], s[18:19]
	v_add_co_ci_u32_e64 v15, null, s11, v15, s1
	v_cmp_nlt_f64_e64 s1, 0x40900000, v[24:25]
	v_fma_f64 v[56:57], v[48:49], v[56:57], s[24:25]
	v_fma_f64 v[18:19], v[2:3], s[2:3], v[18:19]
	v_cmp_ngt_f64_e64 s2, 0xc090cc00, v[24:25]
	v_fma_f64 v[32:33], v[32:33], v[52:53], 1.0
	v_fma_f64 v[52:53], v[34:35], s[16:17], s[14:15]
	v_cndmask_b32_e32 v60, 0x7ff00000, v27, vcc_lo
	v_fma_f64 v[27:28], v[38:39], v[40:41], s[22:23]
	s_and_b32 vcc_lo, s0, vcc_lo
	v_cndmask_b32_e32 v24, 0, v26, vcc_lo
	v_cndmask_b32_e64 v25, 0, v60, s0
	v_fma_f64 v[40:41], v[16:17], s[8:9], v[58:59]
	v_fma_f64 v[54:55], v[50:51], v[54:55], s[20:21]
	global_store_dwordx2 v[14:15], v[24:25], off
	v_lshlrev_b64 v[14:15], 3, v[0:1]
	v_fma_f64 v[56:57], v[48:49], v[56:57], s[34:35]
	v_add_nc_u32_e32 v0, s33, v0
	v_mul_f64 v[58:59], v[18:19], s[12:13]
	v_add_co_u32 v14, vcc_lo, s10, v14
	v_fma_f64 v[52:53], v[34:35], v[52:53], s[18:19]
	v_ldexp_f64 v[32:33], v[32:33], v29
	v_add_co_ci_u32_e64 v15, null, s11, v15, vcc_lo
	v_fma_f64 v[27:28], v[38:39], v[27:28], s[24:25]
	s_and_b32 vcc_lo, s2, s1
	v_fma_f64 v[46:47], v[40:41], s[16:17], s[14:15]
	v_fma_f64 v[54:55], v[50:51], v[54:55], s[22:23]
	;; [unrolled: 1-line block ×4, first 2 shown]
	v_cndmask_b32_e64 v33, 0x7ff00000, v33, s1
	s_mov_b32 s0, 0x780346dc
	s_mov_b32 s1, 0xc0c0b557
	v_fma_f64 v[26:27], v[38:39], v[27:28], s[34:35]
	v_rndne_f64_e32 v[28:29], v[58:59]
	v_add_f64 v[58:59], -v[4:5], s[4:5]
	v_cndmask_b32_e64 v33, 0, v33, s2
	v_cndmask_b32_e32 v32, 0, v32, vcc_lo
	v_fma_f64 v[46:47], v[40:41], v[46:47], s[18:19]
	v_fma_f64 v[54:55], v[50:51], v[54:55], s[24:25]
	s_mov_b32 s2, 0x6045baf5
	s_mov_b32 s3, 0xc069292c
	global_store_dwordx2 v[14:15], v[32:33], off
	s_mov_b32 s4, 0xbf4e5f09
	v_fma_f64 v[56:57], v[48:49], v[56:57], s[28:29]
	s_mov_b32 s5, 0x4042e0fa
	v_fma_f64 v[52:53], v[34:35], v[52:53], s[22:23]
	v_fma_f64 v[26:27], v[38:39], v[26:27], s[30:31]
	;; [unrolled: 1-line block ×9, first 2 shown]
	s_mov_b32 s0, 0x53678621
	s_mov_b32 s1, 0x403da8bf
	v_fma_f64 v[24:25], v[40:41], v[24:25], s[22:23]
	v_fma_f64 v[62:63], v[50:51], v[46:47], s[30:31]
	;; [unrolled: 1-line block ×3, first 2 shown]
	v_cmp_ngt_f64_e64 s0, 0xc090cc00, v[8:9]
	v_cmp_nlt_f64_e64 s1, 0x40900000, v[22:23]
	v_cmp_ngt_f64_e64 s2, 0xc090cc00, v[22:23]
	v_fma_f64 v[54:55], v[48:49], v[54:55], 1.0
	v_fma_f64 v[46:47], v[28:29], s[8:9], v[56:57]
	v_fma_f64 v[52:53], v[34:35], v[52:53], s[34:35]
	;; [unrolled: 1-line block ×3, first 2 shown]
	v_mul_f64 v[32:33], v[26:27], s[12:13]
	v_cvt_i32_f64_e32 v60, v[42:43]
	v_cvt_i32_f64_e32 v61, v[36:37]
	v_fma_f64 v[24:25], v[40:41], v[24:25], s[24:25]
	v_fma_f64 v[58:59], v[50:51], v[62:63], s[28:29]
	v_fma_f64 v[48:49], v[48:49], v[54:55], 1.0
	v_fma_f64 v[54:55], v[46:47], s[16:17], s[14:15]
	v_fma_f64 v[52:53], v[34:35], v[52:53], s[30:31]
	v_fma_f64 v[56:57], v[38:39], v[56:57], 1.0
	v_fma_f64 v[24:25], v[40:41], v[24:25], s[34:35]
	v_fma_f64 v[58:59], v[50:51], v[58:59], s[26:27]
	v_ldexp_f64 v[48:49], v[48:49], v44
	v_fma_f64 v[54:55], v[46:47], v[54:55], s[18:19]
	v_rndne_f64_e32 v[44:45], v[32:33]
	v_lshlrev_b64 v[32:33], 3, v[0:1]
	v_add_nc_u32_e32 v0, s33, v0
	v_fma_f64 v[52:53], v[34:35], v[52:53], s[28:29]
	v_add_co_u32 v42, vcc_lo, s10, v32
	v_add_co_ci_u32_e64 v43, null, s11, v33, vcc_lo
	v_mul_f64 v[32:33], v[14:15], s[12:13]
	v_fma_f64 v[38:39], v[38:39], v[56:57], 1.0
	v_cmp_nlt_f64_e32 vcc_lo, 0x40900000, v[8:9]
	v_fma_f64 v[24:25], v[40:41], v[24:25], s[30:31]
	v_fma_f64 v[56:57], v[50:51], v[58:59], 1.0
	v_mov_b32_e32 v58, 0x60480000
	v_mov_b32_e32 v59, 0x42c9ebac
	v_fma_f64 v[54:55], v[46:47], v[54:55], s[20:21]
	v_fma_f64 v[8:9], v[44:45], s[6:7], v[26:27]
	;; [unrolled: 1-line block ×3, first 2 shown]
	v_rndne_f64_e32 v[32:33], v[32:33]
	v_ldexp_f64 v[38:39], v[38:39], v60
	v_cndmask_b32_e32 v49, 0x7ff00000, v49, vcc_lo
	v_fma_f64 v[24:25], v[40:41], v[24:25], s[28:29]
	v_fma_f64 v[56:57], v[50:51], v[56:57], 1.0
	s_and_b32 vcc_lo, s0, vcc_lo
	v_cvt_i32_f64_e32 v60, v[30:31]
	v_cndmask_b32_e64 v23, 0, v49, s0
	v_cndmask_b32_e32 v22, 0, v48, vcc_lo
	v_cmp_ngt_f64_e64 s0, 0xc090cc00, v[6:7]
	v_fma_f64 v[54:55], v[46:47], v[54:55], s[22:23]
	v_fma_f64 v[50:51], v[44:45], s[8:9], v[8:9]
	v_lshlrev_b64 v[8:9], 3, v[0:1]
	global_store_dwordx2 v[42:43], v[22:23], off
	v_add_nc_u32_e32 v0, s33, v0
	v_fma_f64 v[52:53], v[34:35], v[52:53], 1.0
	v_add_co_u32 v8, vcc_lo, s10, v8
	v_lshlrev_b64 v[48:49], 3, v[0:1]
	v_add_co_ci_u32_e64 v9, null, s11, v9, vcc_lo
	v_fma_f64 v[30:31], v[32:33], s[6:7], v[14:15]
	v_cndmask_b32_e64 v39, 0x7ff00000, v39, s1
	v_fma_f64 v[24:25], v[40:41], v[24:25], s[26:27]
	v_add_co_u32 v36, vcc_lo, s10, v48
	v_add_co_ci_u32_e64 v37, null, s11, v49, vcc_lo
	s_and_b32 vcc_lo, s2, s1
	v_cndmask_b32_e64 v39, 0, v39, s2
	v_cndmask_b32_e32 v38, 0, v38, vcc_lo
	v_fma_f64 v[22:23], v[50:51], s[16:17], s[14:15]
	v_add_nc_u32_e32 v0, s33, v0
	v_cmp_nlt_f64_e64 s1, 0x40900000, v[12:13]
	v_cmp_ngt_f64_e64 s2, 0xc090cc00, v[12:13]
	global_store_dwordx2 v[8:9], v[38:39], off
	v_fma_f64 v[34:35], v[34:35], v[52:53], 1.0
	v_fma_f64 v[52:53], v[46:47], v[54:55], s[24:25]
	v_fma_f64 v[8:9], v[4:5], 2.0, s[60:61]
	v_lshlrev_b64 v[42:43], 3, v[0:1]
	v_add_nc_u32_e32 v0, s33, v0
	v_ldexp_f64 v[54:55], v[56:57], v60
	global_store_dwordx2 v[36:37], v[58:59], off
	v_fma_f64 v[48:49], v[32:33], s[8:9], v[30:31]
	s_mov_b32 s60, 0x4189375
	v_fma_f64 v[30:31], v[40:41], v[24:25], 1.0
	v_fma_f64 v[24:25], v[4:5], s[46:47], s[4:5]
	v_lshlrev_b64 v[56:57], 3, v[0:1]
	v_add_co_u32 v42, vcc_lo, s10, v42
	v_add_co_ci_u32_e64 v43, null, s11, v43, vcc_lo
	s_mov_b32 s4, 0x55475a32
	v_fma_f64 v[38:39], v[50:51], v[22:23], s[18:19]
	v_add_co_u32 v56, vcc_lo, s10, v56
	v_add_co_ci_u32_e64 v57, null, s11, v57, vcc_lo
	v_cmp_nlt_f64_e32 vcc_lo, 0x40900000, v[6:7]
	v_fma_f64 v[52:53], v[46:47], v[52:53], s[34:35]
	s_mov_b32 s5, 0xc0ac6c83
	v_ldexp_f64 v[34:35], v[34:35], v61
	v_fma_f64 v[22:23], v[2:3], s[4:5], v[8:9]
	v_add_nc_u32_e32 v0, s33, v0
	s_mov_b32 s4, 0x48ba83f5
	v_fma_f64 v[60:61], v[48:49], s[16:17], s[14:15]
	s_mov_b32 s5, 0xc072dee1
	v_fma_f64 v[40:41], v[40:41], v[30:31], 1.0
	v_mul_f64 v[6:7], v[24:25], s[12:13]
	v_lshlrev_b64 v[12:13], 3, v[0:1]
	v_add_nc_u32_e32 v0, s33, v0
	s_mov_b32 s61, 0x3fdd0e56
	s_mov_b32 s47, 0x3ff0cccc
	;; [unrolled: 1-line block ×3, first 2 shown]
	v_fma_f64 v[8:9], v[50:51], v[38:39], s[20:21]
	v_cvt_i32_f64_e32 v39, v[16:17]
	v_lshlrev_b64 v[16:17], 3, v[0:1]
	v_add_co_u32 v37, s3, s10, v12
	v_cndmask_b32_e32 v55, 0x7ff00000, v55, vcc_lo
	v_fma_f64 v[52:53], v[46:47], v[52:53], s[30:31]
	s_and_b32 vcc_lo, s0, vcc_lo
	v_cndmask_b32_e64 v62, 0x7ff00000, v35, s1
	v_add_co_ci_u32_e64 v38, null, s11, v13, s3
	v_add_co_u32 v58, s3, s10, v16
	v_fma_f64 v[35:36], v[48:49], v[60:61], s[18:19]
	v_mov_b32_e32 v12, s64
	v_rndne_f64_e32 v[30:31], v[6:7]
	v_add_co_ci_u32_e64 v59, null, s11, v17, s3
	v_cndmask_b32_e64 v17, 0, v62, s2
	v_mov_b32_e32 v13, s65
	v_add_nc_u32_e32 v0, s33, v0
	v_mov_b32_e32 v60, 0x47100000
	v_fma_f64 v[8:9], v[50:51], v[8:9], s[22:23]
	v_ldexp_f64 v[39:40], v[40:41], v39
	global_store_dwordx2 v[42:43], v[12:13], off
	v_lshlrev_b64 v[41:42], 3, v[0:1]
	v_add_nc_u32_e32 v0, s33, v0
	v_mov_b32_e32 v61, 0x42be0369
	v_fma_f64 v[6:7], v[46:47], v[52:53], s[28:29]
	v_cndmask_b32_e64 v53, 0, v55, s0
	v_cndmask_b32_e32 v52, 0, v54, vcc_lo
	v_mul_f64 v[54:55], v[22:23], s[12:13]
	s_and_b32 vcc_lo, s2, s1
	s_mov_b32 s0, 0x9a1fd157
	v_cndmask_b32_e32 v16, 0, v34, vcc_lo
	s_mov_b32 s1, 0xc0879699
	v_fma_f64 v[34:35], v[48:49], v[35:36], s[20:21]
	s_mov_b32 s2, 0xc990016a
	s_mov_b32 s3, 0x403b6b98
	global_store_dwordx2 v[56:57], v[16:17], off
	v_mul_f64 v[16:17], v[2:3], s[0:1]
	v_fma_f64 v[56:57], v[30:31], s[6:7], v[24:25]
	global_store_dwordx2 v[37:38], v[52:53], off
	v_lshlrev_b64 v[52:53], 3, v[0:1]
	v_fma_f64 v[8:9], v[50:51], v[8:9], s[24:25]
	global_store_dwordx2 v[58:59], v[60:61], off
	v_cmp_ngt_f64_e64 s0, 0xc090cc00, v[20:21]
	v_add_nc_u32_e32 v0, s33, v0
	s_mov_b32 s65, 0x42ab48eb
	v_fma_f64 v[6:7], v[46:47], v[6:7], s[26:27]
	v_rndne_f64_e32 v[37:38], v[54:55]
	v_add_co_u32 v54, vcc_lo, s10, v41
	v_add_co_ci_u32_e64 v55, null, s11, v42, vcc_lo
	v_add_co_u32 v52, vcc_lo, s10, v52
	v_add_co_ci_u32_e64 v53, null, s11, v53, vcc_lo
	v_cmp_nlt_f64_e32 vcc_lo, 0x40900000, v[20:21]
	v_fma_f64 v[41:42], v[48:49], v[34:35], s[22:23]
	v_mul_f64 v[58:59], v[16:17], s[12:13]
	v_fma_f64 v[34:35], v[30:31], s[8:9], v[56:57]
	v_fma_f64 v[62:63], v[50:51], v[8:9], s[34:35]
	v_lshlrev_b64 v[20:21], 3, v[0:1]
	v_add_nc_u32_e32 v0, s33, v0
	v_mov_b32_e32 v8, s70
	v_mov_b32_e32 v9, s71
	v_fma_f64 v[6:7], v[46:47], v[6:7], 1.0
	v_add_co_u32 v56, s1, s10, v20
	v_fma_f64 v[60:61], v[37:38], s[6:7], v[22:23]
	v_add_co_ci_u32_e64 v57, null, s11, v21, s1
	global_store_dwordx2 v[54:55], v[8:9], off
	v_cndmask_b32_e32 v36, 0x7ff00000, v40, vcc_lo
	v_fma_f64 v[64:65], v[48:49], v[41:42], s[24:25]
	v_rndne_f64_e32 v[20:21], v[58:59]
	v_fma_f64 v[58:59], v[34:35], s[16:17], s[14:15]
	s_and_b32 vcc_lo, s0, vcc_lo
	v_cndmask_b32_e64 v40, 0, v36, s0
	v_cvt_i32_f64_e32 v36, v[28:29]
	v_fma_f64 v[28:29], v[50:51], v[62:63], s[30:31]
	v_cndmask_b32_e32 v39, 0, v39, vcc_lo
	v_cmp_ngt_f64_e64 s0, 0xc090cc00, v[18:19]
	v_fma_f64 v[6:7], v[46:47], v[6:7], 1.0
	v_lshlrev_b64 v[46:47], 3, v[0:1]
	v_add_nc_u32_e32 v0, s33, v0
	v_fma_f64 v[41:42], v[37:38], s[8:9], v[60:61]
	global_store_dwordx2 v[52:53], v[39:40], off
	v_lshlrev_b64 v[39:40], 3, v[0:1]
	v_add_co_u32 v52, vcc_lo, s10, v46
	v_add_co_ci_u32_e64 v53, null, s11, v47, vcc_lo
	v_add_nc_u32_e32 v0, s33, v0
	v_add_co_u32 v46, vcc_lo, s10, v39
	v_add_co_ci_u32_e64 v47, null, s11, v40, vcc_lo
	v_fma_f64 v[39:40], v[20:21], s[6:7], v[16:17]
	v_fma_f64 v[58:59], v[34:35], v[58:59], s[18:19]
	;; [unrolled: 1-line block ×4, first 2 shown]
	v_cmp_nlt_f64_e32 vcc_lo, 0x40900000, v[18:19]
	v_ldexp_f64 v[6:7], v[6:7], v36
	v_cvt_i32_f64_e32 v36, v[44:45]
	v_fma_f64 v[60:61], v[41:42], s[16:17], s[14:15]
	v_fma_f64 v[39:40], v[20:21], s[8:9], v[39:40]
	;; [unrolled: 1-line block ×5, first 2 shown]
	v_cndmask_b32_e32 v7, 0x7ff00000, v7, vcc_lo
	s_and_b32 vcc_lo, s0, vcc_lo
	v_fma_f64 v[60:61], v[41:42], v[60:61], s[18:19]
	v_cndmask_b32_e32 v6, 0, v6, vcc_lo
	v_cndmask_b32_e64 v7, 0, v7, s0
	s_mov_b32 s0, 0x2c244b39
	s_mov_b32 s1, 0x40303d85
	global_store_dwordx2 v[56:57], v[6:7], off
	v_fma_f64 v[18:19], v[39:40], s[16:17], s[14:15]
	v_fma_f64 v[43:44], v[34:35], v[58:59], s[22:23]
	v_fma_f64 v[28:29], v[50:51], v[28:29], 1.0
	v_fma_f64 v[54:55], v[48:49], v[54:55], s[28:29]
	v_fma_f64 v[58:59], v[41:42], v[60:61], s[20:21]
	;; [unrolled: 1-line block ×4, first 2 shown]
	v_fma_f64 v[28:29], v[50:51], v[28:29], 1.0
	v_lshlrev_b64 v[50:51], 3, v[0:1]
	v_add_nc_u32_e32 v0, s33, v0
	v_fma_f64 v[54:55], v[48:49], v[54:55], s[26:27]
	v_fma_f64 v[58:59], v[41:42], v[58:59], s[22:23]
	v_lshlrev_b64 v[6:7], 3, v[0:1]
	v_add_nc_u32_e32 v0, s33, v0
	v_add_co_u32 v50, vcc_lo, s10, v50
	v_add_co_ci_u32_e64 v51, null, s11, v51, vcc_lo
	v_add_co_u32 v56, vcc_lo, s10, v6
	v_add_co_ci_u32_e64 v57, null, s11, v7, vcc_lo
	v_lshlrev_b64 v[6:7], 3, v[0:1]
	v_add_nc_u32_e32 v0, s33, v0
	v_fma_f64 v[18:19], v[39:40], v[18:19], s[20:21]
	v_fma_f64 v[43:44], v[34:35], v[43:44], s[34:35]
	v_ldexp_f64 v[28:29], v[28:29], v36
	v_add_co_u32 v60, vcc_lo, s10, v6
	v_add_co_ci_u32_e64 v61, null, s11, v7, vcc_lo
	v_fma_f64 v[6:7], v[4:5], 2.0, s[0:1]
	v_fma_f64 v[58:59], v[41:42], v[58:59], s[24:25]
	v_fma_f64 v[54:55], v[48:49], v[54:55], 1.0
	v_cmp_nlt_f64_e32 vcc_lo, 0x40900000, v[26:27]
	v_cmp_ngt_f64_e64 s0, 0xc090cc00, v[26:27]
	v_cvt_i32_f64_e32 v36, v[32:33]
	v_lshlrev_b64 v[26:27], 3, v[0:1]
	v_add_nc_u32_e32 v0, s33, v0
	v_fma_f64 v[18:19], v[39:40], v[18:19], s[22:23]
	v_fma_f64 v[32:33], v[34:35], v[43:44], s[30:31]
	;; [unrolled: 1-line block ×4, first 2 shown]
	v_fma_f64 v[48:49], v[48:49], v[54:55], 1.0
	v_mov_b32_e32 v54, 0x3b4c0000
	v_mov_b32_e32 v55, 0x42d0b071
	v_cndmask_b32_e32 v29, 0x7ff00000, v29, vcc_lo
	v_add_co_u32 v58, s1, s10, v26
	v_add_co_ci_u32_e64 v59, null, s11, v27, s1
	global_store_dwordx2 v[52:53], v[54:55], off
	v_lshlrev_b64 v[52:53], 3, v[0:1]
	s_and_b32 vcc_lo, s0, vcc_lo
	v_fma_f64 v[26:27], v[4:5], 0.5, s[2:3]
	global_store_dwordx2 v[46:47], v[12:13], off
	v_fma_f64 v[18:19], v[39:40], v[18:19], s[24:25]
	v_fma_f64 v[32:33], v[34:35], v[32:33], s[28:29]
	v_add_co_u32 v62, s1, s10, v52
	v_add_co_ci_u32_e64 v63, null, s11, v53, s1
	v_cndmask_b32_e64 v53, 0, v29, s0
	v_cndmask_b32_e32 v52, 0, v28, vcc_lo
	v_fma_f64 v[43:44], v[41:42], v[43:44], s[30:31]
	v_mul_f64 v[28:29], v[6:7], s[12:13]
	s_mov_b32 s0, 0xabc94706
	s_mov_b32 s1, 0xc0a1bb03
	global_store_dwordx2 v[50:51], v[12:13], off
	global_store_dwordx2 v[56:57], v[8:9], off
	s_mov_b32 s2, 0x60708320
	s_mov_b32 s3, 0x403e56cd
	v_cmp_nlt_f64_e32 vcc_lo, 0x40900000, v[14:15]
	v_add_nc_u32_e32 v0, s33, v0
	v_ldexp_f64 v[48:49], v[48:49], v36
	global_store_dwordx2 v[60:61], v[52:53], off
	v_cvt_i32_f64_e32 v57, v[30:31]
	s_mov_b32 s69, 0x3ff99999
	v_fma_f64 v[54:55], v[39:40], v[18:19], s[34:35]
	v_fma_f64 v[18:19], v[2:3], s[0:1], v[26:27]
	;; [unrolled: 1-line block ×3, first 2 shown]
	v_cmp_ngt_f64_e64 s0, 0xc090cc00, v[14:15]
	v_fma_f64 v[14:15], v[2:3], s[4:5], s[2:3]
	v_lshlrev_b64 v[45:46], 3, v[0:1]
	v_add_nc_u32_e32 v0, s33, v0
	s_mov_b32 s4, 0x39ffd60f
	v_fma_f64 v[43:44], v[41:42], v[43:44], s[28:29]
	v_rndne_f64_e32 v[27:28], v[28:29]
	s_mov_b32 s5, 0x403b03cc
	v_add_co_u32 v53, s1, s10, v45
	v_lshlrev_b64 v[60:61], 3, v[0:1]
	v_add_nc_u32_e32 v0, s33, v0
	v_cmp_ngt_f64_e64 s2, 0xc090cc00, v[16:17]
	v_cndmask_b32_e32 v26, 0x7ff00000, v49, vcc_lo
	v_lshlrev_b64 v[29:30], 3, v[0:1]
	v_add_nc_u32_e32 v0, s33, v0
	v_fma_f64 v[64:65], v[39:40], v[54:55], s[30:31]
	v_mul_f64 v[50:51], v[18:19], s[12:13]
	v_fma_f64 v[32:33], v[34:35], v[32:33], 1.0
	v_add_co_ci_u32_e64 v54, null, s11, v46, s1
	s_and_b32 vcc_lo, s0, vcc_lo
	v_fma_f64 v[43:44], v[41:42], v[43:44], s[26:27]
	v_fma_f64 v[55:56], v[27:28], s[6:7], v[6:7]
	;; [unrolled: 1-line block ×3, first 2 shown]
	v_rndne_f64_e32 v[45:46], v[50:51]
	v_fma_f64 v[31:32], v[34:35], v[32:33], 1.0
	v_mul_f64 v[35:36], v[14:15], s[12:13]
	v_add_co_u32 v51, s1, s10, v60
	v_add_co_ci_u32_e64 v52, null, s11, v61, s1
	v_fma_f64 v[33:34], v[41:42], v[43:44], 1.0
	v_fma_f64 v[43:44], v[27:28], s[8:9], v[55:56]
	v_add_co_u32 v49, s1, s10, v29
	v_cndmask_b32_e32 v29, 0, v48, vcc_lo
	v_cmp_nlt_f64_e32 vcc_lo, 0x40900000, v[24:25]
	v_add_co_ci_u32_e64 v50, null, s11, v30, s1
	v_cndmask_b32_e64 v30, 0, v26, s0
	v_cmp_ngt_f64_e64 s0, 0xc090cc00, v[24:25]
	v_lshlrev_b64 v[24:25], 3, v[0:1]
	v_add_nc_u32_e32 v0, s33, v0
	global_store_dwordx2 v[58:59], v[29:30], off
	v_fma_f64 v[47:48], v[39:40], v[64:65], s[26:27]
	v_fma_f64 v[55:56], v[45:46], s[6:7], v[18:19]
	v_ldexp_f64 v[31:32], v[31:32], v57
	v_rndne_f64_e32 v[35:36], v[35:36]
	v_add_co_u32 v29, s1, s10, v24
	v_cvt_i32_f64_e32 v24, v[20:21]
	v_add_co_ci_u32_e64 v30, null, s11, v25, s1
	v_fma_f64 v[33:34], v[41:42], v[33:34], 1.0
	v_fma_f64 v[41:42], v[43:44], s[16:17], s[14:15]
	v_lshlrev_b64 v[25:26], 3, v[0:1]
	v_add_nc_u32_e32 v0, s33, v0
	v_add_co_u32 v25, s1, s10, v25
	v_add_co_ci_u32_e64 v26, null, s11, v26, s1
	v_fma_f64 v[60:61], v[39:40], v[47:48], 1.0
	v_fma_f64 v[47:48], v[45:46], s[8:9], v[55:56]
	v_cvt_i32_f64_e32 v55, v[37:38]
	v_fma_f64 v[37:38], v[35:36], s[6:7], v[14:15]
	v_cndmask_b32_e32 v32, 0x7ff00000, v32, vcc_lo
	s_and_b32 vcc_lo, s0, vcc_lo
	v_cndmask_b32_e32 v31, 0, v31, vcc_lo
	v_cndmask_b32_e64 v32, 0, v32, s0
	v_fma_f64 v[41:42], v[43:44], v[41:42], s[18:19]
	v_cmp_ngt_f64_e64 s0, 0xc090cc00, v[22:23]
	global_store_dwordx2 v[62:63], v[31:32], off
	v_fma_f64 v[20:21], v[39:40], v[60:61], 1.0
	v_fma_f64 v[39:40], v[47:48], s[16:17], s[14:15]
	v_ldexp_f64 v[33:34], v[33:34], v55
	v_fma_f64 v[37:38], v[35:36], s[8:9], v[37:38]
	v_lshlrev_b64 v[55:56], 3, v[0:1]
	v_add_nc_u32_e32 v0, s33, v0
	v_fma_f64 v[41:42], v[43:44], v[41:42], s[20:21]
	v_lshlrev_b64 v[57:58], 3, v[0:1]
	v_add_nc_u32_e32 v0, s33, v0
	v_add_co_u32 v31, vcc_lo, s10, v55
	v_add_co_ci_u32_e64 v32, null, s11, v56, vcc_lo
	v_cmp_nlt_f64_e32 vcc_lo, 0x40900000, v[22:23]
	v_lshlrev_b64 v[55:56], 3, v[0:1]
	v_add_co_u32 v23, s1, s10, v57
	v_add_nc_u32_e32 v0, s33, v0
	v_ldexp_f64 v[59:60], v[20:21], v24
	v_fma_f64 v[39:40], v[47:48], v[39:40], s[18:19]
	v_add_co_ci_u32_e64 v24, null, s11, v58, s1
	v_add_co_u32 v21, s1, s10, v55
	v_add_co_ci_u32_e64 v22, null, s11, v56, s1
	v_fma_f64 v[55:56], v[37:38], s[16:17], s[14:15]
	v_cmp_nlt_f64_e64 s1, 0x40900000, v[16:17]
	v_fma_f64 v[41:42], v[43:44], v[41:42], s[22:23]
	v_cndmask_b32_e32 v20, 0x7ff00000, v34, vcc_lo
	s_and_b32 vcc_lo, s0, vcc_lo
	v_fma_f64 v[16:17], v[47:48], v[39:40], s[20:21]
	v_fma_f64 v[55:56], v[37:38], v[55:56], s[18:19]
	v_cndmask_b32_e64 v62, 0x7ff00000, v60, s1
	v_fma_f64 v[39:40], v[43:44], v[41:42], s[24:25]
	v_cndmask_b32_e32 v41, 0, v33, vcc_lo
	v_fma_f64 v[33:34], v[4:5], s[60:61], s[4:5]
	s_mov_b32 s4, 0xf66a551
	s_mov_b32 s5, 0xc0947174
	v_cndmask_b32_e64 v42, 0, v20, s0
	s_and_b32 vcc_lo, s2, s1
	v_cndmask_b32_e64 v63, 0, v62, s2
	v_cndmask_b32_e32 v62, 0, v59, vcc_lo
	s_mov_b32 s2, 0x6b8f9b13
	global_store_dwordx2 v[53:54], v[41:42], off
	s_mov_b32 s1, 0x42a33562
	s_mov_b32 s0, 0x19000000
	v_fma_f64 v[16:17], v[47:48], v[16:17], s[22:23]
	s_mov_b32 s3, 0xc099c023
	v_mul_f64 v[64:65], v[62:63], s[0:1]
	v_cvt_i32_f64_e32 v20, v[45:46]
	v_cmp_nlt_f64_e32 vcc_lo, 0x40900000, v[6:7]
	s_mov_b32 s1, 0x42833562
	v_fma_f64 v[55:56], v[37:38], v[55:56], s[20:21]
	v_fma_f64 v[39:40], v[43:44], v[39:40], s[34:35]
	;; [unrolled: 1-line block ×3, first 2 shown]
	s_mov_b32 s4, 0xb3b09c15
	s_mov_b32 s5, 0x4037dbd7
	v_fma_f64 v[41:42], v[4:5], s[46:47], s[4:5]
	s_mov_b32 s5, 0x3ff2e147
	s_mov_b32 s4, 0xae147ae1
	s_mov_b32 s47, 0x4004cccc
	v_fma_f64 v[53:54], v[47:48], v[16:17], s[24:25]
	v_mov_b32_e32 v16, 0xe5400000
	v_mov_b32_e32 v17, 0x42d2309c
	v_fma_f64 v[55:56], v[37:38], v[55:56], s[22:23]
	global_store_dwordx2 v[51:52], v[16:17], off
	v_fma_f64 v[57:58], v[43:44], v[39:40], s[30:31]
	global_store_dwordx2 v[49:50], v[64:65], off
	v_mul_f64 v[60:61], v[33:34], s[12:13]
	v_cvt_i32_f64_e32 v17, v[27:28]
	v_fma_f64 v[39:40], v[2:3], s[2:3], v[41:42]
	s_mov_b32 s2, 0xc743f6d0
	s_mov_b32 s3, 0x403f4b69
	v_fma_f64 v[41:42], v[47:48], v[53:54], s[34:35]
	v_fma_f64 v[55:56], v[37:38], v[55:56], s[24:25]
	;; [unrolled: 1-line block ×3, first 2 shown]
	v_rndne_f64_e32 v[51:52], v[60:61]
	v_mul_f64 v[49:50], v[39:40], s[12:13]
	v_fma_f64 v[57:58], v[47:48], v[41:42], s[30:31]
	v_fma_f64 v[55:56], v[37:38], v[55:56], s[34:35]
	v_fma_f64 v[53:54], v[43:44], v[53:54], s[26:27]
	v_fma_f64 v[59:60], v[51:52], s[6:7], v[33:34]
	v_rndne_f64_e32 v[41:42], v[49:50]
	v_fma_f64 v[57:58], v[47:48], v[57:58], s[28:29]
	v_fma_f64 v[55:56], v[37:38], v[55:56], s[30:31]
	v_fma_f64 v[53:54], v[43:44], v[53:54], 1.0
	v_fma_f64 v[49:50], v[51:52], s[8:9], v[59:60]
	v_fma_f64 v[27:28], v[41:42], s[6:7], v[39:40]
	;; [unrolled: 1-line block ×4, first 2 shown]
	v_fma_f64 v[53:54], v[43:44], v[53:54], 1.0
	v_fma_f64 v[57:58], v[49:50], s[16:17], s[14:15]
	v_fma_f64 v[43:44], v[41:42], s[8:9], v[27:28]
	v_fma_f64 v[45:46], v[47:48], v[45:46], 1.0
	v_fma_f64 v[55:56], v[37:38], v[55:56], s[26:27]
	v_ldexp_f64 v[53:54], v[53:54], v17
	v_cvt_i32_f64_e32 v17, v[35:36]
	v_fma_f64 v[27:28], v[49:50], v[57:58], s[18:19]
	v_mul_f64 v[35:36], v[62:63], s[0:1]
	v_cmp_ngt_f64_e64 s0, 0xc090cc00, v[6:7]
	v_fma_f64 v[45:46], v[47:48], v[45:46], 1.0
	v_fma_f64 v[47:48], v[43:44], s[16:17], s[14:15]
	v_fma_f64 v[55:56], v[37:38], v[55:56], 1.0
	v_fma_f64 v[57:58], v[49:50], v[27:28], s[20:21]
	v_fma_f64 v[27:28], v[2:3], s[66:67], s[2:3]
	v_cmp_ngt_f64_e64 s2, 0xc090cc00, v[18:19]
	global_store_dwordx2 v[29:30], v[35:36], off
	global_store_dwordx2 v[25:26], v[10:11], off
	s_mov_b32 s66, 0xde00d1b7
	s_mov_b32 s67, 0x406c1e02
	v_ldexp_f64 v[45:46], v[45:46], v20
	v_fma_f64 v[47:48], v[43:44], v[47:48], s[18:19]
	v_cndmask_b32_e32 v20, 0x7ff00000, v54, vcc_lo
	s_and_b32 vcc_lo, s0, vcc_lo
	v_fma_f64 v[37:38], v[37:38], v[55:56], 1.0
	v_lshlrev_b64 v[55:56], 3, v[0:1]
	v_add_nc_u32_e32 v0, s33, v0
	v_cndmask_b32_e64 v20, 0, v20, s0
	v_fma_f64 v[57:58], v[49:50], v[57:58], s[22:23]
	v_mul_f64 v[29:30], v[27:28], s[12:13]
	v_cmp_ngt_f64_e64 s0, 0xc090cc00, v[14:15]
	v_add_co_u32 v6, s1, s10, v55
	v_lshlrev_b64 v[54:55], 3, v[0:1]
	v_add_co_ci_u32_e64 v7, null, s11, v56, s1
	v_add_nc_u32_e32 v0, s33, v0
	v_add_co_u32 v54, s1, s10, v54
	v_add_co_ci_u32_e64 v55, null, s11, v55, s1
	v_cmp_nlt_f64_e64 s1, 0x40900000, v[18:19]
	v_cndmask_b32_e32 v19, 0, v53, vcc_lo
	v_fma_f64 v[35:36], v[43:44], v[47:48], s[20:21]
	v_ldexp_f64 v[37:38], v[37:38], v17
	v_mov_b32_e32 v17, s76
	v_mov_b32_e32 v18, s77
	global_store_dwordx2 v[31:32], v[19:20], off
	v_fma_f64 v[47:48], v[49:50], v[57:58], s[24:25]
	v_fma_f64 v[31:32], v[4:5], s[4:5], s[72:73]
	v_lshlrev_b64 v[56:57], 3, v[0:1]
	v_add_nc_u32_e32 v0, s33, v0
	v_rndne_f64_e32 v[25:26], v[29:30]
	v_mov_b32_e32 v19, s62
	v_mov_b32_e32 v20, s63
	global_store_dwordx2 v[23:24], v[10:11], off
	v_lshlrev_b64 v[58:59], 3, v[0:1]
	v_add_nc_u32_e32 v0, s33, v0
	v_mov_b32_e32 v53, 0xdc00000
	s_mov_b32 s63, 0xc0af7377
	s_mov_b32 s62, s50
	;; [unrolled: 1-line block ×4, first 2 shown]
	v_cndmask_b32_e64 v60, 0x7ff00000, v46, s1
	v_add_co_u32 v46, vcc_lo, s10, v56
	v_fma_f64 v[29:30], v[43:44], v[35:36], s[22:23]
	s_and_b32 s1, s2, s1
	v_cndmask_b32_e64 v61, 0, v60, s2
	v_cndmask_b32_e64 v60, 0, v45, s1
	v_fma_f64 v[35:36], v[49:50], v[47:48], s[34:35]
	v_add_co_ci_u32_e64 v47, null, s11, v57, vcc_lo
	v_add_co_u32 v56, vcc_lo, s10, v58
	v_add_co_ci_u32_e64 v57, null, s11, v59, vcc_lo
	v_cmp_nlt_f64_e32 vcc_lo, 0x40900000, v[14:15]
	v_fma_f64 v[14:15], v[2:3], s[66:67], v[31:32]
	global_store_dwordx2 v[21:22], v[60:61], off
	v_fma_f64 v[21:22], v[25:26], s[6:7], v[27:28]
	v_lshlrev_b64 v[58:59], 3, v[0:1]
	v_add_nc_u32_e32 v0, s33, v0
	global_store_dwordx2 v[6:7], v[19:20], off
	v_mov_b32_e32 v48, 0x42cfd512
	s_mov_b32 s2, 0xab367a10
	s_mov_b32 s3, 0xc0d3a82a
	v_lshlrev_b64 v[23:24], 3, v[0:1]
	v_fma_f64 v[29:30], v[43:44], v[29:30], s[24:25]
	v_add_nc_u32_e32 v0, s33, v0
	s_mov_b32 s67, 0xc0a54ede
	s_mov_b32 s66, 0x61cffeb0
	v_fma_f64 v[31:32], v[49:50], v[35:36], s[30:31]
	v_add_co_u32 v35, s1, s10, v58
	v_lshlrev_b64 v[60:61], 3, v[0:1]
	v_add_nc_u32_e32 v0, s33, v0
	v_add_co_ci_u32_e64 v36, null, s11, v59, s1
	v_cndmask_b32_e32 v38, 0x7ff00000, v38, vcc_lo
	v_mul_f64 v[6:7], v[14:15], s[12:13]
	s_and_b32 vcc_lo, s0, vcc_lo
	v_add_co_u32 v23, s1, s10, v23
	v_cndmask_b32_e64 v38, 0, v38, s0
	v_cndmask_b32_e32 v37, 0, v37, vcc_lo
	v_mov_b32_e32 v58, s64
	v_mov_b32_e32 v59, s65
	v_add_co_ci_u32_e64 v24, null, s11, v24, s1
	global_store_dwordx2 v[54:55], v[17:18], off
	global_store_dwordx2 v[46:47], v[37:38], off
	global_store_dwordx2 v[56:57], v[12:13], off
	global_store_dwordx2 v[35:36], v[58:59], off
	global_store_dwordx2 v[23:24], v[58:59], off
	v_lshlrev_b64 v[23:24], 3, v[0:1]
	v_fma_f64 v[29:30], v[43:44], v[29:30], s[34:35]
	v_add_nc_u32_e32 v0, s33, v0
	v_fma_f64 v[35:36], v[49:50], v[31:32], s[28:29]
	v_fma_f64 v[31:32], v[25:26], s[8:9], v[21:22]
	v_add_co_u32 v21, vcc_lo, s10, v60
	v_add_co_ci_u32_e64 v22, null, s11, v61, vcc_lo
	v_add_co_u32 v37, vcc_lo, s10, v23
	v_add_co_ci_u32_e64 v38, null, s11, v24, vcc_lo
	v_rndne_f64_e32 v[23:24], v[6:7]
	v_lshlrev_b64 v[45:46], 3, v[0:1]
	v_add_nc_u32_e32 v0, s33, v0
	v_mov_b32_e32 v54, 0x42b97742
	v_mov_b32_e32 v47, 0x91300000
	global_store_dwordx2 v[21:22], v[12:13], off
	global_store_dwordx2 v[37:38], v[47:48], off
	v_lshlrev_b64 v[6:7], 3, v[0:1]
	v_add_co_u32 v45, vcc_lo, s10, v45
	v_add_co_ci_u32_e64 v46, null, s11, v46, vcc_lo
	v_fma_f64 v[29:30], v[43:44], v[29:30], s[30:31]
	v_add_co_u32 v57, vcc_lo, s10, v6
	v_add_co_ci_u32_e64 v58, null, s11, v7, vcc_lo
	v_mov_b32_e32 v6, 0x79800000
	v_mov_b32_e32 v7, 0x42a5d3ef
	v_fma_f64 v[55:56], v[31:32], s[16:17], s[14:15]
	global_store_dwordx2 v[45:46], v[53:54], off
	global_store_dwordx2 v[57:58], v[6:7], off
	v_fma_f64 v[45:46], v[23:24], s[6:7], v[14:15]
	v_add_nc_u32_e32 v0, s33, v0
	s_mov_b32 s0, 0x843a8cc4
	s_mov_b32 s1, 0x40401e3b
	v_fma_f64 v[35:36], v[49:50], v[35:36], s[26:27]
	v_fma_f64 v[37:38], v[2:3], s[2:3], s[0:1]
	v_lshlrev_b64 v[21:22], 3, v[0:1]
	v_add_nc_u32_e32 v0, s33, v0
	v_mov_b32_e32 v54, 0x42997742
	v_cvt_i32_f64_e32 v7, v[51:52]
	v_cmp_ngt_f64_e64 s0, 0xc090cc00, v[33:34]
	v_fma_f64 v[29:30], v[43:44], v[29:30], s[28:29]
	v_add_co_u32 v21, vcc_lo, s10, v21
	v_add_co_ci_u32_e64 v22, null, s11, v22, vcc_lo
	v_lshlrev_b64 v[47:48], 3, v[0:1]
	v_add_nc_u32_e32 v0, s33, v0
	v_fma_f64 v[55:56], v[31:32], v[55:56], s[18:19]
	global_store_dwordx2 v[21:22], v[12:13], off
	s_mov_b32 s2, 0x5e39713b
	s_mov_b32 s3, 0x40703281
	v_fma_f64 v[57:58], v[23:24], s[8:9], v[45:46]
	v_lshlrev_b64 v[21:22], 3, v[0:1]
	v_add_co_u32 v47, vcc_lo, s10, v47
	v_add_co_ci_u32_e64 v48, null, s11, v48, vcc_lo
	v_fma_f64 v[35:36], v[49:50], v[35:36], 1.0
	v_add_co_u32 v45, vcc_lo, s10, v21
	v_add_co_ci_u32_e64 v46, null, s11, v22, vcc_lo
	v_mov_b32_e32 v21, 0x9b200000
	v_mov_b32_e32 v22, 0x42a05ef3
	v_fma_f64 v[29:30], v[43:44], v[29:30], s[26:27]
	v_add_nc_u32_e32 v0, s33, v0
	s_mov_b32 s72, s48
	s_mov_b32 s65, 0x42cb48eb
	global_store_dwordx2 v[47:48], v[21:22], off
	v_fma_f64 v[51:52], v[31:32], v[55:56], s[20:21]
	v_mul_f64 v[47:48], v[37:38], s[12:13]
	global_store_dwordx2 v[45:46], v[53:54], off
	v_mul_f64 v[45:46], v[2:3], s[62:63]
	v_fma_f64 v[54:55], v[57:58], s[16:17], s[14:15]
	v_cvt_i32_f64_e32 v22, v[41:42]
	s_mov_b32 s5, 0x3ff6e147
	v_fma_f64 v[35:36], v[49:50], v[35:36], 1.0
	v_lshlrev_b64 v[49:50], 3, v[0:1]
	v_add_nc_u32_e32 v0, s33, v0
	v_fma_f64 v[29:30], v[43:44], v[29:30], 1.0
	v_add_co_u32 v49, vcc_lo, s10, v49
	v_add_co_ci_u32_e64 v50, null, s11, v50, vcc_lo
	v_fma_f64 v[51:52], v[31:32], v[51:52], s[22:23]
	v_rndne_f64_e32 v[47:48], v[47:48]
	v_cmp_nlt_f64_e32 vcc_lo, 0x40900000, v[33:34]
	v_fma_f64 v[54:55], v[57:58], v[54:55], s[18:19]
	v_ldexp_f64 v[35:36], v[35:36], v7
	v_fma_f64 v[29:30], v[43:44], v[29:30], 1.0
	v_mul_f64 v[43:44], v[45:46], s[12:13]
	v_fma_f64 v[33:34], v[31:32], v[51:52], s[24:25]
	v_fma_f64 v[41:42], v[47:48], s[6:7], v[37:38]
	;; [unrolled: 1-line block ×3, first 2 shown]
	v_mov_b32_e32 v54, 0x42a97742
	global_store_dwordx2 v[49:50], v[53:54], off
	v_lshlrev_b64 v[49:50], 3, v[0:1]
	v_cndmask_b32_e32 v7, 0x7ff00000, v36, vcc_lo
	s_and_b32 vcc_lo, s0, vcc_lo
	v_add_nc_u32_e32 v0, s33, v0
	v_cndmask_b32_e32 v35, 0, v35, vcc_lo
	v_add_co_u32 v49, vcc_lo, s10, v49
	v_cndmask_b32_e64 v36, 0, v7, s0
	v_add_co_ci_u32_e64 v50, null, s11, v50, vcc_lo
	v_fma_f64 v[55:56], v[31:32], v[33:34], s[34:35]
	v_fma_f64 v[41:42], v[47:48], s[8:9], v[41:42]
	v_rndne_f64_e32 v[33:34], v[43:44]
	v_cmp_nlt_f64_e32 vcc_lo, 0x40900000, v[39:40]
	v_fma_f64 v[43:44], v[57:58], v[51:52], s[22:23]
	v_cmp_ngt_f64_e64 s0, 0xc090cc00, v[39:40]
	v_ldexp_f64 v[29:30], v[29:30], v22
	global_store_dwordx2 v[49:50], v[35:36], off
	v_fma_f64 v[39:40], v[31:32], v[55:56], s[30:31]
	v_fma_f64 v[51:52], v[41:42], s[16:17], s[14:15]
	;; [unrolled: 1-line block ×4, first 2 shown]
	v_cndmask_b32_e32 v7, 0x7ff00000, v30, vcc_lo
	s_and_b32 vcc_lo, s0, vcc_lo
	v_cndmask_b32_e32 v55, 0, v29, vcc_lo
	v_cndmask_b32_e64 v56, 0, v7, s0
	s_mov_b32 s0, 0x79f30b25
	s_mov_b32 s1, 0x40401720
	v_cvt_i32_f64_e32 v7, v[25:26]
	v_fma_f64 v[29:30], v[2:3], s[2:3], s[0:1]
	s_mov_b32 s0, 0xd6e3a704
	s_mov_b32 s1, 0x40428a49
	;; [unrolled: 1-line block ×4, first 2 shown]
	v_fma_f64 v[39:40], v[31:32], v[39:40], s[28:29]
	v_fma_f64 v[51:52], v[41:42], v[51:52], s[18:19]
	;; [unrolled: 1-line block ×7, first 2 shown]
	v_lshlrev_b64 v[51:52], 3, v[0:1]
	v_fma_f64 v[43:44], v[57:58], v[43:44], s[30:31]
	v_add_nc_u32_e32 v0, s33, v0
	v_add_co_u32 v51, vcc_lo, s10, v51
	v_add_co_ci_u32_e64 v52, null, s11, v52, vcc_lo
	v_cmp_nlt_f64_e32 vcc_lo, 0x40900000, v[27:28]
	global_store_dwordx2 v[51:52], v[55:56], off
	v_fma_f64 v[35:36], v[31:32], v[35:36], 1.0
	v_fma_f64 v[39:40], v[41:42], v[39:40], s[22:23]
	v_fma_f64 v[49:50], v[53:54], v[49:50], s[18:19]
	;; [unrolled: 1-line block ×3, first 2 shown]
	v_fma_f64 v[31:32], v[31:32], v[35:36], 1.0
	v_fma_f64 v[39:40], v[41:42], v[39:40], s[24:25]
	v_fma_f64 v[49:50], v[53:54], v[49:50], s[20:21]
	;; [unrolled: 1-line block ×3, first 2 shown]
	v_mul_f64 v[43:44], v[29:30], s[12:13]
	v_fma_f64 v[25:26], v[41:42], v[39:40], s[34:35]
	v_fma_f64 v[49:50], v[53:54], v[49:50], s[22:23]
	v_fma_f64 v[35:36], v[57:58], v[35:36], 1.0
	v_rndne_f64_e32 v[39:40], v[43:44]
	v_ldexp_f64 v[43:44], v[31:32], v7
	v_fma_f64 v[31:32], v[4:5], s[44:45], s[0:1]
	s_mov_b32 s0, 0x69b5a640
	s_mov_b32 s1, 0xc068176c
	v_cvt_i32_f64_e32 v7, v[23:24]
	s_mov_b32 s45, 0x3fdc28f5
	v_fma_f64 v[25:26], v[41:42], v[25:26], s[30:31]
	v_fma_f64 v[49:50], v[53:54], v[49:50], s[24:25]
	v_fma_f64 v[35:36], v[57:58], v[35:36], 1.0
	v_fma_f64 v[57:58], v[39:40], s[6:7], v[29:30]
	v_cndmask_b32_e32 v44, 0x7ff00000, v44, vcc_lo
	v_fma_f64 v[31:32], v[2:3], s[0:1], v[31:32]
	v_cmp_ngt_f64_e64 s0, 0xc090cc00, v[27:28]
	v_cvt_i32_f64_e32 v28, v[47:48]
	v_cmp_nlt_f64_e64 s1, 0x40900000, v[37:38]
	v_fma_f64 v[25:26], v[41:42], v[25:26], s[28:29]
	v_fma_f64 v[49:50], v[53:54], v[49:50], s[34:35]
	v_ldexp_f64 v[55:56], v[35:36], v7
	v_fma_f64 v[57:58], v[39:40], s[8:9], v[57:58]
	v_mul_f64 v[22:23], v[31:32], s[12:13]
	s_and_b32 vcc_lo, s0, vcc_lo
	v_fma_f64 v[24:25], v[41:42], v[25:26], s[26:27]
	v_fma_f64 v[49:50], v[53:54], v[49:50], s[30:31]
	v_lshlrev_b64 v[26:27], 3, v[0:1]
	v_add_nc_u32_e32 v0, s33, v0
	v_fma_f64 v[51:52], v[57:58], s[16:17], s[14:15]
	v_rndne_f64_e32 v[35:36], v[22:23]
	v_fma_f64 v[22:23], v[41:42], v[24:25], 1.0
	v_fma_f64 v[24:25], v[53:54], v[49:50], s[28:29]
	v_cndmask_b32_e32 v49, 0, v43, vcc_lo
	v_add_co_u32 v59, vcc_lo, s10, v26
	v_fma_f64 v[51:52], v[57:58], v[51:52], s[18:19]
	v_cndmask_b32_e64 v50, 0, v44, s0
	v_add_co_ci_u32_e64 v60, null, s11, v27, vcc_lo
	v_cmp_nlt_f64_e32 vcc_lo, 0x40900000, v[14:15]
	v_cmp_ngt_f64_e64 s0, 0xc090cc00, v[14:15]
	v_fma_f64 v[14:15], v[35:36], s[6:7], v[31:32]
	global_store_dwordx2 v[59:60], v[49:50], off
	v_fma_f64 v[22:23], v[41:42], v[22:23], 1.0
	v_fma_f64 v[24:25], v[53:54], v[24:25], s[26:27]
	v_fma_f64 v[41:42], v[4:5], s[68:69], s[2:3]
	v_cmp_ngt_f64_e64 s2, 0xc090cc00, v[37:38]
	v_fma_f64 v[26:27], v[57:58], v[51:52], s[20:21]
	v_cndmask_b32_e32 v7, 0x7ff00000, v56, vcc_lo
	s_and_b32 vcc_lo, s0, vcc_lo
	v_fma_f64 v[43:44], v[35:36], s[8:9], v[14:15]
	v_ldexp_f64 v[22:23], v[22:23], v28
	v_fma_f64 v[14:15], v[53:54], v[24:25], 1.0
	v_fma_f64 v[24:25], v[2:3], s[66:67], v[41:42]
	v_cvt_i32_f64_e32 v28, v[33:34]
	s_mov_b32 s67, 0xc0b54ede
	v_fma_f64 v[26:27], v[57:58], v[26:27], s[22:23]
	v_fma_f64 v[41:42], v[43:44], s[16:17], s[14:15]
	v_cndmask_b32_e64 v23, 0x7ff00000, v23, s1
	v_fma_f64 v[14:15], v[53:54], v[14:15], 1.0
	v_mul_f64 v[47:48], v[24:25], s[12:13]
	v_fma_f64 v[26:27], v[57:58], v[26:27], s[24:25]
	v_cndmask_b32_e64 v23, 0, v23, s2
	v_fma_f64 v[41:42], v[43:44], v[41:42], s[18:19]
	v_fma_f64 v[51:52], v[57:58], v[26:27], s[34:35]
	v_rndne_f64_e32 v[26:27], v[47:48]
	v_fma_f64 v[41:42], v[43:44], v[41:42], s[20:21]
	v_fma_f64 v[33:34], v[57:58], v[51:52], s[30:31]
	;; [unrolled: 1-line block ×3, first 2 shown]
	v_ldexp_f64 v[51:52], v[14:15], v28
	v_fma_f64 v[47:48], v[43:44], v[41:42], s[22:23]
	v_fma_f64 v[14:15], v[57:58], v[33:34], s[28:29]
	;; [unrolled: 1-line block ×3, first 2 shown]
	v_lshlrev_b64 v[37:38], 3, v[0:1]
	v_cndmask_b32_e32 v33, 0, v55, vcc_lo
	v_cndmask_b32_e64 v34, 0, v7, s0
	v_cmp_ngt_f64_e64 s0, 0xc090cc00, v[45:46]
	v_fma_f64 v[47:48], v[43:44], v[47:48], s[24:25]
	v_add_nc_u32_e32 v0, s33, v0
	v_add_co_u32 v37, vcc_lo, s10, v37
	v_add_co_ci_u32_e64 v38, null, s11, v38, vcc_lo
	s_and_b32 vcc_lo, s2, s1
	s_mov_b32 s2, 0x20ecdf9
	v_cndmask_b32_e32 v22, 0, v22, vcc_lo
	v_cmp_nlt_f64_e32 vcc_lo, 0x40900000, v[45:46]
	s_mov_b32 s3, 0x403f0f3c
	v_lshlrev_b64 v[49:50], 3, v[0:1]
	global_store_dwordx2 v[37:38], v[33:34], off
	v_add_nc_u32_e32 v0, s33, v0
	v_fma_f64 v[45:46], v[57:58], v[14:15], s[26:27]
	v_fma_f64 v[14:15], v[2:3], s[42:43], s[2:3]
	v_add_co_u32 v49, s1, s10, v49
	v_add_co_ci_u32_e64 v50, null, s11, v50, s1
	v_fma_f64 v[47:48], v[43:44], v[47:48], s[34:35]
	s_mov_b32 s2, 0xcb6848bf
	s_mov_b32 s3, 0xc0b192c1
	global_store_dwordx2 v[49:50], v[22:23], off
	v_lshlrev_b64 v[37:38], 3, v[0:1]
	s_mov_b32 s43, 0xbfaeb851
	v_cndmask_b32_e32 v7, 0x7ff00000, v52, vcc_lo
	v_fma_f64 v[52:53], v[41:42], s[16:17], s[14:15]
	s_and_b32 vcc_lo, s0, vcc_lo
	v_cndmask_b32_e32 v54, 0, v51, vcc_lo
	v_cndmask_b32_e64 v55, 0, v7, s0
	s_mov_b32 s0, 0x72dae8ef
	v_fma_f64 v[45:46], v[57:58], v[45:46], 1.0
	v_mul_f64 v[59:60], v[14:15], s[12:13]
	s_mov_b32 s1, 0x40384e89
	v_mul_f64 v[33:34], v[54:55], s[76:77]
	v_cvt_i32_f64_e32 v7, v[39:40]
	v_fma_f64 v[22:23], v[2:3], s[2:3], s[0:1]
	v_fma_f64 v[47:48], v[43:44], v[47:48], s[30:31]
	v_add_co_u32 v37, vcc_lo, s10, v37
	v_add_co_ci_u32_e64 v38, null, s11, v38, vcc_lo
	s_mov_b32 s0, 0xc882bb31
	s_mov_b32 s1, 0x4024367d
	;; [unrolled: 1-line block ×5, first 2 shown]
	v_fma_f64 v[52:53], v[41:42], v[52:53], s[18:19]
	v_fma_f64 v[45:46], v[57:58], v[45:46], 1.0
	v_rndne_f64_e32 v[39:40], v[59:60]
	v_fma_f64 v[58:59], v[4:5], s[74:75], s[0:1]
	global_store_dwordx2 v[37:38], v[33:34], off
	v_cmp_ngt_f64_e64 s0, 0xc090cc00, v[29:30]
	s_mov_b32 s75, 0x3ff9c28f
	v_fma_f64 v[47:48], v[43:44], v[47:48], s[28:29]
	v_fma_f64 v[49:50], v[41:42], v[52:53], s[20:21]
	v_mad_u64_u32 v[51:52], null, s33, 51, v[0:1]
	v_mov_b32_e32 v52, v1
	v_ldexp_f64 v[56:57], v[45:46], v7
	v_lshlrev_b64 v[52:53], 3, v[51:52]
	v_add_nc_u32_e32 v0, s37, v51
	v_fma_f64 v[45:46], v[43:44], v[47:48], s[26:27]
	v_mul_f64 v[47:48], v[22:23], s[12:13]
	v_add_co_u32 v37, vcc_lo, s10, v52
	v_add_co_ci_u32_e64 v38, null, s11, v53, vcc_lo
	v_mul_f64 v[52:53], v[54:55], s[70:71]
	v_cmp_nlt_f64_e32 vcc_lo, 0x40900000, v[29:30]
	v_mul_f64 v[54:55], v[54:55], s[72:73]
	v_fma_f64 v[33:34], v[41:42], v[49:50], s[22:23]
	v_fma_f64 v[49:50], v[39:40], s[6:7], v[14:15]
	s_mov_b32 s71, 0x42d6bcc4
	v_fma_f64 v[28:29], v[43:44], v[45:46], 1.0
	v_rndne_f64_e32 v[45:46], v[47:48]
	v_mad_u64_u32 v[47:48], null, 0xffffffcc, s33, v[0:1]
	v_mov_b32_e32 v48, v1
	global_store_dwordx2 v[37:38], v[52:53], off
	v_lshlrev_b64 v[37:38], 3, v[0:1]
	v_cndmask_b32_e32 v7, 0x7ff00000, v57, vcc_lo
	v_fma_f64 v[60:61], v[41:42], v[33:34], s[24:25]
	v_fma_f64 v[62:63], v[39:40], s[8:9], v[49:50]
	;; [unrolled: 1-line block ×3, first 2 shown]
	s_and_b32 vcc_lo, s0, vcc_lo
	v_add_co_u32 v37, s1, s10, v37
	v_add_co_ci_u32_e64 v38, null, s11, v38, s1
	v_cndmask_b32_e32 v53, 0, v56, vcc_lo
	v_lshlrev_b64 v[51:52], 3, v[47:48]
	v_cvt_i32_f64_e32 v0, v[35:36]
	global_store_dwordx2 v[37:38], v[54:55], off
	v_fma_f64 v[28:29], v[43:44], v[28:29], 1.0
	v_fma_f64 v[43:44], v[45:46], s[6:7], v[22:23]
	v_cndmask_b32_e64 v54, 0, v7, s0
	v_add_co_u32 v51, vcc_lo, s10, v51
	v_add_co_ci_u32_e64 v52, null, s11, v52, vcc_lo
	v_cmp_nlt_f64_e32 vcc_lo, 0x40900000, v[31:32]
	s_mov_b32 s2, 0x156da575
	s_mov_b32 s3, 0x40203727
	v_fma_f64 v[49:50], v[41:42], v[60:61], s[34:35]
	v_fma_f64 v[37:38], v[62:63], s[16:17], s[14:15]
	v_mul_f64 v[55:56], v[33:34], s[12:13]
	global_store_dwordx2 v[51:52], v[53:54], off
	v_cmp_ngt_f64_e64 s0, 0xc090cc00, v[31:32]
	v_ldexp_f64 v[28:29], v[28:29], v0
	v_add_nc_u32_e32 v0, s33, v47
	v_fma_f64 v[57:58], v[41:42], v[49:50], s[30:31]
	v_fma_f64 v[59:60], v[62:63], v[37:38], s[18:19]
	v_fma_f64 v[49:50], v[45:46], s[8:9], v[43:44]
	v_rndne_f64_e32 v[37:38], v[55:56]
	v_cndmask_b32_e32 v7, 0x7ff00000, v29, vcc_lo
	s_and_b32 vcc_lo, s0, vcc_lo
	v_cndmask_b32_e32 v47, 0, v28, vcc_lo
	v_cvt_i32_f64_e32 v28, v[39:40]
	v_cndmask_b32_e64 v48, 0, v7, s0
	v_cmp_ngt_f64_e64 s0, 0xc090cc00, v[24:25]
	v_fma_f64 v[43:44], v[41:42], v[57:58], s[28:29]
	v_fma_f64 v[55:56], v[62:63], v[59:60], s[20:21]
	;; [unrolled: 1-line block ×8, first 2 shown]
	v_fma_f64 v[51:52], v[41:42], v[53:54], 1.0
	v_fma_f64 v[53:54], v[62:63], v[55:56], s[24:25]
	v_fma_f64 v[29:30], v[49:50], v[35:36], s[20:21]
	;; [unrolled: 1-line block ×4, first 2 shown]
	s_mov_b32 s2, 0x7f23cc9
	s_mov_b32 s3, 0xc0a709b3
	v_cvt_i32_f64_e32 v55, v[26:27]
	s_mov_b32 s59, 0x3fb99999
	s_mov_b32 s58, s68
	v_fma_f64 v[41:42], v[41:42], v[51:52], 1.0
	v_fma_f64 v[51:52], v[62:63], v[53:54], s[34:35]
	v_fma_f64 v[53:54], v[49:50], v[29:30], s[22:23]
	;; [unrolled: 1-line block ×4, first 2 shown]
	s_mov_b32 s2, 0x52502ef
	s_mov_b32 s3, 0x4071ed56
	v_fma_f64 v[35:36], v[62:63], v[51:52], s[30:31]
	v_fma_f64 v[51:52], v[49:50], v[53:54], s[24:25]
	;; [unrolled: 1-line block ×3, first 2 shown]
	v_mul_f64 v[26:27], v[29:30], s[12:13]
	v_fma_f64 v[53:54], v[62:63], v[35:36], s[28:29]
	v_fma_f64 v[51:52], v[49:50], v[51:52], s[34:35]
	v_fma_f64 v[31:32], v[43:44], v[31:32], s[22:23]
	v_rndne_f64_e32 v[35:36], v[26:27]
	v_fma_f64 v[26:27], v[62:63], v[53:54], s[26:27]
	v_ldexp_f64 v[53:54], v[41:42], v55
	v_fma_f64 v[51:52], v[49:50], v[51:52], s[30:31]
	v_fma_f64 v[31:32], v[43:44], v[31:32], s[24:25]
	;; [unrolled: 1-line block ×3, first 2 shown]
	v_lshlrev_b64 v[41:42], 3, v[0:1]
	v_add_nc_u32_e32 v0, s33, v0
	v_add_co_u32 v41, vcc_lo, s10, v41
	v_add_co_ci_u32_e64 v42, null, s11, v42, vcc_lo
	v_cmp_nlt_f64_e32 vcc_lo, 0x40900000, v[24:25]
	global_store_dwordx2 v[41:42], v[47:48], off
	v_lshlrev_b64 v[41:42], 3, v[0:1]
	v_add_nc_u32_e32 v0, s33, v0
	v_fma_f64 v[26:27], v[62:63], v[26:27], 1.0
	v_fma_f64 v[47:48], v[49:50], v[51:52], s[28:29]
	v_add_co_u32 v24, s1, s10, v41
	v_add_co_ci_u32_e64 v25, null, s11, v42, s1
	v_fma_f64 v[51:52], v[43:44], v[31:32], s[34:35]
	v_fma_f64 v[41:42], v[35:36], s[8:9], v[55:56]
	v_mul_f64 v[31:32], v[2:3], s[2:3]
	v_mov_b32_e32 v55, 0x42d32ae7
	s_mov_b32 s2, 0x70a3d70a
	s_mov_b32 s3, 0xbfef0a3d
	v_lshlrev_b64 v[39:40], 3, v[0:1]
	v_add_nc_u32_e32 v0, s33, v0
	v_cndmask_b32_e32 v7, 0x7ff00000, v54, vcc_lo
	v_mov_b32_e32 v54, 0xe37e0000
	s_and_b32 vcc_lo, s0, vcc_lo
	v_cndmask_b32_e32 v53, 0, v53, vcc_lo
	v_add_co_u32 v39, vcc_lo, s10, v39
	global_store_dwordx2 v[24:25], v[54:55], off
	v_cndmask_b32_e64 v54, 0, v7, s0
	s_mov_b32 s0, 0x22eae693
	s_mov_b32 s1, 0x4042cbe0
	v_fma_f64 v[26:27], v[62:63], v[26:27], 1.0
	v_fma_f64 v[24:25], v[49:50], v[47:48], s[26:27]
	v_fma_f64 v[57:58], v[4:5], s[2:3], s[0:1]
	;; [unrolled: 1-line block ×4, first 2 shown]
	v_mul_f64 v[55:56], v[31:32], s[12:13]
	s_mov_b32 s0, 0xcac4b4d0
	s_mov_b32 s1, 0xc0737fe8
	v_add_co_ci_u32_e64 v40, null, s11, v40, vcc_lo
	v_cvt_i32_f64_e32 v7, v[45:46]
	s_mov_b32 s2, 0x84988095
	s_mov_b32 s3, 0x403d3d0b
	global_store_dwordx2 v[39:40], v[53:54], off
	v_lshlrev_b64 v[39:40], 3, v[0:1]
	v_add_nc_u32_e32 v0, s33, v0
	v_add_co_u32 v39, vcc_lo, s10, v39
	v_ldexp_f64 v[27:28], v[26:27], v28
	v_fma_f64 v[59:60], v[49:50], v[24:25], 1.0
	v_fma_f64 v[25:26], v[2:3], s[0:1], v[57:58]
	v_fma_f64 v[61:62], v[43:44], v[47:48], s[28:29]
	;; [unrolled: 1-line block ×3, first 2 shown]
	v_rndne_f64_e32 v[47:48], v[55:56]
	v_add_co_ci_u32_e64 v40, null, s11, v40, vcc_lo
	v_cmp_nlt_f64_e32 vcc_lo, 0x40900000, v[14:15]
	v_cmp_ngt_f64_e64 s0, 0xc090cc00, v[14:15]
	v_mov_b32_e32 v14, 0x2a740000
	v_mov_b32_e32 v15, 0x42b6bf18
	global_store_dwordx2 v[39:40], v[14:15], off
	v_fma_f64 v[49:50], v[49:50], v[59:60], 1.0
	v_mul_f64 v[55:56], v[25:26], s[12:13]
	v_fma_f64 v[45:46], v[43:44], v[61:62], s[26:27]
	v_fma_f64 v[51:52], v[41:42], v[51:52], s[20:21]
	;; [unrolled: 1-line block ×3, first 2 shown]
	v_cndmask_b32_e32 v24, 0x7ff00000, v28, vcc_lo
	s_and_b32 vcc_lo, s0, vcc_lo
	v_cndmask_b32_e32 v57, 0, v27, vcc_lo
	v_cndmask_b32_e64 v58, 0, v24, s0
	v_cmp_ngt_f64_e64 s0, 0xc090cc00, v[22:23]
	v_cvt_i32_f64_e32 v24, v[37:38]
	v_ldexp_f64 v[14:15], v[49:50], v7
	v_rndne_f64_e32 v[49:50], v[55:56]
	v_fma_f64 v[39:40], v[43:44], v[45:46], 1.0
	v_fma_f64 v[45:46], v[41:42], v[51:52], s[22:23]
	v_fma_f64 v[51:52], v[47:48], s[8:9], v[53:54]
	;; [unrolled: 1-line block ×3, first 2 shown]
	v_lshlrev_b64 v[55:56], 3, v[0:1]
	s_mov_b32 s2, 0xc0053e2d
	s_mov_b32 s3, 0xc0b4d618
	v_add_nc_u32_e32 v0, s33, v0
	s_mov_b32 s59, 0x401e6666
	s_mov_b32 s58, 0x66666666
	v_add_co_u32 v55, vcc_lo, s10, v55
	v_add_co_ci_u32_e64 v56, null, s11, v56, vcc_lo
	v_cmp_nlt_f64_e32 vcc_lo, 0x40900000, v[22:23]
	v_lshlrev_b64 v[37:38], 3, v[0:1]
	v_add_nc_u32_e32 v0, s33, v0
	global_store_dwordx2 v[55:56], v[57:58], off
	v_lshlrev_b64 v[55:56], 3, v[0:1]
	v_fma_f64 v[22:23], v[43:44], v[39:40], 1.0
	v_fma_f64 v[39:40], v[41:42], v[45:46], s[24:25]
	v_fma_f64 v[45:46], v[49:50], s[6:7], v[25:26]
	;; [unrolled: 1-line block ×4, first 2 shown]
	v_add_nc_u32_e32 v0, s33, v0
	s_mov_b32 s2, 0xbaef54b7
	s_mov_b32 s3, 0x40344ec8
	v_lshlrev_b64 v[57:58], 3, v[0:1]
	v_add_nc_u32_e32 v0, s33, v0
	v_cndmask_b32_e32 v7, 0x7ff00000, v15, vcc_lo
	s_and_b32 vcc_lo, s0, vcc_lo
	v_cndmask_b32_e32 v14, 0, v14, vcc_lo
	v_add_co_u32 v37, vcc_lo, s10, v37
	v_cndmask_b32_e64 v15, 0, v7, s0
	v_add_co_ci_u32_e64 v38, null, s11, v38, vcc_lo
	v_fma_f64 v[39:40], v[41:42], v[39:40], s[34:35]
	v_fma_f64 v[53:54], v[49:50], s[8:9], v[45:46]
	v_mul_f64 v[45:46], v[27:28], s[12:13]
	v_fma_f64 v[43:44], v[51:52], v[43:44], s[18:19]
	v_add_co_u32 v55, vcc_lo, s10, v55
	global_store_dwordx2 v[37:38], v[14:15], off
	v_add_co_ci_u32_e64 v56, null, s11, v56, vcc_lo
	v_ldexp_f64 v[22:23], v[22:23], v24
	v_mov_b32_e32 v14, 0xa2000000
	v_mov_b32_e32 v15, 0x426d1a94
	v_mov_b32_e32 v24, 0x42a85fdc
	v_cmp_ngt_f64_e64 s0, 0xc090cc00, v[33:34]
	global_store_dwordx2 v[55:56], v[14:15], off
	v_cvt_i32_f64_e32 v15, v[47:48]
	v_fma_f64 v[47:48], v[4:5], s[78:79], s[2:3]
	v_cmp_ngt_f64_e64 s2, 0xc090cc00, v[31:32]
	v_fma_f64 v[39:40], v[41:42], v[39:40], s[30:31]
	v_fma_f64 v[59:60], v[53:54], s[16:17], s[14:15]
	v_rndne_f64_e32 v[37:38], v[45:46]
	v_add_co_u32 v45, vcc_lo, s10, v57
	v_add_co_ci_u32_e64 v46, null, s11, v58, vcc_lo
	v_cmp_nlt_f64_e32 vcc_lo, 0x40900000, v[33:34]
	v_fma_f64 v[43:44], v[51:52], v[43:44], s[20:21]
	v_cndmask_b32_e32 v7, 0x7ff00000, v23, vcc_lo
	v_mov_b32_e32 v23, 0x7ae00000
	v_fma_f64 v[33:34], v[51:52], v[43:44], s[22:23]
	v_fma_f64 v[43:44], v[37:38], s[6:7], v[27:28]
	s_and_b32 vcc_lo, s0, vcc_lo
	v_cndmask_b32_e64 v56, 0, v7, s0
	global_store_dwordx2 v[45:46], v[23:24], off
	v_fma_f64 v[23:24], v[41:42], v[39:40], s[28:29]
	v_fma_f64 v[39:40], v[53:54], v[59:60], s[18:19]
	s_mov_b32 s0, 0x8d576bf8
	s_mov_b32 s1, 0xc03c7aca
	v_lshlrev_b64 v[45:46], 3, v[0:1]
	v_fma_f64 v[57:58], v[4:5], s[58:59], s[0:1]
	v_cndmask_b32_e32 v55, 0, v22, vcc_lo
	s_mov_b32 s0, 0x5b2d4d40
	s_mov_b32 s1, 0x409bc16b
	v_cvt_i32_f64_e32 v7, v[35:36]
	v_add_co_u32 v45, vcc_lo, s10, v45
	v_add_co_ci_u32_e64 v46, null, s11, v46, vcc_lo
	v_add_nc_u32_e32 v0, s33, v0
	s_mov_b32 s59, 0x3ffe6666
	v_fma_f64 v[33:34], v[51:52], v[33:34], s[24:25]
	v_fma_f64 v[43:44], v[37:38], s[8:9], v[43:44]
	global_store_dwordx2 v[45:46], v[55:56], off
	v_lshlrev_b64 v[45:46], 3, v[0:1]
	v_add_nc_u32_e32 v0, s33, v0
	v_fma_f64 v[22:23], v[41:42], v[23:24], s[26:27]
	v_fma_f64 v[39:40], v[53:54], v[39:40], s[20:21]
	v_add_co_u32 v45, vcc_lo, s10, v45
	v_add_co_ci_u32_e64 v46, null, s11, v46, vcc_lo
	global_store_dwordx2 v[45:46], v[12:13], off
	v_lshlrev_b64 v[45:46], 3, v[0:1]
	v_add_nc_u32_e32 v0, s33, v0
	v_fma_f64 v[55:56], v[51:52], v[33:34], s[34:35]
	v_fma_f64 v[59:60], v[43:44], s[16:17], s[14:15]
	;; [unrolled: 1-line block ×3, first 2 shown]
	v_cmp_ngt_f64_e64 s0, 0xc090cc00, v[29:30]
	v_cmp_nlt_f64_e64 s1, 0x40900000, v[31:32]
	v_fma_f64 v[22:23], v[41:42], v[22:23], 1.0
	v_fma_f64 v[39:40], v[53:54], v[39:40], s[22:23]
	v_fma_f64 v[55:56], v[51:52], v[55:56], s[30:31]
	;; [unrolled: 1-line block ×3, first 2 shown]
	v_mul_f64 v[35:36], v[33:34], s[12:13]
	v_fma_f64 v[22:23], v[41:42], v[22:23], 1.0
	v_fma_f64 v[39:40], v[53:54], v[39:40], s[24:25]
	v_fma_f64 v[41:42], v[51:52], v[55:56], s[28:29]
	;; [unrolled: 1-line block ×3, first 2 shown]
	v_ldexp_f64 v[59:60], v[22:23], v7
	v_fma_f64 v[55:56], v[53:54], v[39:40], s[34:35]
	v_rndne_f64_e32 v[39:40], v[35:36]
	v_add_co_u32 v22, vcc_lo, s10, v45
	v_add_co_ci_u32_e64 v23, null, s11, v46, vcc_lo
	v_mov_b32_e32 v35, 0x8d000000
	v_mov_b32_e32 v36, 0x429ed99d
	global_store_dwordx2 v[22:23], v[35:36], off
	v_lshlrev_b64 v[22:23], 3, v[0:1]
	v_add_nc_u32_e32 v0, s33, v0
	v_fma_f64 v[35:36], v[51:52], v[41:42], s[26:27]
	v_fma_f64 v[45:46], v[43:44], v[57:58], s[22:23]
	v_cvt_i32_f64_e32 v57, v[49:50]
	v_fma_f64 v[41:42], v[53:54], v[55:56], s[30:31]
	v_add_co_u32 v55, vcc_lo, s10, v22
	v_add_co_ci_u32_e64 v56, null, s11, v23, vcc_lo
	v_fma_f64 v[22:23], v[39:40], s[6:7], v[33:34]
	v_cmp_nlt_f64_e32 vcc_lo, 0x40900000, v[29:30]
	v_fma_f64 v[29:30], v[51:52], v[35:36], 1.0
	v_fma_f64 v[35:36], v[53:54], v[41:42], s[28:29]
	v_fma_f64 v[41:42], v[43:44], v[45:46], s[24:25]
	;; [unrolled: 1-line block ×3, first 2 shown]
	v_cndmask_b32_e32 v7, 0x7ff00000, v60, vcc_lo
	s_and_b32 vcc_lo, s0, vcc_lo
	v_fma_f64 v[29:30], v[51:52], v[29:30], 1.0
	v_fma_f64 v[22:23], v[53:54], v[35:36], s[26:27]
	v_fma_f64 v[35:36], v[43:44], v[41:42], s[34:35]
	;; [unrolled: 1-line block ×3, first 2 shown]
	v_ldexp_f64 v[29:30], v[29:30], v15
	v_fma_f64 v[51:52], v[53:54], v[22:23], 1.0
	v_fma_f64 v[35:36], v[43:44], v[35:36], s[30:31]
	v_fma_f64 v[23:24], v[2:3], s[66:67], v[47:48]
	v_mov_b32_e32 v22, 0x42b05ef3
	s_mov_b32 s67, 0x42a5d3ef
	v_fma_f64 v[41:42], v[45:46], v[41:42], s[18:19]
	s_mov_b32 s66, 0x79800000
	global_store_dwordx2 v[55:56], v[21:22], off
	v_fma_f64 v[55:56], 0x3ff80000, v[4:5], s[80:81]
	v_cndmask_b32_e32 v21, 0, v59, vcc_lo
	v_cndmask_b32_e64 v22, 0, v7, s0
	v_cvt_i32_f64_e32 v7, v[37:38]
	v_cndmask_b32_e64 v15, 0x7ff00000, v30, s1
	v_lshlrev_b64 v[30:31], 3, v[0:1]
	v_add_nc_u32_e32 v0, s33, v0
	v_cndmask_b32_e64 v58, 0, v15, s2
	v_fma_f64 v[47:48], v[53:54], v[51:52], 1.0
	v_fma_f64 v[35:36], v[43:44], v[35:36], s[28:29]
	v_mul_f64 v[51:52], v[23:24], s[12:13]
	v_lshlrev_b64 v[49:50], 3, v[0:1]
	v_add_co_u32 v30, vcc_lo, s10, v30
	v_fma_f64 v[41:42], v[45:46], v[41:42], s[20:21]
	v_add_co_ci_u32_e64 v31, null, s11, v31, vcc_lo
	v_add_co_u32 v49, vcc_lo, s10, v49
	v_add_co_ci_u32_e64 v50, null, s11, v50, vcc_lo
	s_and_b32 vcc_lo, s2, s1
	s_mov_b32 s0, 0xbaf88ef2
	s_mov_b32 s1, 0x40326bb1
	global_store_dwordx2 v[30:31], v[21:22], off
	global_store_dwordx2 v[49:50], v[19:20], off
	v_fma_f64 v[37:38], v[4:5], s[68:69], s[0:1]
	s_mov_b32 s0, 0xd0a67621
	s_mov_b32 s1, 0xc0b0e7a9
	v_add_nc_u32_e32 v0, s33, v0
	s_mov_b32 s2, 0xdd2f1aa0
	v_ldexp_f64 v[47:48], v[47:48], v57
	v_fma_f64 v[53:54], v[43:44], v[35:36], s[26:27]
	v_rndne_f64_e32 v[35:36], v[51:52]
	v_cndmask_b32_e32 v57, 0, v29, vcc_lo
	v_fma_f64 v[29:30], v[2:3], s[0:1], v[55:56]
	v_lshlrev_b64 v[21:22], 3, v[0:1]
	v_fma_f64 v[41:42], v[45:46], v[41:42], s[22:23]
	v_cmp_nlt_f64_e32 vcc_lo, 0x40900000, v[25:26]
	v_mul_f64 v[19:20], v[57:58], s[66:67]
	v_cmp_ngt_f64_e64 s0, 0xc090cc00, v[25:26]
	v_mad_u64_u32 v[49:50], null, s33, 15, v[0:1]
	v_add_co_u32 v21, s1, s10, v21
	v_add_co_ci_u32_e64 v22, null, s11, v22, s1
	s_mov_b32 s3, 0xc0988824
	v_mov_b32_e32 v50, v1
	v_fma_f64 v[25:26], v[2:3], s[2:3], v[37:38]
	s_mov_b32 s2, 0x8c1a5516
	s_mov_b32 s3, 0x402d6e6c
	v_mov_b32_e32 v15, 0x42ad1a94
	v_lshlrev_b64 v[37:38], 3, v[49:50]
	v_fma_f64 v[51:52], v[43:44], v[53:54], 1.0
	v_fma_f64 v[53:54], v[35:36], s[6:7], v[23:24]
	s_mov_b32 s69, 0x408f7377
	s_mov_b32 s68, 0x7af64064
	;; [unrolled: 1-line block ×3, first 2 shown]
	v_fma_f64 v[41:42], v[45:46], v[41:42], s[24:25]
	v_cndmask_b32_e32 v0, 0x7ff00000, v48, vcc_lo
	global_store_dwordx2 v[21:22], v[19:20], off
	v_mul_f64 v[21:22], v[29:30], s[12:13]
	s_and_b32 vcc_lo, s0, vcc_lo
	v_add_co_u32 v37, s1, s10, v37
	v_cndmask_b32_e32 v47, 0, v47, vcc_lo
	v_cndmask_b32_e64 v48, 0, v0, s0
	v_cmp_ngt_f64_e64 s0, 0xc090cc00, v[27:28]
	v_add_co_ci_u32_e64 v38, null, s11, v38, s1
	v_fma_f64 v[43:44], v[43:44], v[51:52], 1.0
	v_fma_f64 v[31:32], v[35:36], s[8:9], v[53:54]
	v_mad_u64_u32 v[51:52], null, s33, -14, v[49:50]
	v_mov_b32_e32 v52, v1
	v_fma_f64 v[41:42], v[45:46], v[41:42], s[34:35]
	v_lshlrev_b64 v[19:20], 3, v[51:52]
	v_add_nc_u32_e32 v0, s33, v51
	v_add_co_u32 v19, vcc_lo, s10, v19
	v_add_co_ci_u32_e64 v20, null, s11, v20, vcc_lo
	v_cmp_nlt_f64_e32 vcc_lo, 0x40900000, v[27:28]
	v_fma_f64 v[27:28], v[4:5], 2.0, s[2:3]
	v_ldexp_f64 v[55:56], v[43:44], v7
	v_fma_f64 v[53:54], v[31:32], s[16:17], s[14:15]
	s_mov_b32 s2, 0x122fad6d
	s_mov_b32 s3, 0xc0b0419a
	v_fma_f64 v[41:42], v[45:46], v[41:42], s[30:31]
	v_fma_f64 v[27:28], v[2:3], s[2:3], v[27:28]
	v_cndmask_b32_e32 v7, 0x7ff00000, v56, vcc_lo
	v_fma_f64 v[49:50], v[31:32], v[53:54], s[18:19]
	v_mul_f64 v[52:53], v[25:26], s[12:13]
	s_and_b32 vcc_lo, s0, vcc_lo
	s_mov_b32 s2, 0xd9ec7000
	v_fma_f64 v[43:44], v[45:46], v[41:42], s[28:29]
	v_rndne_f64_e32 v[41:42], v[21:22]
	v_mul_f64 v[21:22], v[57:58], s[76:77]
	global_store_dwordx2 v[37:38], v[21:22], off
	global_store_dwordx2 v[19:20], v[47:48], off
	v_fma_f64 v[56:57], v[45:46], v[43:44], s[26:27]
	v_fma_f64 v[49:50], v[31:32], v[49:50], s[20:21]
	v_rndne_f64_e32 v[43:44], v[52:53]
	v_fma_f64 v[51:52], v[41:42], s[6:7], v[29:30]
	v_lshlrev_b64 v[21:22], 3, v[0:1]
	v_add_nc_u32_e32 v0, s33, v0
	v_cndmask_b32_e32 v19, 0, v55, vcc_lo
	v_cndmask_b32_e64 v20, 0, v7, s0
	v_cvt_i32_f64_e32 v7, v[39:40]
	s_mov_b32 s0, 0xc1369695
	v_add_co_u32 v21, vcc_lo, s10, v21
	v_add_co_ci_u32_e64 v22, null, s11, v22, vcc_lo
	s_mov_b32 s1, 0x403c19dc
	s_mov_b32 s3, 0xc07adbf3
	global_store_dwordx2 v[21:22], v[19:20], off
	v_fma_f64 v[37:38], v[45:46], v[56:57], 1.0
	v_fma_f64 v[49:50], v[31:32], v[49:50], s[22:23]
	v_fma_f64 v[53:54], v[43:44], s[6:7], v[25:26]
	v_mul_f64 v[57:58], v[27:28], s[12:13]
	v_fma_f64 v[47:48], v[41:42], s[8:9], v[51:52]
	v_lshlrev_b64 v[55:56], 3, v[0:1]
	v_add_nc_u32_e32 v0, s33, v0
	v_lshlrev_b64 v[19:20], 3, v[0:1]
	v_add_nc_u32_e32 v0, s33, v0
	v_add_co_u32 v21, vcc_lo, s10, v55
	v_add_co_ci_u32_e64 v22, null, s11, v56, vcc_lo
	v_lshlrev_b64 v[51:52], 3, v[0:1]
	v_add_nc_u32_e32 v0, s33, v0
	v_add_co_u32 v19, vcc_lo, s10, v19
	v_add_co_ci_u32_e64 v20, null, s11, v20, vcc_lo
	v_fma_f64 v[49:50], v[31:32], v[49:50], s[24:25]
	v_fma_f64 v[45:46], v[45:46], v[37:38], 1.0
	v_fma_f64 v[39:40], v[43:44], s[8:9], v[53:54]
	v_rndne_f64_e32 v[37:38], v[57:58]
	v_fma_f64 v[53:54], v[47:48], s[16:17], s[14:15]
	v_lshlrev_b64 v[55:56], 3, v[0:1]
	v_add_co_u32 v51, vcc_lo, s10, v51
	v_add_co_ci_u32_e64 v52, null, s11, v52, vcc_lo
	global_store_dwordx2 v[21:22], v[8:9], off
	global_store_dwordx2 v[19:20], v[10:11], off
	global_store_dwordx2 v[51:52], v[17:18], off
	v_add_co_u32 v51, vcc_lo, s10, v55
	v_add_co_ci_u32_e64 v52, null, s11, v56, vcc_lo
	v_fma_f64 v[18:19], v[2:3], s[2:3], s[0:1]
	v_add_nc_u32_e32 v0, s33, v0
	v_cmp_ngt_f64_e64 s0, 0xc090cc00, v[33:34]
	global_store_dwordx2 v[51:52], v[14:15], off
	v_mov_b32_e32 v17, 0x4292309c
	s_mov_b32 s2, 0xe545699
	v_fma_f64 v[49:50], v[31:32], v[49:50], s[34:35]
	v_lshlrev_b64 v[20:21], 3, v[0:1]
	v_fma_f64 v[55:56], v[39:40], s[16:17], s[14:15]
	v_fma_f64 v[57:58], v[37:38], s[6:7], v[27:28]
	;; [unrolled: 1-line block ×3, first 2 shown]
	v_add_nc_u32_e32 v0, s33, v0
	v_ldexp_f64 v[45:46], v[45:46], v7
	v_add_co_u32 v59, vcc_lo, s10, v20
	v_add_co_ci_u32_e64 v60, null, s11, v21, vcc_lo
	v_lshlrev_b64 v[51:52], 3, v[0:1]
	v_mov_b32_e32 v20, s72
	v_mov_b32_e32 v21, s73
	v_add_nc_u32_e32 v0, s33, v0
	s_mov_b32 s3, 0x4033c577
	v_add_co_u32 v51, vcc_lo, s10, v51
	v_add_co_ci_u32_e64 v52, null, s11, v52, vcc_lo
	v_cmp_nlt_f64_e32 vcc_lo, 0x40900000, v[33:34]
	v_fma_f64 v[49:50], v[31:32], v[49:50], s[30:31]
	global_store_dwordx2 v[59:60], v[20:21], off
	v_fma_f64 v[33:34], v[39:40], v[55:56], s[18:19]
	v_fma_f64 v[55:56], v[37:38], s[8:9], v[57:58]
	v_mul_f64 v[57:58], v[18:19], s[12:13]
	v_fma_f64 v[53:54], v[47:48], v[53:54], s[20:21]
	global_store_dwordx2 v[51:52], v[16:17], off
	v_cvt_i32_f64_e32 v17, v[41:42]
	v_cndmask_b32_e32 v7, 0x7ff00000, v46, vcc_lo
	v_fma_f64 v[49:50], v[31:32], v[49:50], s[28:29]
	s_and_b32 vcc_lo, s0, vcc_lo
	v_fma_f64 v[33:34], v[39:40], v[33:34], s[20:21]
	v_fma_f64 v[51:52], v[55:56], s[16:17], s[14:15]
	v_rndne_f64_e32 v[15:16], v[57:58]
	v_fma_f64 v[53:54], v[47:48], v[53:54], s[22:23]
	v_cndmask_b32_e64 v46, 0, v7, s0
	v_cvt_i32_f64_e32 v7, v[35:36]
	s_mov_b32 s0, 0xa7d4c5c0
	s_mov_b32 s1, 0x40412866
	v_lshlrev_b64 v[57:58], 3, v[0:1]
	v_cndmask_b32_e32 v45, 0, v45, vcc_lo
	v_add_nc_u32_e32 v0, s33, v0
	v_add_co_u32 v57, vcc_lo, s10, v57
	v_add_co_ci_u32_e64 v58, null, s11, v58, vcc_lo
	v_cmp_nlt_f64_e32 vcc_lo, 0x40900000, v[23:24]
	v_fma_f64 v[49:50], v[31:32], v[49:50], s[26:27]
	global_store_dwordx2 v[57:58], v[45:46], off
	v_fma_f64 v[33:34], v[39:40], v[33:34], s[22:23]
	v_fma_f64 v[51:52], v[55:56], v[51:52], s[18:19]
	;; [unrolled: 1-line block ×4, first 2 shown]
	v_fma_f64 v[49:50], v[31:32], v[49:50], 1.0
	v_fma_f64 v[33:34], v[39:40], v[33:34], s[24:25]
	v_fma_f64 v[51:52], v[55:56], v[51:52], s[20:21]
	;; [unrolled: 1-line block ×4, first 2 shown]
	v_fma_f64 v[31:32], v[31:32], v[49:50], 1.0
	v_fma_f64 v[33:34], v[39:40], v[33:34], s[34:35]
	v_fma_f64 v[35:36], v[55:56], v[51:52], s[22:23]
	;; [unrolled: 1-line block ×4, first 2 shown]
	v_ldexp_f64 v[53:54], v[31:32], v7
	v_fma_f64 v[31:32], v[39:40], v[33:34], s[30:31]
	v_fma_f64 v[33:34], v[55:56], v[35:36], s[24:25]
	;; [unrolled: 1-line block ×5, first 2 shown]
	s_mov_b32 s0, 0xbcd35a86
	s_mov_b32 s1, 0xc0d8f08f
	;; [unrolled: 1-line block ×3, first 2 shown]
	v_cndmask_b32_e32 v7, 0x7ff00000, v54, vcc_lo
	v_fma_f64 v[31:32], v[39:40], v[31:32], s[28:29]
	v_fma_f64 v[61:62], v[55:56], v[33:34], s[34:35]
	;; [unrolled: 1-line block ×5, first 2 shown]
	v_cmp_ngt_f64_e64 s0, 0xc090cc00, v[23:24]
	v_fma_f64 v[22:23], v[4:5], s[78:79], s[2:3]
	s_mov_b32 s2, 0x902de01
	s_mov_b32 s3, 0xc0d234d2
	v_cvt_i32_f64_e32 v24, v[43:44]
	v_cmp_nlt_f64_e64 s1, 0x40900000, v[25:26]
	v_fma_f64 v[31:32], v[39:40], v[31:32], s[26:27]
	v_fma_f64 v[51:52], v[55:56], v[61:62], s[30:31]
	;; [unrolled: 1-line block ×3, first 2 shown]
	v_fma_f64 v[45:46], v[47:48], v[49:50], 1.0
	v_mul_f64 v[49:50], v[33:34], s[12:13]
	s_and_b32 vcc_lo, s0, vcc_lo
	v_fma_f64 v[57:58], v[39:40], v[31:32], 1.0
	v_fma_f64 v[51:52], v[55:56], v[51:52], s[28:29]
	v_fma_f64 v[61:62], v[59:60], v[35:36], s[24:25]
	v_fma_f64 v[45:46], v[47:48], v[45:46], 1.0
	v_rndne_f64_e32 v[35:36], v[49:50]
	v_add_f64 v[47:48], v[4:5], v[4:5]
	v_fma_f64 v[31:32], v[2:3], s[2:3], v[22:23]
	s_mov_b32 s2, 0xb2b777d1
	s_mov_b32 s3, 0xc08de0e4
	v_fma_f64 v[22:23], v[39:40], v[57:58], 1.0
	v_fma_f64 v[41:42], v[55:56], v[51:52], s[26:27]
	v_fma_f64 v[43:44], v[59:60], v[61:62], s[34:35]
	v_cndmask_b32_e32 v51, 0, v53, vcc_lo
	v_fma_f64 v[49:50], v[35:36], s[6:7], v[33:34]
	v_fma_f64 v[39:40], v[2:3], s[2:3], v[47:48]
	v_mul_f64 v[53:54], v[31:32], s[12:13]
	v_ldexp_f64 v[57:58], v[45:46], v17
	v_lshlrev_b64 v[47:48], 3, v[0:1]
	v_cndmask_b32_e64 v52, 0, v7, s0
	v_cvt_i32_f64_e32 v7, v[37:38]
	v_cmp_ngt_f64_e64 s0, 0xc090cc00, v[29:30]
	v_cmp_ngt_f64_e64 s2, 0xc090cc00, v[25:26]
	v_add_nc_u32_e32 v0, s33, v0
	v_add_co_u32 v47, vcc_lo, s10, v47
	v_add_co_ci_u32_e64 v48, null, s11, v48, vcc_lo
	v_cmp_nlt_f64_e32 vcc_lo, 0x40900000, v[29:30]
	global_store_dwordx2 v[47:48], v[51:52], off
	v_ldexp_f64 v[22:23], v[22:23], v24
	v_fma_f64 v[41:42], v[55:56], v[41:42], 1.0
	v_fma_f64 v[43:44], v[59:60], v[43:44], s[30:31]
	v_lshlrev_b64 v[51:52], 3, v[0:1]
	v_fma_f64 v[49:50], v[35:36], s[8:9], v[49:50]
	v_mul_f64 v[61:62], v[39:40], s[12:13]
	v_rndne_f64_e32 v[45:46], v[53:54]
	v_add_nc_u32_e32 v0, s33, v0
	v_cndmask_b32_e32 v17, 0x7ff00000, v58, vcc_lo
	s_and_b32 vcc_lo, s0, vcc_lo
	v_fma_f64 v[53:54], v[55:56], v[41:42], 1.0
	v_fma_f64 v[43:44], v[59:60], v[43:44], s[28:29]
	v_cndmask_b32_e64 v24, 0, v17, s0
	v_fma_f64 v[55:56], v[49:50], s[16:17], s[14:15]
	v_rndne_f64_e32 v[41:42], v[61:62]
	v_fma_f64 v[29:30], v[45:46], s[6:7], v[31:32]
	v_cmp_ngt_f64_e64 s0, 0xc090cc00, v[27:28]
	v_ldexp_f64 v[25:26], v[53:54], v7
	v_fma_f64 v[37:38], v[59:60], v[43:44], s[26:27]
	v_lshlrev_b64 v[53:54], 3, v[0:1]
	v_fma_f64 v[43:44], v[49:50], v[55:56], s[18:19]
	v_fma_f64 v[47:48], v[41:42], s[6:7], v[39:40]
	v_cndmask_b32_e64 v55, 0x7ff00000, v23, s1
	v_cndmask_b32_e32 v23, 0, v57, vcc_lo
	v_add_co_u32 v51, vcc_lo, s10, v51
	v_add_co_ci_u32_e64 v52, null, s11, v52, vcc_lo
	s_and_b32 vcc_lo, s2, s1
	v_cndmask_b32_e64 v56, 0, v55, s2
	v_cndmask_b32_e32 v55, 0, v22, vcc_lo
	v_add_co_u32 v53, vcc_lo, s10, v53
	v_fma_f64 v[29:30], v[45:46], s[8:9], v[29:30]
	v_add_co_ci_u32_e64 v54, null, s11, v54, vcc_lo
	v_cmp_nlt_f64_e32 vcc_lo, 0x40900000, v[27:28]
	s_mov_b32 s2, 0x10492360
	s_mov_b32 s3, 0xc020dcae
	v_cvt_i32_f64_e32 v28, v[15:16]
	v_fma_f64 v[37:38], v[59:60], v[37:38], 1.0
	v_fma_f64 v[15:16], 0x40120000, v[4:5], s[2:3]
	v_fma_f64 v[43:44], v[49:50], v[43:44], s[20:21]
	;; [unrolled: 1-line block ×3, first 2 shown]
	global_store_dwordx2 v[51:52], v[23:24], off
	global_store_dwordx2 v[53:54], v[55:56], off
	v_add_nc_u32_e32 v0, s33, v0
	s_mov_b32 s2, 0x8e7ddca5
	s_mov_b32 s3, 0x405fdb8f
	v_cndmask_b32_e32 v7, 0x7ff00000, v26, vcc_lo
	v_fma_f64 v[26:27], v[29:30], s[16:17], s[14:15]
	s_and_b32 vcc_lo, s0, vcc_lo
	v_fma_f64 v[37:38], v[59:60], v[37:38], 1.0
	v_fma_f64 v[43:44], v[49:50], v[43:44], s[22:23]
	v_fma_f64 v[57:58], v[47:48], s[16:17], s[14:15]
	;; [unrolled: 1-line block ×10, first 2 shown]
	v_mov_b32_e32 v16, s64
	v_mov_b32_e32 v17, s65
	s_mov_b32 s56, 0x9ae924f2
	v_fma_f64 v[22:23], v[49:50], v[43:44], s[30:31]
	v_fma_f64 v[51:52], v[47:48], v[57:58], s[22:23]
	v_lshlrev_b64 v[43:44], 3, v[0:1]
	v_add_nc_u32_e32 v0, s33, v0
	v_cndmask_b32_e64 v58, 0, v7, s0
	v_cndmask_b32_e32 v57, 0, v25, vcc_lo
	s_mov_b32 s57, 0xc0a79699
	s_mov_b32 s65, 0x429b48eb
	v_lshlrev_b64 v[55:56], 3, v[0:1]
	v_add_co_u32 v43, s1, s10, v43
	v_add_co_ci_u32_e64 v44, null, s11, v44, s1
	s_mov_b32 s0, 0xe9b53ae0
	v_add_co_u32 v24, vcc_lo, s10, v55
	s_mov_b32 s1, 0xc01e8abe
	v_fma_f64 v[53:54], v[29:30], v[59:60], s[24:25]
	v_ldexp_f64 v[59:60], v[37:38], v28
	v_add_co_ci_u32_e64 v25, null, s11, v56, vcc_lo
	v_fma_f64 v[55:56], v[4:5], 4.0, s[0:1]
	v_fma_f64 v[22:23], v[49:50], v[22:23], s[28:29]
	v_fma_f64 v[37:38], v[47:48], v[51:52], s[24:25]
	v_mul_f64 v[51:52], v[26:27], s[12:13]
	v_add_nc_u32_e32 v0, s37, v0
	global_store_dwordx2 v[43:44], v[16:17], off
	global_store_dwordx2 v[24:25], v[57:58], off
	v_cmp_ngt_f64_e64 s0, 0xc090cc00, v[18:19]
	v_lshlrev_b64 v[43:44], 3, v[0:1]
	v_add_nc_u32_e32 v0, s33, v0
	v_add_co_u32 v43, vcc_lo, s10, v43
	v_add_co_ci_u32_e64 v44, null, s11, v44, vcc_lo
	v_fma_f64 v[53:54], v[29:30], v[53:54], s[34:35]
	v_cmp_nlt_f64_e32 vcc_lo, 0x40900000, v[18:19]
	v_fma_f64 v[18:19], v[49:50], v[22:23], s[26:27]
	v_fma_f64 v[57:58], v[47:48], v[37:38], s[34:35]
	v_rndne_f64_e32 v[24:25], v[51:52]
	v_fma_f64 v[37:38], v[2:3], s[68:69], v[55:56]
	v_lshlrev_b64 v[22:23], 3, v[0:1]
	v_add_nc_u32_e32 v0, s33, v0
	s_mov_b32 s69, 0xc08f7377
	v_add_co_u32 v51, s1, s10, v22
	v_add_co_ci_u32_e64 v52, null, s11, v23, s1
	v_mov_b32_e32 v22, s70
	v_mov_b32_e32 v23, s71
	global_store_dwordx2 v[43:44], v[22:23], off
	global_store_dwordx2 v[51:52], v[22:23], off
	v_fma_f64 v[53:54], v[29:30], v[53:54], s[30:31]
	v_fma_f64 v[18:19], v[49:50], v[18:19], 1.0
	v_fma_f64 v[57:58], v[47:48], v[57:58], s[30:31]
	v_fma_f64 v[55:56], v[24:25], s[6:7], v[26:27]
	v_cndmask_b32_e32 v7, 0x7ff00000, v60, vcc_lo
	s_and_b32 vcc_lo, s0, vcc_lo
	v_lshlrev_b64 v[43:44], 3, v[0:1]
	v_cndmask_b32_e32 v51, 0, v59, vcc_lo
	v_mul_f64 v[59:60], v[37:38], s[12:13]
	v_cndmask_b32_e64 v52, 0, v7, s0
	v_add_nc_u32_e32 v0, s33, v0
	v_cvt_i32_f64_e32 v7, v[35:36]
	v_add_co_u32 v43, vcc_lo, s10, v43
	v_add_co_ci_u32_e64 v44, null, s11, v44, vcc_lo
	s_mov_b32 s0, 0x85114c59
	s_mov_b32 s1, 0x40301e3b
	;; [unrolled: 1-line block ×3, first 2 shown]
	global_store_dwordx2 v[43:44], v[51:52], off
	v_lshlrev_b64 v[51:52], 3, v[0:1]
	v_add_nc_u32_e32 v0, s33, v0
	v_fma_f64 v[53:54], v[29:30], v[53:54], s[28:29]
	v_fma_f64 v[18:19], v[49:50], v[18:19], 1.0
	v_fma_f64 v[35:36], v[47:48], v[57:58], s[28:29]
	v_fma_f64 v[55:56], v[24:25], s[8:9], v[55:56]
	v_lshlrev_b64 v[61:62], 3, v[0:1]
	v_add_co_u32 v49, vcc_lo, s10, v51
	v_add_co_ci_u32_e64 v50, null, s11, v52, vcc_lo
	v_rndne_f64_e32 v[43:44], v[59:60]
	v_add_nc_u32_e32 v0, s33, v0
	s_mov_b32 s70, 0x28f5c28f
	v_lshlrev_b64 v[57:58], 3, v[0:1]
	v_add_nc_u32_e32 v0, s33, v0
	v_fma_f64 v[51:52], v[29:30], v[53:54], s[26:27]
	v_add_co_u32 v53, vcc_lo, s10, v61
	v_add_co_ci_u32_e64 v54, null, s11, v62, vcc_lo
	global_store_dwordx2 v[49:50], v[8:9], off
	global_store_dwordx2 v[53:54], v[12:13], off
	v_fma_f64 v[53:54], v[55:56], s[16:17], s[14:15]
	v_ldexp_f64 v[59:60], v[18:19], v7
	v_fma_f64 v[35:36], v[47:48], v[35:36], s[26:27]
	v_fma_f64 v[18:19], v[4:5], 2.0, s[0:1]
	v_add_co_u32 v49, vcc_lo, s10, v57
	v_add_co_ci_u32_e64 v50, null, s11, v58, vcc_lo
	v_fma_f64 v[57:58], v[43:44], s[6:7], v[37:38]
	v_cmp_nlt_f64_e32 vcc_lo, 0x40900000, v[33:34]
	v_cmp_ngt_f64_e64 s0, 0xc090cc00, v[33:34]
	v_cvt_i32_f64_e32 v7, v[45:46]
	global_store_dwordx2 v[49:50], v[20:21], off
	v_cmp_nlt_f64_e64 s1, 0x40900000, v[39:40]
	v_fma_f64 v[51:52], v[29:30], v[51:52], 1.0
	v_fma_f64 v[53:54], v[55:56], v[53:54], s[18:19]
	v_fma_f64 v[61:62], v[47:48], v[35:36], 1.0
	v_fma_f64 v[35:36], v[2:3], s[56:57], v[18:19]
	v_fma_f64 v[18:19], v[2:3], s[62:63], v[18:19]
	v_fma_f64 v[57:58], v[43:44], s[8:9], v[57:58]
	v_cndmask_b32_e32 v15, 0x7ff00000, v60, vcc_lo
	s_and_b32 vcc_lo, s0, vcc_lo
	v_cndmask_b32_e32 v49, 0, v59, vcc_lo
	v_fma_f64 v[28:29], v[29:30], v[51:52], 1.0
	v_cvt_i32_f64_e32 v30, v[41:42]
	v_fma_f64 v[51:52], v[4:5], s[52:53], s[2:3]
	s_mov_b32 s2, 0x9db22d0e
	s_mov_b32 s3, 0xc0d18efb
	v_cndmask_b32_e64 v50, 0, v15, s0
	v_cmp_ngt_f64_e64 s0, 0xc090cc00, v[31:32]
	s_mov_b32 s53, 0xc006a3d7
	v_fma_f64 v[33:34], v[55:56], v[53:54], s[20:21]
	v_fma_f64 v[47:48], v[47:48], v[61:62], 1.0
	v_mul_f64 v[41:42], v[35:36], s[12:13]
	v_fma_f64 v[45:46], v[57:58], s[16:17], s[14:15]
	v_ldexp_f64 v[28:29], v[28:29], v7
	v_fma_f64 v[53:54], v[55:56], v[33:34], s[22:23]
	v_ldexp_f64 v[47:48], v[47:48], v30
	v_rndne_f64_e32 v[33:34], v[41:42]
	v_fma_f64 v[41:42], v[2:3], s[2:3], v[51:52]
	v_lshlrev_b64 v[51:52], 3, v[0:1]
	v_cmp_ngt_f64_e64 s2, 0xc090cc00, v[39:40]
	v_add_nc_u32_e32 v0, s33, v0
	v_fma_f64 v[45:46], v[57:58], v[45:46], s[18:19]
	v_add_co_u32 v51, vcc_lo, s10, v51
	v_add_co_ci_u32_e64 v52, null, s11, v52, vcc_lo
	v_cmp_nlt_f64_e32 vcc_lo, 0x40900000, v[31:32]
	global_store_dwordx2 v[51:52], v[49:50], off
	v_fma_f64 v[53:54], v[55:56], v[53:54], s[24:25]
	v_cndmask_b32_e64 v15, 0x7ff00000, v48, s1
	v_mul_f64 v[31:32], v[41:42], s[12:13]
	v_fma_f64 v[45:46], v[57:58], v[45:46], s[20:21]
	v_cndmask_b32_e32 v7, 0x7ff00000, v29, vcc_lo
	v_fma_f64 v[29:30], v[33:34], s[6:7], v[35:36]
	s_and_b32 vcc_lo, s0, vcc_lo
	v_cndmask_b32_e32 v28, 0, v28, vcc_lo
	v_fma_f64 v[39:40], v[55:56], v[53:54], s[34:35]
	v_fma_f64 v[53:54], v[57:58], v[45:46], s[22:23]
	v_rndne_f64_e32 v[45:46], v[31:32]
	v_fma_f64 v[59:60], v[33:34], s[8:9], v[29:30]
	v_lshlrev_b64 v[30:31], 3, v[0:1]
	v_cndmask_b32_e64 v29, 0, v7, s0
	v_add_nc_u32_e32 v0, s33, v0
	v_cvt_i32_f64_e32 v7, v[24:25]
	v_fma_f64 v[39:40], v[55:56], v[39:40], s[30:31]
	v_add_co_u32 v30, vcc_lo, s10, v30
	v_add_co_ci_u32_e64 v31, null, s11, v31, vcc_lo
	s_and_b32 vcc_lo, s2, s1
	s_mov_b32 s0, 0xf8104776
	v_cndmask_b32_e32 v52, 0, v47, vcc_lo
	v_fma_f64 v[48:49], v[57:58], v[53:54], s[24:25]
	global_store_dwordx2 v[30:31], v[28:29], off
	v_fma_f64 v[28:29], v[45:46], s[6:7], v[41:42]
	v_cndmask_b32_e64 v53, 0, v15, s2
	v_lshlrev_b64 v[30:31], 3, v[0:1]
	v_add_nc_u32_e32 v0, s33, v0
	s_mov_b32 s1, 0x4040b70d
	s_mov_b32 s2, 0x712a0ec7
	v_fma_f64 v[50:51], v[59:60], s[16:17], s[14:15]
	v_mul_f64 v[61:62], 0x416f20c0, v[52:53]
	v_add_co_u32 v30, vcc_lo, s10, v30
	v_add_co_ci_u32_e64 v31, null, s11, v31, vcc_lo
	v_fma_f64 v[39:40], v[55:56], v[39:40], s[28:29]
	s_mov_b32 s3, 0xc0853abd
	v_fma_f64 v[47:48], v[57:58], v[48:49], s[34:35]
	v_fma_f64 v[63:64], v[59:60], v[50:51], s[18:19]
	;; [unrolled: 1-line block ×3, first 2 shown]
	v_lshlrev_b64 v[28:29], 3, v[0:1]
	global_store_dwordx2 v[30:31], v[61:62], off
	v_mul_f64 v[51:52], 0x414f20c0, v[52:53]
	v_add_nc_u32_e32 v0, s33, v0
	v_fma_f64 v[30:31], v[55:56], v[39:40], s[26:27]
	v_add_co_u32 v61, vcc_lo, s10, v28
	v_add_co_ci_u32_e64 v62, null, s11, v29, vcc_lo
	v_cmp_nlt_f64_e32 vcc_lo, 0x40900000, v[26:27]
	v_fma_f64 v[39:40], v[57:58], v[47:48], s[30:31]
	v_fma_f64 v[47:48], v[59:60], v[63:64], s[20:21]
	;; [unrolled: 1-line block ×3, first 2 shown]
	global_store_dwordx2 v[61:62], v[51:52], off
	v_fma_f64 v[30:31], v[55:56], v[30:31], 1.0
	v_fma_f64 v[39:40], v[57:58], v[39:40], s[28:29]
	v_fma_f64 v[47:48], v[59:60], v[47:48], s[22:23]
	;; [unrolled: 1-line block ×3, first 2 shown]
	v_fma_f64 v[30:31], v[55:56], v[30:31], 1.0
	v_fma_f64 v[54:55], v[4:5], s[42:43], s[0:1]
	s_mov_b32 s0, 0x77af6406
	s_mov_b32 s1, 0xc0b0b557
	;; [unrolled: 1-line block ×3, first 2 shown]
	v_fma_f64 v[39:40], v[57:58], v[39:40], s[26:27]
	v_fma_f64 v[47:48], v[59:60], v[47:48], s[24:25]
	;; [unrolled: 1-line block ×3, first 2 shown]
	v_ldexp_f64 v[30:31], v[30:31], v7
	v_fma_f64 v[24:25], v[2:3], s[0:1], v[54:55]
	s_mov_b32 s0, 0x821d7c12
	s_mov_b32 s1, 0x403520f4
	v_cvt_i32_f64_e32 v7, v[43:44]
	v_fma_f64 v[39:40], v[57:58], v[39:40], 1.0
	v_fma_f64 v[47:48], v[59:60], v[47:48], s[34:35]
	v_fma_f64 v[28:29], v[49:50], v[28:29], s[22:23]
	v_cndmask_b32_e32 v15, 0x7ff00000, v31, vcc_lo
	v_mul_f64 v[54:55], v[24:25], s[12:13]
	v_fma_f64 v[39:40], v[57:58], v[39:40], 1.0
	v_fma_f64 v[56:57], v[4:5], s[4:5], s[0:1]
	s_mov_b32 s0, 0x8216c615
	s_mov_b32 s1, 0xc095269c
	;; [unrolled: 1-line block ×3, first 2 shown]
	v_fma_f64 v[47:48], v[59:60], v[47:48], s[30:31]
	v_fma_f64 v[28:29], v[49:50], v[28:29], s[24:25]
	v_ldexp_f64 v[61:62], v[39:40], v7
	v_fma_f64 v[63:64], v[59:60], v[47:48], s[28:29]
	v_rndne_f64_e32 v[47:48], v[54:55]
	v_fma_f64 v[53:54], v[49:50], v[28:29], s[34:35]
	v_fma_f64 v[28:29], v[2:3], s[0:1], v[56:57]
	v_cmp_ngt_f64_e64 s0, 0xc090cc00, v[26:27]
	v_fma_f64 v[55:56], v[59:60], v[63:64], s[26:27]
	v_fma_f64 v[43:44], v[47:48], s[6:7], v[24:25]
	;; [unrolled: 1-line block ×3, first 2 shown]
	v_mul_f64 v[57:58], v[28:29], s[12:13]
	s_and_b32 vcc_lo, s0, vcc_lo
	v_fma_f64 v[26:27], v[59:60], v[55:56], 1.0
	v_fma_f64 v[51:52], v[47:48], s[8:9], v[43:44]
	v_fma_f64 v[31:32], v[49:50], v[53:54], s[28:29]
	v_rndne_f64_e32 v[39:40], v[57:58]
	v_lshlrev_b64 v[43:44], 3, v[0:1]
	v_cndmask_b32_e32 v53, 0, v30, vcc_lo
	v_cndmask_b32_e64 v54, 0, v15, s0
	v_cmp_ngt_f64_e64 s0, 0xc090cc00, v[37:38]
	v_cvt_i32_f64_e32 v15, v[33:34]
	v_cvt_i32_f64_e32 v34, v[45:46]
	v_add_co_u32 v43, vcc_lo, s10, v43
	v_add_co_ci_u32_e64 v44, null, s11, v44, vcc_lo
	v_cmp_nlt_f64_e32 vcc_lo, 0x40900000, v[37:38]
	v_add_nc_u32_e32 v0, s33, v0
	global_store_dwordx2 v[43:44], v[53:54], off
	v_fma_f64 v[55:56], v[59:60], v[26:27], 1.0
	v_fma_f64 v[37:38], v[51:52], s[16:17], s[14:15]
	v_fma_f64 v[26:27], v[49:50], v[31:32], s[26:27]
	v_fma_f64 v[30:31], v[39:40], s[6:7], v[28:29]
	v_cndmask_b32_e32 v7, 0x7ff00000, v62, vcc_lo
	s_and_b32 vcc_lo, s0, vcc_lo
	v_ldexp_f64 v[45:46], v[55:56], v15
	v_fma_f64 v[37:38], v[51:52], v[37:38], s[18:19]
	v_fma_f64 v[57:58], v[49:50], v[26:27], 1.0
	v_fma_f64 v[30:31], v[39:40], s[8:9], v[30:31]
	v_mul_f64 v[26:27], v[2:3], s[68:69]
	s_mov_b32 s69, 0x3fd147ae
	s_mov_b32 s68, 0x147ae148
	v_fma_f64 v[32:33], v[51:52], v[37:38], s[20:21]
	v_fma_f64 v[37:38], v[49:50], v[57:58], 1.0
	v_fma_f64 v[49:50], v[30:31], s[16:17], s[14:15]
	v_mul_f64 v[55:56], v[26:27], s[12:13]
	v_lshlrev_b64 v[57:58], 3, v[0:1]
	v_add_nc_u32_e32 v0, s33, v0
	v_fma_f64 v[53:54], v[51:52], v[32:33], s[22:23]
	v_fma_f64 v[32:33], v[2:3], s[2:3], s[54:55]
	v_fma_f64 v[49:50], v[30:31], v[49:50], s[18:19]
	v_rndne_f64_e32 v[43:44], v[55:56]
	v_ldexp_f64 v[37:38], v[37:38], v34
	v_add_co_u32 v34, s1, s10, v57
	v_cndmask_b32_e64 v56, 0, v7, s0
	v_cndmask_b32_e32 v55, 0, v61, vcc_lo
	v_cmp_nlt_f64_e32 vcc_lo, 0x40900000, v[35:36]
	v_cmp_ngt_f64_e64 s0, 0xc090cc00, v[35:36]
	v_add_co_ci_u32_e64 v35, null, s11, v58, s1
	v_cmp_nlt_f64_e64 s1, 0x40900000, v[41:42]
	v_cmp_ngt_f64_e64 s2, 0xc090cc00, v[41:42]
	s_mov_b32 s54, 0xa3d70a3d
	global_store_dwordx2 v[34:35], v[55:56], off
	v_lshlrev_b64 v[55:56], 3, v[0:1]
	v_add_nc_u32_e32 v0, s33, v0
	s_mov_b32 s55, 0xbff63d70
	v_fma_f64 v[53:54], v[51:52], v[53:54], s[24:25]
	v_mul_f64 v[57:58], v[32:33], s[12:13]
	v_fma_f64 v[49:50], v[30:31], v[49:50], s[20:21]
	v_fma_f64 v[41:42], v[43:44], s[6:7], v[26:27]
	v_cndmask_b32_e32 v7, 0x7ff00000, v46, vcc_lo
	s_and_b32 vcc_lo, s0, vcc_lo
	v_cndmask_b32_e32 v45, 0, v45, vcc_lo
	v_add_co_u32 v55, vcc_lo, s10, v55
	v_cndmask_b32_e64 v15, 0x7ff00000, v38, s1
	v_add_co_ci_u32_e64 v56, null, s11, v56, vcc_lo
	s_and_b32 vcc_lo, s2, s1
	v_cndmask_b32_e64 v46, 0, v7, s0
	v_cndmask_b32_e32 v37, 0, v37, vcc_lo
	v_cndmask_b32_e64 v38, 0, v15, s2
	v_fma_f64 v[53:54], v[51:52], v[53:54], s[34:35]
	v_rndne_f64_e32 v[34:35], v[57:58]
	v_fma_f64 v[49:50], v[30:31], v[49:50], s[22:23]
	v_fma_f64 v[41:42], v[43:44], s[8:9], v[41:42]
	v_lshlrev_b64 v[57:58], 3, v[0:1]
	s_mov_b32 s0, 0x63073655
	s_mov_b32 s1, 0x403d6f9f
	v_add_nc_u32_e32 v0, s33, v0
	v_cvt_i32_f64_e32 v7, v[47:48]
	s_mov_b32 s2, 0x9924ff9
	v_add_co_u32 v57, vcc_lo, s10, v57
	v_add_co_ci_u32_e64 v58, null, s11, v58, vcc_lo
	global_store_dwordx2 v[55:56], v[45:46], off
	global_store_dwordx2 v[57:58], v[37:38], off
	v_fma_f64 v[57:58], v[4:5], s[68:69], s[0:1]
	v_lshlrev_b64 v[36:37], 3, v[0:1]
	v_add_nc_u32_e32 v0, s33, v0
	s_mov_b32 s0, 0x4399b2c4
	s_mov_b32 s1, 0xc0619cd2
	v_fma_f64 v[45:46], v[51:52], v[53:54], s[30:31]
	v_fma_f64 v[53:54], v[34:35], s[6:7], v[32:33]
	;; [unrolled: 1-line block ×4, first 2 shown]
	v_add_co_u32 v36, vcc_lo, s10, v36
	v_add_co_ci_u32_e64 v37, null, s11, v37, vcc_lo
	v_lshlrev_b64 v[59:60], 3, v[0:1]
	v_add_nc_u32_e32 v0, s33, v0
	s_mov_b32 s3, 0x403a6d53
	global_store_dwordx2 v[36:37], v[22:23], off
	s_mov_b32 s69, 0x3ffd47ae
	v_add_co_u32 v59, vcc_lo, s10, v59
	v_lshlrev_b64 v[61:62], 3, v[0:1]
	v_fma_f64 v[36:37], v[2:3], s[0:1], v[57:58]
	v_add_co_ci_u32_e64 v60, null, s11, v60, vcc_lo
	v_add_nc_u32_e32 v0, s33, v0
	s_mov_b32 s0, 0x652a2644
	v_fma_f64 v[45:46], v[51:52], v[45:46], s[28:29]
	v_fma_f64 v[53:54], v[34:35], s[8:9], v[53:54]
	;; [unrolled: 1-line block ×4, first 2 shown]
	v_add_co_u32 v57, vcc_lo, s10, v61
	global_store_dwordx2 v[59:60], v[22:23], off
	v_lshlrev_b64 v[59:60], 3, v[0:1]
	v_add_co_ci_u32_e64 v58, null, s11, v62, vcc_lo
	s_mov_b32 s1, 0x402c3763
	v_add_nc_u32_e32 v0, s33, v0
	global_store_dwordx2 v[57:58], v[10:11], off
	v_add_co_u32 v10, vcc_lo, s10, v59
	v_add_co_ci_u32_e64 v11, null, s11, v60, vcc_lo
	v_mul_f64 v[59:60], v[36:37], s[12:13]
	v_cmp_nlt_f64_e32 vcc_lo, 0x40900000, v[24:25]
	global_store_dwordx2 v[10:11], v[20:21], off
	v_fma_f64 v[45:46], v[51:52], v[45:46], s[26:27]
	v_fma_f64 v[57:58], v[53:54], s[16:17], s[14:15]
	;; [unrolled: 1-line block ×4, first 2 shown]
	v_lshlrev_b64 v[10:11], 3, v[0:1]
	v_add_nc_u32_e32 v0, s37, v0
	v_fma_f64 v[61:62], v[51:52], v[45:46], 1.0
	v_fma_f64 v[57:58], v[53:54], v[57:58], s[18:19]
	v_fma_f64 v[49:50], v[30:31], v[49:50], s[28:29]
	;; [unrolled: 1-line block ×3, first 2 shown]
	v_rndne_f64_e32 v[45:46], v[59:60]
	v_fma_f64 v[51:52], v[51:52], v[61:62], 1.0
	v_fma_f64 v[57:58], v[53:54], v[57:58], s[20:21]
	v_fma_f64 v[49:50], v[30:31], v[49:50], s[26:27]
	;; [unrolled: 1-line block ×4, first 2 shown]
	v_ldexp_f64 v[51:52], v[51:52], v7
	v_fma_f64 v[57:58], v[53:54], v[57:58], s[22:23]
	v_fma_f64 v[47:48], v[30:31], v[49:50], 1.0
	v_fma_f64 v[55:56], v[41:42], v[55:56], s[34:35]
	v_fma_f64 v[49:50], v[45:46], s[8:9], v[59:60]
	;; [unrolled: 1-line block ×3, first 2 shown]
	s_mov_b32 s0, 0x590c0ad0
	s_mov_b32 s1, 0x40681ddd
	v_cvt_i32_f64_e32 v7, v[39:40]
	v_cndmask_b32_e32 v15, 0x7ff00000, v52, vcc_lo
	v_fma_f64 v[57:58], v[53:54], v[57:58], s[24:25]
	v_fma_f64 v[47:48], v[30:31], v[47:48], 1.0
	v_fma_f64 v[55:56], v[41:42], v[55:56], s[30:31]
	v_fma_f64 v[61:62], v[49:50], s[16:17], s[14:15]
	;; [unrolled: 1-line block ×3, first 2 shown]
	v_cmp_ngt_f64_e64 s0, 0xc090cc00, v[24:25]
	v_cmp_nlt_f64_e64 s1, 0x40900000, v[26:27]
	v_fma_f64 v[57:58], v[53:54], v[57:58], s[34:35]
	v_fma_f64 v[55:56], v[41:42], v[55:56], s[28:29]
	;; [unrolled: 1-line block ×3, first 2 shown]
	v_mul_f64 v[24:25], v[30:31], s[12:13]
	s_and_b32 vcc_lo, s0, vcc_lo
	v_cndmask_b32_e64 v52, 0, v15, s0
	v_cndmask_b32_e32 v51, 0, v51, vcc_lo
	v_cmp_ngt_f64_e64 s0, 0xc090cc00, v[28:29]
	v_cvt_i32_f64_e32 v15, v[43:44]
	v_cvt_i32_f64_e32 v44, v[34:35]
	v_fma_f64 v[38:39], v[53:54], v[57:58], s[30:31]
	v_fma_f64 v[55:56], v[41:42], v[55:56], s[26:27]
	;; [unrolled: 1-line block ×3, first 2 shown]
	v_rndne_f64_e32 v[24:25], v[24:25]
	v_ldexp_f64 v[59:60], v[47:48], v7
	v_fma_f64 v[38:39], v[53:54], v[38:39], s[28:29]
	v_fma_f64 v[47:48], v[41:42], v[55:56], 1.0
	v_fma_f64 v[55:56], v[49:50], v[57:58], s[22:23]
	v_add_co_u32 v57, vcc_lo, s10, v10
	v_add_co_ci_u32_e64 v58, null, s11, v11, vcc_lo
	v_fma_f64 v[10:11], v[24:25], s[6:7], v[30:31]
	v_cmp_nlt_f64_e32 vcc_lo, 0x40900000, v[28:29]
	global_store_dwordx2 v[57:58], v[51:52], off
	v_fma_f64 v[28:29], v[53:54], v[38:39], s[26:27]
	v_fma_f64 v[38:39], v[41:42], v[47:48], 1.0
	v_fma_f64 v[40:41], v[49:50], v[55:56], s[24:25]
	v_fma_f64 v[47:48], v[24:25], s[8:9], v[10:11]
	;; [unrolled: 1-line block ×3, first 2 shown]
	s_mov_b32 s2, 0x87c07e35
	s_mov_b32 s3, 0xc016243b
	v_cndmask_b32_e32 v7, 0x7ff00000, v60, vcc_lo
	s_and_b32 vcc_lo, s0, vcc_lo
	s_mov_b32 s71, 0x3ffe8f5c
	v_cndmask_b32_e32 v51, 0, v59, vcc_lo
	v_cmp_nlt_f64_e32 vcc_lo, 0x40900000, v[32:33]
	v_cndmask_b32_e64 v52, 0, v7, s0
	v_cmp_ngt_f64_e64 s0, 0xc090cc00, v[32:33]
	v_fma_f64 v[55:56], v[53:54], v[28:29], 1.0
	v_ldexp_f64 v[38:39], v[38:39], v15
	v_fma_f64 v[40:41], v[49:50], v[40:41], s[34:35]
	v_fma_f64 v[42:43], v[47:48], s[16:17], s[14:15]
	;; [unrolled: 1-line block ×3, first 2 shown]
	s_mov_b32 s2, 0x8be57bf0
	s_mov_b32 s3, 0x40432f07
	v_fma_f64 v[53:54], v[53:54], v[55:56], 1.0
	v_cndmask_b32_e64 v7, 0x7ff00000, v39, s1
	v_fma_f64 v[10:11], v[49:50], v[40:41], s[30:31]
	v_fma_f64 v[34:35], v[47:48], v[42:43], s[18:19]
	v_mul_f64 v[40:41], v[28:29], s[12:13]
	v_fma_f64 v[42:43], v[4:5], s[54:55], s[2:3]
	s_mov_b32 s2, 0x395c4220
	s_mov_b32 s3, 0xc07fc3fb
	;; [unrolled: 1-line block ×4, first 2 shown]
	v_fma_f64 v[55:56], v[47:48], v[34:35], s[20:21]
	v_rndne_f64_e32 v[34:35], v[40:41]
	v_fma_f64 v[40:41], v[49:50], v[10:11], s[28:29]
	v_fma_f64 v[10:11], v[2:3], s[2:3], v[42:43]
	v_cmp_ngt_f64_e64 s2, 0xc090cc00, v[26:27]
	v_ldexp_f64 v[42:43], v[53:54], v44
	v_fma_f64 v[53:54], v[47:48], v[55:56], s[22:23]
	v_fma_f64 v[55:56], v[34:35], s[6:7], v[28:29]
	;; [unrolled: 1-line block ×3, first 2 shown]
	v_mul_f64 v[57:58], v[10:11], s[12:13]
	v_lshlrev_b64 v[39:40], 3, v[0:1]
	s_and_b32 s1, s2, s1
	v_cndmask_b32_e32 v15, 0x7ff00000, v43, vcc_lo
	v_add_nc_u32_e32 v0, s37, v0
	s_and_b32 vcc_lo, s0, vcc_lo
	v_add_co_u32 v32, s3, s10, v39
	v_add_co_ci_u32_e64 v33, null, s11, v40, s3
	global_store_dwordx2 v[32:33], v[51:52], off
	v_cndmask_b32_e64 v32, 0, v38, s1
	v_cndmask_b32_e64 v33, 0, v7, s2
	v_lshlrev_b64 v[51:52], 3, v[0:1]
	v_add_nc_u32_e32 v0, s33, v0
	v_fma_f64 v[43:44], v[47:48], v[53:54], s[24:25]
	v_fma_f64 v[40:41], v[34:35], s[8:9], v[55:56]
	v_fma_f64 v[26:27], v[49:50], v[26:27], 1.0
	v_rndne_f64_e32 v[38:39], v[57:58]
	v_mul_f64 v[53:54], v[32:33], s[64:65]
	v_lshlrev_b64 v[57:58], 3, v[0:1]
	v_cndmask_b32_e32 v55, 0, v42, vcc_lo
	v_add_co_u32 v51, vcc_lo, s10, v51
	v_cvt_i32_f64_e32 v7, v[45:46]
	v_add_co_ci_u32_e64 v52, null, s11, v52, vcc_lo
	v_add_co_u32 v57, vcc_lo, s10, v57
	v_cndmask_b32_e64 v56, 0, v15, s0
	v_add_co_ci_u32_e64 v58, null, s11, v58, vcc_lo
	s_mov_b32 s0, 0xa9c205c9
	s_mov_b32 s1, 0x4037376a
	global_store_dwordx2 v[51:52], v[55:56], off
	v_mul_f64 v[51:52], v[32:33], s[72:73]
	v_mul_f64 v[32:33], v[32:33], s[48:49]
	v_fma_f64 v[42:43], v[47:48], v[43:44], s[34:35]
	v_fma_f64 v[59:60], v[40:41], s[16:17], s[14:15]
	v_fma_f64 v[49:50], v[49:50], v[26:27], 1.0
	v_fma_f64 v[44:45], v[38:39], s[6:7], v[10:11]
	v_fma_f64 v[26:27], v[2:3], s[54:55], s[0:1]
	global_store_dwordx2 v[57:58], v[53:54], off
	v_mad_u64_u32 v[53:54], null, s33, 21, v[0:1]
	v_mov_b32_e32 v54, v1
	v_cmp_ngt_f64_e64 s0, 0xc090cc00, v[36:37]
	s_mov_b32 s2, 0x95810625
	s_mov_b32 s3, 0xc0224b43
	;; [unrolled: 1-line block ×3, first 2 shown]
	v_lshlrev_b64 v[54:55], 3, v[53:54]
	v_fma_f64 v[42:43], v[47:48], v[42:43], s[30:31]
	v_fma_f64 v[56:57], v[40:41], v[59:60], s[18:19]
	v_mad_u64_u32 v[58:59], null, s33, 34, v[53:54]
	v_fma_f64 v[44:45], v[38:39], s[8:9], v[44:45]
	v_add_co_u32 v53, vcc_lo, s10, v54
	v_add_co_ci_u32_e64 v54, null, s11, v55, vcc_lo
	v_mov_b32_e32 v59, v1
	v_ldexp_f64 v[49:50], v[49:50], v7
	v_cvt_i32_f64_e32 v7, v[24:25]
	global_store_dwordx2 v[53:54], v[51:52], off
	v_mul_f64 v[51:52], v[26:27], s[12:13]
	v_lshlrev_b64 v[59:60], 3, v[58:59]
	v_add_co_u32 v53, vcc_lo, s10, v59
	v_add_co_ci_u32_e64 v54, null, s11, v60, vcc_lo
	v_fma_f64 v[42:43], v[47:48], v[42:43], s[28:29]
	v_fma_f64 v[55:56], v[40:41], v[56:57], s[20:21]
	v_cmp_nlt_f64_e32 vcc_lo, 0x40900000, v[36:37]
	v_fma_f64 v[59:60], v[44:45], s[16:17], s[14:15]
	global_store_dwordx2 v[53:54], v[32:33], off
	v_rndne_f64_e32 v[36:37], v[51:52]
	v_fma_f64 v[42:43], v[47:48], v[42:43], s[26:27]
	v_cndmask_b32_e32 v0, 0x7ff00000, v50, vcc_lo
	v_fma_f64 v[50:51], v[40:41], v[55:56], s[22:23]
	v_fma_f64 v[55:56], v[44:45], v[59:60], s[18:19]
	v_mad_u64_u32 v[57:58], null, 0xffffffca, s33, v[58:59]
	v_mov_b32_e32 v58, v1
	v_cndmask_b32_e64 v52, 0, v0, s0
	s_and_b32 vcc_lo, s0, vcc_lo
	s_mov_b32 s0, 0xe113abae
	v_fma_f64 v[32:33], v[36:37], s[6:7], v[26:27]
	s_mov_b32 s1, 0x404bd570
	v_lshlrev_b64 v[53:54], 3, v[57:58]
	v_add_nc_u32_e32 v0, s33, v57
	v_lshlrev_b64 v[60:61], 3, v[0:1]
	v_add_nc_u32_e32 v0, s33, v0
	v_fma_f64 v[42:43], v[47:48], v[42:43], 1.0
	v_fma_f64 v[58:59], v[40:41], v[50:51], s[24:25]
	v_fma_f64 v[55:56], v[44:45], v[55:56], s[20:21]
	v_cndmask_b32_e32 v51, 0, v49, vcc_lo
	v_add_co_u32 v53, vcc_lo, s10, v53
	v_add_co_ci_u32_e64 v54, null, s11, v54, vcc_lo
	v_fma_f64 v[49:50], v[36:37], s[8:9], v[32:33]
	v_fma_f64 v[32:33], v[4:5], s[52:53], s[0:1]
	s_mov_b32 s0, 0xa75cd0bb
	s_mov_b32 s1, 0xc0c24c71
	global_store_dwordx2 v[53:54], v[51:52], off
	v_lshlrev_b64 v[51:52], 3, v[0:1]
	v_add_co_u32 v53, vcc_lo, s10, v60
	v_add_co_ci_u32_e64 v54, null, s11, v61, vcc_lo
	v_add_nc_u32_e32 v0, s33, v0
	v_fma_f64 v[42:43], v[47:48], v[42:43], 1.0
	v_add_co_u32 v51, vcc_lo, s10, v51
	v_fma_f64 v[46:47], v[40:41], v[58:59], s[34:35]
	v_fma_f64 v[55:56], v[44:45], v[55:56], s[22:23]
	v_add_co_ci_u32_e64 v52, null, s11, v52, vcc_lo
	global_store_dwordx2 v[53:54], v[12:13], off
	global_store_dwordx2 v[51:52], v[16:17], off
	v_lshlrev_b64 v[12:13], 3, v[0:1]
	v_fma_f64 v[57:58], v[49:50], s[16:17], s[14:15]
	v_fma_f64 v[24:25], v[2:3], s[0:1], v[32:33]
	s_mov_b32 s0, 0x7bb2fec5
	s_mov_b32 s1, 0x40581d72
	v_add_nc_u32_e32 v0, s33, v0
	v_fma_f64 v[51:52], v[4:5], s[2:3], s[0:1]
	v_add_co_u32 v12, vcc_lo, s10, v12
	v_mov_b32_e32 v53, s66
	v_lshlrev_b64 v[59:60], 3, v[0:1]
	v_add_co_ci_u32_e64 v13, null, s11, v13, vcc_lo
	v_ldexp_f64 v[32:33], v[42:43], v7
	v_mov_b32_e32 v54, s67
	v_fma_f64 v[42:43], v[40:41], v[46:47], s[30:31]
	v_fma_f64 v[46:47], v[44:45], v[55:56], s[24:25]
	s_mov_b32 s2, 0x2617c1be
	s_mov_b32 s3, 0xc0d70c37
	global_store_dwordx2 v[12:13], v[53:54], off
	v_add_co_u32 v12, vcc_lo, s10, v59
	v_add_co_ci_u32_e64 v13, null, s11, v60, vcc_lo
	v_fma_f64 v[55:56], v[49:50], v[57:58], s[18:19]
	v_mul_f64 v[57:58], v[24:25], s[12:13]
	v_cmp_nlt_f64_e32 vcc_lo, 0x40900000, v[30:31]
	v_cmp_ngt_f64_e64 s0, 0xc090cc00, v[30:31]
	v_fma_f64 v[30:31], v[2:3], s[2:3], v[51:52]
	global_store_dwordx2 v[12:13], v[53:54], off
	v_add_nc_u32_e32 v0, s33, v0
	v_cmp_ngt_f64_e64 s2, 0xc090cc00, v[10:11]
	s_mov_b32 s67, 0x42b5d3ef
	v_lshlrev_b64 v[59:60], 3, v[0:1]
	v_add_nc_u32_e32 v0, s33, v0
	v_fma_f64 v[51:52], v[40:41], v[42:43], s[28:29]
	v_fma_f64 v[46:47], v[44:45], v[46:47], s[34:35]
	v_add_co_u32 v53, s1, s10, v59
	v_add_co_ci_u32_e64 v54, null, s11, v60, s1
	v_cmp_nlt_f64_e64 s1, 0x40900000, v[10:11]
	v_fma_f64 v[12:13], v[49:50], v[55:56], s[20:21]
	v_rndne_f64_e32 v[42:43], v[57:58]
	v_mov_b32_e32 v55, 0xdaac0000
	v_mov_b32_e32 v56, 0x42bb6287
	v_mul_f64 v[57:58], v[30:31], s[12:13]
	v_cndmask_b32_e32 v7, 0x7ff00000, v33, vcc_lo
	s_and_b32 vcc_lo, s0, vcc_lo
	global_store_dwordx2 v[53:54], v[55:56], off
	v_cndmask_b32_e32 v53, 0, v32, vcc_lo
	v_mul_f64 v[32:33], v[2:3], s[50:51]
	v_lshlrev_b64 v[55:56], 3, v[0:1]
	v_cndmask_b32_e64 v54, 0, v7, s0
	v_fma_f64 v[51:52], v[40:41], v[51:52], s[26:27]
	v_fma_f64 v[46:47], v[44:45], v[46:47], s[30:31]
	v_cvt_i32_f64_e32 v7, v[34:35]
	v_cmp_ngt_f64_e64 s0, 0xc090cc00, v[28:29]
	v_add_co_u32 v55, vcc_lo, s10, v55
	v_add_co_ci_u32_e64 v56, null, s11, v56, vcc_lo
	v_cmp_nlt_f64_e32 vcc_lo, 0x40900000, v[28:29]
	v_fma_f64 v[12:13], v[49:50], v[12:13], s[22:23]
	v_fma_f64 v[59:60], v[42:43], s[6:7], v[24:25]
	global_store_dwordx2 v[55:56], v[53:54], off
	s_mov_b32 s50, 0xe22d8722
	s_mov_b32 s51, 0x403db5e0
	v_add_nc_u32_e32 v0, s33, v0
	v_fma_f64 v[10:11], v[4:5], s[44:45], s[50:51]
	s_mov_b32 s44, 0x652bd3c3
	s_mov_b32 s45, 0xc0e5cfd1
	v_mul_f64 v[55:56], v[32:33], s[12:13]
	v_fma_f64 v[51:52], v[40:41], v[51:52], 1.0
	v_fma_f64 v[61:62], v[44:45], v[46:47], s[28:29]
	v_rndne_f64_e32 v[46:47], v[57:58]
	v_fma_f64 v[12:13], v[49:50], v[12:13], s[24:25]
	v_fma_f64 v[53:54], v[42:43], s[8:9], v[59:60]
	v_rndne_f64_e32 v[34:35], v[55:56]
	v_fma_f64 v[40:41], v[40:41], v[51:52], 1.0
	v_fma_f64 v[57:58], v[44:45], v[61:62], s[26:27]
	v_fma_f64 v[59:60], v[46:47], s[6:7], v[30:31]
	;; [unrolled: 1-line block ×4, first 2 shown]
	v_ldexp_f64 v[40:41], v[40:41], v7
	v_fma_f64 v[55:56], v[44:45], v[57:58], 1.0
	v_fma_f64 v[51:52], v[46:47], s[8:9], v[59:60]
	v_fma_f64 v[59:60], v[34:35], s[6:7], v[32:33]
	v_cvt_i32_f64_e32 v7, v[38:39]
	v_fma_f64 v[12:13], v[49:50], v[12:13], s[30:31]
	v_fma_f64 v[57:58], v[53:54], v[61:62], s[18:19]
	v_cndmask_b32_e32 v15, 0x7ff00000, v41, vcc_lo
	v_fma_f64 v[44:45], v[44:45], v[55:56], 1.0
	v_fma_f64 v[55:56], v[51:52], s[16:17], s[14:15]
	v_fma_f64 v[38:39], v[34:35], s[8:9], v[59:60]
	s_and_b32 vcc_lo, s0, vcc_lo
	v_fma_f64 v[12:13], v[49:50], v[12:13], s[28:29]
	v_fma_f64 v[57:58], v[53:54], v[57:58], s[20:21]
	v_ldexp_f64 v[28:29], v[44:45], v7
	v_fma_f64 v[55:56], v[51:52], v[55:56], s[18:19]
	v_fma_f64 v[12:13], v[49:50], v[12:13], s[26:27]
	;; [unrolled: 1-line block ×4, first 2 shown]
	v_cndmask_b32_e64 v7, 0x7ff00000, v29, s1
	v_fma_f64 v[55:56], v[51:52], v[55:56], s[20:21]
	v_cvt_i32_f64_e32 v29, v[36:37]
	v_fma_f64 v[12:13], v[49:50], v[12:13], 1.0
	v_fma_f64 v[44:45], v[53:54], v[44:45], s[24:25]
	v_fma_f64 v[57:58], v[38:39], v[57:58], s[18:19]
	;; [unrolled: 1-line block ×3, first 2 shown]
	v_fma_f64 v[48:49], v[49:50], v[12:13], 1.0
	v_fma_f64 v[36:37], v[53:54], v[44:45], s[34:35]
	v_fma_f64 v[44:45], v[38:39], v[57:58], s[20:21]
	v_fma_f64 v[12:13], v[2:3], s[44:45], v[10:11]
	v_lshlrev_b64 v[57:58], 3, v[0:1]
	s_mov_b32 s44, 0x524b266f
	v_cndmask_b32_e32 v10, 0, v40, vcc_lo
	s_mov_b32 s45, 0x403bb53e
	v_cndmask_b32_e64 v11, 0, v15, s0
	v_fma_f64 v[59:60], v[4:5], s[60:61], s[44:45]
	v_add_co_u32 v40, vcc_lo, s10, v57
	v_add_co_ci_u32_e64 v41, null, s11, v58, vcc_lo
	v_add_nc_u32_e32 v0, s33, v0
	v_fma_f64 v[55:56], v[51:52], v[55:56], s[24:25]
	s_and_b32 vcc_lo, s2, s1
	global_store_dwordx2 v[40:41], v[10:11], off
	v_cndmask_b32_e32 v10, 0, v28, vcc_lo
	v_cndmask_b32_e64 v11, 0, v7, s2
	s_mov_b32 s2, 0xad96a6a0
	s_mov_b32 s3, 0xc08c9ed5
	v_ldexp_f64 v[40:41], v[48:49], v29
	v_fma_f64 v[36:37], v[53:54], v[36:37], s[30:31]
	v_fma_f64 v[44:45], v[38:39], v[44:45], s[22:23]
	v_mul_f64 v[57:58], v[12:13], s[12:13]
	v_lshlrev_b64 v[48:49], 3, v[0:1]
	v_cmp_ngt_f64_e64 s0, 0xc090cc00, v[26:27]
	v_add_nc_u32_e32 v0, s33, v0
	s_mov_b32 s44, 0x89a02752
	s_mov_b32 s45, 0xc0bb8508
	v_add_co_u32 v28, vcc_lo, s10, v48
	v_add_co_ci_u32_e64 v29, null, s11, v49, vcc_lo
	v_cmp_nlt_f64_e32 vcc_lo, 0x40900000, v[26:27]
	v_fma_f64 v[48:49], v[51:52], v[55:56], s[34:35]
	v_fma_f64 v[26:27], v[2:3], s[2:3], v[59:60]
	global_store_dwordx2 v[28:29], v[10:11], off
	s_mov_b32 s2, 0xc84f8f8a
	s_mov_b32 s3, 0x4031bdce
	v_lshlrev_b64 v[10:11], 3, v[0:1]
	v_fma_f64 v[55:56], v[4:5], s[4:5], s[2:3]
	v_add_nc_u32_e32 v0, s33, v0
	v_fma_f64 v[28:29], v[53:54], v[36:37], s[28:29]
	v_fma_f64 v[44:45], v[38:39], v[44:45], s[24:25]
	v_rndne_f64_e32 v[36:37], v[57:58]
	v_add_co_u32 v10, s1, s10, v10
	v_add_co_ci_u32_e64 v11, null, s11, v11, s1
	s_mov_b32 s2, 0x1172ef0b
	s_mov_b32 s3, 0xc09d681f
	;; [unrolled: 1-line block ×3, first 2 shown]
	global_store_dwordx2 v[10:11], v[20:21], off
	v_lshlrev_b64 v[20:21], 3, v[0:1]
	v_add_nc_u32_e32 v0, s33, v0
	v_cndmask_b32_e32 v7, 0x7ff00000, v41, vcc_lo
	v_fma_f64 v[48:49], v[51:52], v[48:49], s[30:31]
	v_mul_f64 v[59:60], v[26:27], s[12:13]
	s_and_b32 vcc_lo, s0, vcc_lo
	v_cndmask_b32_e64 v11, 0, v7, s0
	s_mov_b32 s0, 0xe5c91d15
	s_mov_b32 s1, 0xc0b974a7
	v_cndmask_b32_e32 v10, 0, v40, vcc_lo
	v_fma_f64 v[40:41], v[53:54], v[28:29], s[26:27]
	v_fma_f64 v[57:58], v[38:39], v[44:45], s[34:35]
	;; [unrolled: 1-line block ×4, first 2 shown]
	v_add_co_u32 v20, vcc_lo, s10, v20
	v_add_co_ci_u32_e64 v21, null, s11, v21, vcc_lo
	v_cvt_i32_f64_e32 v7, v[42:43]
	s_mov_b32 s0, 0x88d7aa76
	s_mov_b32 s1, 0x403087bb
	global_store_dwordx2 v[20:21], v[10:11], off
	v_mov_b32_e32 v20, 0xe4010000
	v_mov_b32_e32 v21, 0x42d489e5
	v_fma_f64 v[61:62], v[51:52], v[48:49], s[28:29]
	v_lshlrev_b64 v[48:49], 3, v[0:1]
	v_add_nc_u32_e32 v0, s33, v0
	v_add_co_u32 v10, vcc_lo, s10, v48
	v_add_co_ci_u32_e64 v11, null, s11, v49, vcc_lo
	v_fma_f64 v[44:45], v[36:37], s[8:9], v[44:45]
	v_fma_f64 v[55:56], v[38:39], v[57:58], s[30:31]
	v_rndne_f64_e32 v[48:49], v[59:60]
	v_fma_f64 v[40:41], v[53:54], v[40:41], 1.0
	global_store_dwordx2 v[10:11], v[20:21], off
	v_mul_f64 v[20:21], v[28:29], s[12:13]
	v_lshlrev_b64 v[57:58], 3, v[0:1]
	v_bfrev_b32_e32 v59, 42
	v_mov_b32_e32 v60, 0x4256d141
	v_add_nc_u32_e32 v0, s33, v0
	v_fma_f64 v[10:11], v[51:52], v[61:62], s[26:27]
	v_add_co_u32 v57, vcc_lo, s10, v57
	v_add_co_ci_u32_e64 v58, null, s11, v58, vcc_lo
	global_store_dwordx2 v[57:58], v[59:60], off
	v_fma_f64 v[42:43], v[44:45], s[16:17], s[14:15]
	v_fma_f64 v[55:56], v[38:39], v[55:56], s[28:29]
	;; [unrolled: 1-line block ×3, first 2 shown]
	v_fma_f64 v[53:54], v[53:54], v[40:41], 1.0
	v_rndne_f64_e32 v[40:41], v[20:21]
	v_fma_f64 v[59:60], v[51:52], v[10:11], 1.0
	v_lshlrev_b64 v[10:11], 3, v[0:1]
	v_add_nc_u32_e32 v0, s33, v0
	v_fma_f64 v[20:21], v[44:45], v[42:43], s[18:19]
	v_fma_f64 v[55:56], v[38:39], v[55:56], s[26:27]
	;; [unrolled: 1-line block ×3, first 2 shown]
	v_add_co_u32 v57, vcc_lo, s10, v10
	v_add_co_ci_u32_e64 v58, null, s11, v11, vcc_lo
	v_mov_b32_e32 v10, 0x1e900000
	v_mov_b32_e32 v11, 0x42b6bcc4
	v_ldexp_f64 v[53:54], v[53:54], v7
	v_cvt_i32_f64_e32 v7, v[46:47]
	v_fma_f64 v[46:47], v[40:41], s[6:7], v[28:29]
	v_fma_f64 v[50:51], v[51:52], v[59:60], 1.0
	global_store_dwordx2 v[57:58], v[10:11], off
	v_fma_f64 v[57:58], v[4:5], s[70:71], s[0:1]
	v_cmp_nlt_f64_e32 vcc_lo, 0x40900000, v[24:25]
	v_cmp_ngt_f64_e64 s0, 0xc090cc00, v[24:25]
	v_fma_f64 v[59:60], v[44:45], v[20:21], s[20:21]
	v_fma_f64 v[55:56], v[38:39], v[55:56], 1.0
	v_fma_f64 v[24:25], v[42:43], s[16:17], s[14:15]
	v_fma_f64 v[46:47], v[40:41], s[8:9], v[46:47]
	v_ldexp_f64 v[50:51], v[50:51], v7
	v_cvt_i32_f64_e32 v7, v[34:35]
	v_fma_f64 v[20:21], v[2:3], s[2:3], v[57:58]
	v_lshlrev_b64 v[34:35], 3, v[0:1]
	v_cndmask_b32_e32 v11, 0x7ff00000, v54, vcc_lo
	s_and_b32 vcc_lo, s0, vcc_lo
	s_mov_b32 s2, 0x6a875d57
	v_cndmask_b32_e32 v53, 0, v53, vcc_lo
	s_mov_b32 s3, 0xc05bad4a
	v_add_co_u32 v34, vcc_lo, s10, v34
	v_fma_f64 v[38:39], v[38:39], v[55:56], 1.0
	v_fma_f64 v[24:25], v[42:43], v[24:25], s[18:19]
	v_fma_f64 v[57:58], v[44:45], v[59:60], s[22:23]
	v_cndmask_b32_e64 v54, 0, v11, s0
	v_add_co_ci_u32_e64 v35, null, s11, v35, vcc_lo
	v_cmp_nlt_f64_e32 vcc_lo, 0x40900000, v[30:31]
	v_cmp_ngt_f64_e64 s0, 0xc090cc00, v[30:31]
	v_add_nc_u32_e32 v0, s33, v0
	global_store_dwordx2 v[34:35], v[53:54], off
	v_fma_f64 v[55:56], v[46:47], s[16:17], s[14:15]
	v_mul_f64 v[30:31], v[20:21], s[12:13]
	v_ldexp_f64 v[34:35], v[38:39], v7
	v_fma_f64 v[24:25], v[42:43], v[24:25], s[20:21]
	v_mul_f64 v[38:39], v[2:3], s[2:3]
	s_mov_b32 s2, 0xb295e9e2
	s_mov_b32 s3, 0xc0dde0e4
	v_cndmask_b32_e32 v11, 0x7ff00000, v51, vcc_lo
	v_fma_f64 v[51:52], v[44:45], v[57:58], s[24:25]
	v_lshlrev_b64 v[57:58], 3, v[0:1]
	s_and_b32 vcc_lo, s0, vcc_lo
	v_fma_f64 v[53:54], v[46:47], v[55:56], s[18:19]
	v_cndmask_b32_e32 v55, 0, v50, vcc_lo
	v_cndmask_b32_e64 v56, 0, v11, s0
	v_rndne_f64_e32 v[30:31], v[30:31]
	v_add_nc_u32_e32 v0, s33, v0
	v_cmp_ngt_f64_e64 s0, 0xc090cc00, v[32:33]
	v_mul_f64 v[34:35], v[34:35], s[48:49]
	v_fma_f64 v[59:60], v[42:43], v[24:25], s[22:23]
	v_fma_f64 v[24:25], v[4:5], s[68:69], v[38:39]
	v_add_co_u32 v38, vcc_lo, s10, v57
	v_add_co_ci_u32_e64 v39, null, s11, v58, vcc_lo
	v_fma_f64 v[50:51], v[44:45], v[51:52], s[34:35]
	v_lshlrev_b64 v[57:58], 3, v[0:1]
	v_add_nc_u32_e32 v0, s33, v0
	v_fma_f64 v[52:53], v[46:47], v[53:54], s[20:21]
	global_store_dwordx2 v[38:39], v[55:56], off
	v_mov_b32_e32 v56, 0x81e80000
	v_fma_f64 v[38:39], v[30:31], s[6:7], v[20:21]
	v_add_co_u32 v54, vcc_lo, s10, v57
	v_add_co_ci_u32_e64 v55, null, s11, v58, vcc_lo
	v_cmp_nlt_f64_e32 vcc_lo, 0x40900000, v[32:33]
	v_lshlrev_b64 v[32:33], 3, v[0:1]
	v_add_nc_u32_e32 v0, s33, v0
	global_store_dwordx2 v[54:55], v[22:23], off
	v_mov_b32_e32 v57, 0x42d476b0
	v_fma_f64 v[22:23], v[42:43], v[59:60], s[24:25]
	v_mul_f64 v[54:55], v[24:25], s[12:13]
	v_add_co_u32 v32, s1, s10, v32
	v_add_co_ci_u32_e64 v33, null, s11, v33, s1
	v_fma_f64 v[50:51], v[44:45], v[50:51], s[30:31]
	v_fma_f64 v[52:53], v[46:47], v[52:53], s[22:23]
	global_store_dwordx2 v[32:33], v[56:57], off
	v_fma_f64 v[58:59], v[30:31], s[8:9], v[38:39]
	v_lshlrev_b64 v[38:39], 3, v[0:1]
	v_add_nc_u32_e32 v0, s33, v0
	v_cndmask_b32_e32 v7, 0x7ff00000, v35, vcc_lo
	s_and_b32 vcc_lo, s0, vcc_lo
	v_lshlrev_b64 v[56:57], 3, v[0:1]
	v_cndmask_b32_e32 v34, 0, v34, vcc_lo
	v_add_co_u32 v38, vcc_lo, s10, v38
	v_rndne_f64_e32 v[32:33], v[54:55]
	v_add_co_ci_u32_e64 v39, null, s11, v39, vcc_lo
	v_add_co_u32 v54, vcc_lo, s10, v56
	v_fma_f64 v[50:51], v[44:45], v[50:51], s[28:29]
	v_fma_f64 v[22:23], v[42:43], v[22:23], s[34:35]
	v_add_co_ci_u32_e64 v55, null, s11, v57, vcc_lo
	v_fma_f64 v[52:53], v[46:47], v[52:53], s[24:25]
	v_cndmask_b32_e64 v35, 0, v7, s0
	v_fma_f64 v[56:57], v[58:59], s[16:17], s[14:15]
	global_store_dwordx2 v[38:39], v[34:35], off
	global_store_dwordx2 v[54:55], v[34:35], off
	v_add_nc_u32_e32 v0, s37, v0
	s_mov_b32 s0, 0x290fc3c2
	s_mov_b32 s1, 0x402e3161
	v_cvt_i32_f64_e32 v7, v[36:37]
	v_lshlrev_b64 v[34:35], 3, v[0:1]
	v_fma_f64 v[38:39], v[32:33], s[6:7], v[24:25]
	v_add_nc_u32_e32 v0, s33, v0
	v_fma_f64 v[50:51], v[44:45], v[50:51], s[26:27]
	v_fma_f64 v[22:23], v[42:43], v[22:23], s[30:31]
	v_add_co_u32 v34, vcc_lo, s10, v34
	v_fma_f64 v[52:53], v[46:47], v[52:53], s[34:35]
	v_add_co_ci_u32_e64 v35, null, s11, v35, vcc_lo
	v_fma_f64 v[54:55], v[58:59], v[56:57], s[18:19]
	v_bfrev_b32_e32 v56, 60
	v_mov_b32_e32 v57, 0x42404c53
	global_store_dwordx2 v[34:35], v[56:57], off
	v_fma_f64 v[34:35], v[4:5], 2.0, s[0:1]
	s_mov_b32 s0, 0xab8a5ce6
	v_fma_f64 v[56:57], v[32:33], s[8:9], v[38:39]
	s_mov_b32 s1, 0xc093a82a
	v_fma_f64 v[50:51], v[44:45], v[50:51], 1.0
	v_fma_f64 v[22:23], v[42:43], v[22:23], s[28:29]
	v_fma_f64 v[38:39], v[46:47], v[52:53], s[30:31]
	;; [unrolled: 1-line block ×3, first 2 shown]
	v_lshlrev_b64 v[54:55], 3, v[0:1]
	v_add_nc_u32_e32 v0, s33, v0
	v_fma_f64 v[36:37], v[2:3], s[0:1], v[34:35]
	v_add_co_u32 v34, vcc_lo, s10, v54
	v_add_co_ci_u32_e64 v35, null, s11, v55, vcc_lo
	s_mov_b32 s0, 0xd95a79c9
	s_mov_b32 s1, 0x403f5f99
	v_fma_f64 v[44:45], v[44:45], v[50:51], 1.0
	v_fma_f64 v[50:51], v[56:57], s[16:17], s[14:15]
	v_fma_f64 v[22:23], v[42:43], v[22:23], s[26:27]
	v_cmp_nlt_f64_e32 vcc_lo, 0x40900000, v[12:13]
	v_fma_f64 v[38:39], v[46:47], v[38:39], s[28:29]
	v_fma_f64 v[52:53], v[58:59], v[52:53], s[22:23]
	v_ldexp_f64 v[54:55], v[44:45], v7
	v_mul_f64 v[44:45], v[36:37], s[12:13]
	v_fma_f64 v[50:51], v[56:57], v[50:51], s[18:19]
	v_fma_f64 v[22:23], v[42:43], v[22:23], 1.0
	v_fma_f64 v[38:39], v[46:47], v[38:39], s[26:27]
	v_cvt_i32_f64_e32 v7, v[48:49]
	v_fma_f64 v[52:53], v[58:59], v[52:53], s[24:25]
	v_cndmask_b32_e32 v15, 0x7ff00000, v55, vcc_lo
	v_rndne_f64_e32 v[44:45], v[44:45]
	v_fma_f64 v[50:51], v[56:57], v[50:51], s[20:21]
	v_fma_f64 v[42:43], v[42:43], v[22:23], 1.0
	v_fma_f64 v[38:39], v[46:47], v[38:39], 1.0
	v_fma_f64 v[22:23], v[2:3], s[2:3], s[0:1]
	v_cmp_ngt_f64_e64 s0, 0xc090cc00, v[12:13]
	v_fma_f64 v[48:49], v[58:59], v[52:53], s[34:35]
	s_mov_b32 s2, 0xb196e661
	s_mov_b32 s3, 0x403c52fc
	v_fma_f64 v[11:12], v[44:45], s[6:7], v[36:37]
	v_fma_f64 v[50:51], v[56:57], v[50:51], s[22:23]
	v_ldexp_f64 v[42:43], v[42:43], v7
	v_fma_f64 v[46:47], v[46:47], v[38:39], 1.0
	v_cvt_i32_f64_e32 v7, v[40:41]
	s_and_b32 vcc_lo, s0, vcc_lo
	v_fma_f64 v[38:39], v[58:59], v[48:49], s[30:31]
	v_mul_f64 v[48:49], v[22:23], s[12:13]
	v_fma_f64 v[40:41], v[44:45], s[8:9], v[11:12]
	v_fma_f64 v[50:51], v[56:57], v[50:51], s[24:25]
	v_bfrev_b32_e32 v11, 11
	v_mov_b32_e32 v12, 0x4210c388
	v_ldexp_f64 v[46:47], v[46:47], v7
	v_fma_f64 v[52:53], v[58:59], v[38:39], s[28:29]
	v_rndne_f64_e32 v[38:39], v[48:49]
	global_store_dwordx2 v[34:35], v[11:12], off
	v_lshlrev_b64 v[34:35], 3, v[0:1]
	v_cndmask_b32_e64 v12, 0, v15, s0
	v_cndmask_b32_e32 v11, 0, v54, vcc_lo
	v_cmp_nlt_f64_e32 vcc_lo, 0x40900000, v[26:27]
	v_cmp_ngt_f64_e64 s0, 0xc090cc00, v[26:27]
	v_add_nc_u32_e32 v0, s33, v0
	v_add_co_u32 v26, s1, s10, v34
	v_add_co_ci_u32_e64 v27, null, s11, v35, s1
	v_fma_f64 v[34:35], v[2:3], s[44:45], s[2:3]
	s_mov_b32 s2, 0xe92ba824
	s_mov_b32 s3, 0x403ea072
	v_fma_f64 v[48:49], v[40:41], s[16:17], s[14:15]
	v_fma_f64 v[50:51], v[56:57], v[50:51], s[34:35]
	global_store_dwordx2 v[26:27], v[11:12], off
	v_lshlrev_b64 v[11:12], 3, v[0:1]
	v_cvt_i32_f64_e32 v15, v[32:33]
	s_mov_b32 s44, 0x595d6968
	v_fma_f64 v[26:27], v[58:59], v[52:53], s[26:27]
	v_fma_f64 v[52:53], v[38:39], s[6:7], v[22:23]
	s_mov_b32 s45, 0x4028aa58
	v_cmp_nlt_f64_e64 s1, 0x40900000, v[24:25]
	v_add_nc_u32_e32 v0, s33, v0
	v_cndmask_b32_e32 v13, 0x7ff00000, v43, vcc_lo
	s_and_b32 vcc_lo, s0, vcc_lo
	v_cndmask_b32_e32 v54, 0, v42, vcc_lo
	v_add_co_u32 v60, vcc_lo, s10, v11
	v_cndmask_b32_e64 v55, 0, v13, s0
	v_add_co_ci_u32_e64 v61, null, s11, v12, vcc_lo
	v_cmp_nlt_f64_e32 vcc_lo, 0x40900000, v[28:29]
	v_fma_f64 v[11:12], v[40:41], v[48:49], s[18:19]
	v_cmp_ngt_f64_e64 s0, 0xc090cc00, v[28:29]
	v_fma_f64 v[28:29], v[56:57], v[50:51], s[30:31]
	v_mul_f64 v[42:43], v[34:35], s[12:13]
	v_cvt_i32_f64_e32 v13, v[30:31]
	global_store_dwordx2 v[60:61], v[54:55], off
	v_fma_f64 v[26:27], v[58:59], v[26:27], 1.0
	v_fma_f64 v[50:51], v[38:39], s[8:9], v[52:53]
	v_cndmask_b32_e32 v7, 0x7ff00000, v47, vcc_lo
	v_fma_f64 v[11:12], v[40:41], v[11:12], s[20:21]
	s_and_b32 vcc_lo, s0, vcc_lo
	v_fma_f64 v[47:48], v[56:57], v[28:29], s[28:29]
	v_rndne_f64_e32 v[28:29], v[42:43]
	v_cndmask_b32_e64 v49, 0, v7, s0
	v_cmp_ngt_f64_e64 s0, 0xc090cc00, v[20:21]
	v_fma_f64 v[26:27], v[58:59], v[26:27], 1.0
	v_fma_f64 v[42:43], v[50:51], s[16:17], s[14:15]
	v_fma_f64 v[11:12], v[40:41], v[11:12], s[22:23]
	v_fma_f64 v[30:31], v[56:57], v[47:48], s[26:27]
	v_fma_f64 v[47:48], v[28:29], s[6:7], v[34:35]
	v_ldexp_f64 v[26:27], v[26:27], v13
	v_fma_f64 v[52:53], v[50:51], v[42:43], s[18:19]
	v_fma_f64 v[11:12], v[40:41], v[11:12], s[24:25]
	v_fma_f64 v[30:31], v[56:57], v[30:31], 1.0
	v_fma_f64 v[42:43], v[28:29], s[8:9], v[47:48]
	v_fma_f64 v[47:48], v[50:51], v[52:53], s[20:21]
	;; [unrolled: 1-line block ×3, first 2 shown]
	v_fma_f64 v[30:31], v[56:57], v[30:31], 1.0
	v_fma_f64 v[52:53], v[42:43], s[16:17], s[14:15]
	v_fma_f64 v[47:48], v[50:51], v[47:48], s[22:23]
	;; [unrolled: 1-line block ×7, first 2 shown]
	v_cmp_ngt_f64_e64 s2, 0xc090cc00, v[24:25]
	v_fma_f64 v[32:33], v[42:43], v[52:53], s[20:21]
	v_fma_f64 v[47:48], v[50:51], v[47:48], s[34:35]
	;; [unrolled: 1-line block ×3, first 2 shown]
	v_ldexp_f64 v[56:57], v[30:31], v15
	v_mul_f64 v[58:59], v[11:12], s[12:13]
	v_fma_f64 v[30:31], v[42:43], v[32:33], s[22:23]
	v_mul_f64 v[32:33], v[18:19], s[12:13]
	v_cvt_i32_f64_e32 v15, v[44:45]
	v_fma_f64 v[54:55], v[50:51], v[47:48], s[30:31]
	v_cndmask_b32_e32 v48, 0, v46, vcc_lo
	v_cmp_nlt_f64_e32 vcc_lo, 0x40900000, v[20:21]
	v_lshlrev_b64 v[46:47], 3, v[0:1]
	v_add_nc_u32_e32 v0, s33, v0
	v_add_co_u32 v46, s3, s10, v46
	v_add_co_ci_u32_e64 v47, null, s11, v47, s3
	v_fma_f64 v[20:21], v[40:41], v[52:53], 1.0
	v_fma_f64 v[52:53], v[4:5], 2.0, s[44:45]
	s_mov_b32 s44, 0xe5215769
	v_fma_f64 v[24:25], v[42:43], v[30:31], s[24:25]
	v_rndne_f64_e32 v[30:31], v[32:33]
	v_rndne_f64_e32 v[32:33], v[58:59]
	s_mov_b32 s45, 0xc0b21597
	v_fma_f64 v[54:55], v[50:51], v[54:55], s[28:29]
	global_store_dwordx2 v[46:47], v[48:49], off
	v_cndmask_b32_e64 v13, 0x7ff00000, v57, s1
	v_cndmask_b32_e32 v7, 0x7ff00000, v27, vcc_lo
	s_and_b32 vcc_lo, s0, vcc_lo
	v_cndmask_b32_e32 v26, 0, v26, vcc_lo
	s_and_b32 vcc_lo, s2, s1
	v_cndmask_b32_e64 v57, 0, v13, s2
	v_cndmask_b32_e32 v56, 0, v56, vcc_lo
	v_cndmask_b32_e64 v27, 0, v7, s0
	v_cmp_ngt_f64_e64 s0, 0xc090cc00, v[36:37]
	s_mov_b32 s2, 0x496249a1
	s_mov_b32 s3, 0x403a85b9
	v_mul_f64 v[58:59], 0x41724f80, v[56:57]
	v_fma_f64 v[20:21], v[40:41], v[20:21], 1.0
	v_lshlrev_b64 v[40:41], 3, v[0:1]
	v_add_nc_u32_e32 v0, s33, v0
	v_fma_f64 v[44:45], v[42:43], v[24:25], s[34:35]
	v_fma_f64 v[46:47], v[30:31], s[6:7], v[18:19]
	v_fma_f64 v[24:25], v[2:3], s[44:45], v[52:53]
	s_mov_b32 s44, 0x63dc486b
	v_fma_f64 v[52:53], v[50:51], v[54:55], s[26:27]
	v_fma_f64 v[54:55], v[32:33], s[6:7], v[11:12]
	v_add_co_u32 v40, vcc_lo, s10, v40
	v_add_co_ci_u32_e64 v41, null, s11, v41, vcc_lo
	s_mov_b32 s45, 0xc0ae4589
	v_cvt_i32_f64_e32 v13, v[38:39]
	global_store_dwordx2 v[40:41], v[26:27], off
	v_mul_f64 v[40:41], 0x41177000, v[56:57]
	v_ldexp_f64 v[60:61], v[20:21], v15
	v_lshlrev_b64 v[20:21], 3, v[0:1]
	v_add_nc_u32_e32 v0, s33, v0
	v_fma_f64 v[26:27], v[42:43], v[44:45], s[30:31]
	v_fma_f64 v[48:49], v[30:31], s[8:9], v[46:47]
	v_mul_f64 v[44:45], v[24:25], s[12:13]
	v_fma_f64 v[52:53], v[50:51], v[52:53], 1.0
	v_fma_f64 v[46:47], v[32:33], s[8:9], v[54:55]
	v_add_co_u32 v20, vcc_lo, s10, v20
	v_lshlrev_b64 v[54:55], 3, v[0:1]
	v_add_co_ci_u32_e64 v21, null, s11, v21, vcc_lo
	v_cmp_nlt_f64_e32 vcc_lo, 0x40900000, v[36:37]
	v_add_nc_u32_e32 v0, s33, v0
	global_store_dwordx2 v[20:21], v[58:59], off
	v_add_co_u32 v20, s1, s10, v54
	v_add_co_ci_u32_e64 v21, null, s11, v55, s1
	v_fma_f64 v[26:27], v[42:43], v[26:27], s[28:29]
	v_fma_f64 v[36:37], v[48:49], s[16:17], s[14:15]
	global_store_dwordx2 v[20:21], v[40:41], off
	v_rndne_f64_e32 v[40:41], v[44:45]
	v_fma_f64 v[50:51], v[50:51], v[52:53], 1.0
	v_fma_f64 v[52:53], v[46:47], s[16:17], s[14:15]
	v_fma_f64 v[20:21], v[2:3], s[44:45], s[2:3]
	v_lshlrev_b64 v[44:45], 3, v[0:1]
	v_add_nc_u32_e32 v0, s33, v0
	s_mov_b32 s2, 0xe8427419
	s_mov_b32 s3, 0xc07ea220
	v_cndmask_b32_e32 v7, 0x7ff00000, v61, vcc_lo
	s_and_b32 vcc_lo, s0, vcc_lo
	v_cndmask_b32_e32 v38, 0, v60, vcc_lo
	v_add_co_u32 v44, vcc_lo, s10, v44
	v_cndmask_b32_e64 v39, 0, v7, s0
	s_mov_b32 s0, 0xa83e781
	s_mov_b32 s1, 0x404465b3
	v_add_co_ci_u32_e64 v45, null, s11, v45, vcc_lo
	v_fma_f64 v[26:27], v[42:43], v[26:27], s[26:27]
	v_fma_f64 v[36:37], v[48:49], v[36:37], s[18:19]
	v_fma_f64 v[56:57], v[4:5], s[40:41], s[0:1]
	v_fma_f64 v[54:55], v[40:41], s[6:7], v[24:25]
	s_mov_b32 s0, 0x9f40a287
	v_fma_f64 v[52:53], v[46:47], v[52:53], s[18:19]
	v_mul_f64 v[60:61], v[20:21], s[12:13]
	s_mov_b32 s1, 0xc088d8a8
	v_ldexp_f64 v[58:59], v[50:51], v13
	v_cvt_i32_f64_e32 v7, v[28:29]
	global_store_dwordx2 v[44:45], v[38:39], off
	v_cmp_nlt_f64_e32 vcc_lo, 0x40900000, v[22:23]
	v_cvt_i32_f64_e32 v15, v[40:41]
	s_mov_b32 s40, 0xdd82fd7
	s_mov_b32 s41, 0xc0a65e9b
	v_fma_f64 v[64:65], v[42:43], v[26:27], 1.0
	v_fma_f64 v[62:63], v[48:49], v[36:37], s[20:21]
	v_fma_f64 v[26:27], v[2:3], s[0:1], v[56:57]
	;; [unrolled: 1-line block ×3, first 2 shown]
	v_cmp_ngt_f64_e64 s0, 0xc090cc00, v[22:23]
	v_fma_f64 v[52:53], v[46:47], v[52:53], s[20:21]
	v_rndne_f64_e32 v[36:37], v[60:61]
	v_lshlrev_b64 v[56:57], 3, v[0:1]
	v_add_nc_u32_e32 v0, s33, v0
	v_cndmask_b32_e32 v13, 0x7ff00000, v59, vcc_lo
	v_fma_f64 v[42:43], v[42:43], v[64:65], 1.0
	v_fma_f64 v[54:55], v[48:49], v[62:63], s[22:23]
	v_mul_f64 v[38:39], v[26:27], s[12:13]
	v_fma_f64 v[28:29], v[50:51], s[16:17], s[14:15]
	s_and_b32 vcc_lo, s0, vcc_lo
	v_fma_f64 v[44:45], v[46:47], v[52:53], s[22:23]
	v_fma_f64 v[52:53], v[36:37], s[6:7], v[20:21]
	;; [unrolled: 1-line block ×3, first 2 shown]
	v_ldexp_f64 v[54:55], v[42:43], v7
	v_fma_f64 v[28:29], v[50:51], v[28:29], s[18:19]
	v_rndne_f64_e32 v[38:39], v[38:39]
	v_fma_f64 v[44:45], v[46:47], v[44:45], s[24:25]
	v_fma_f64 v[42:43], v[36:37], s[8:9], v[52:53]
	v_cndmask_b32_e32 v52, 0, v58, vcc_lo
	v_add_co_u32 v56, vcc_lo, s10, v56
	v_cndmask_b32_e64 v53, 0, v13, s0
	v_add_co_ci_u32_e64 v57, null, s11, v57, vcc_lo
	v_cmp_nlt_f64_e32 vcc_lo, 0x40900000, v[34:35]
	v_cmp_ngt_f64_e64 s0, 0xc090cc00, v[34:35]
	v_cvt_i32_f64_e32 v13, v[32:33]
	global_store_dwordx2 v[56:57], v[52:53], off
	v_fma_f64 v[22:23], v[48:49], v[22:23], s[34:35]
	v_fma_f64 v[28:29], v[50:51], v[28:29], s[20:21]
	;; [unrolled: 1-line block ×5, first 2 shown]
	v_cndmask_b32_e32 v7, 0x7ff00000, v55, vcc_lo
	s_and_b32 vcc_lo, s0, vcc_lo
	v_cndmask_b32_e32 v57, 0, v54, vcc_lo
	v_fma_f64 v[22:23], v[48:49], v[22:23], s[30:31]
	v_fma_f64 v[55:56], v[50:51], v[28:29], s[22:23]
	;; [unrolled: 1-line block ×5, first 2 shown]
	v_lshlrev_b64 v[28:29], 3, v[0:1]
	v_cndmask_b32_e64 v58, 0, v7, s0
	s_mov_b32 s0, 0x7d7a7f22
	s_mov_b32 s1, 0x4036e2f7
	v_cvt_i32_f64_e32 v7, v[30:31]
	v_add_nc_u32_e32 v0, s33, v0
	v_add_co_u32 v59, vcc_lo, s10, v28
	v_add_co_ci_u32_e64 v60, null, s11, v29, vcc_lo
	v_fma_f64 v[28:29], v[2:3], s[2:3], s[0:1]
	s_mov_b32 s0, 0x2c3bc82d
	s_mov_b32 s1, 0x40328f79
	global_store_dwordx2 v[59:60], v[57:58], off
	v_cmp_nlt_f64_e32 vcc_lo, 0x40900000, v[18:19]
	s_mov_b32 s2, 0x6d50657
	v_fma_f64 v[22:23], v[48:49], v[22:23], s[28:29]
	s_mov_b32 s3, 0x40325027
	v_fma_f64 v[54:55], v[50:51], v[55:56], s[24:25]
	v_fma_f64 v[56:57], v[44:45], s[16:17], s[14:15]
	;; [unrolled: 1-line block ×4, first 2 shown]
	v_mul_f64 v[58:59], v[28:29], s[12:13]
	v_fma_f64 v[22:23], v[48:49], v[22:23], s[26:27]
	v_fma_f64 v[54:55], v[50:51], v[54:55], s[34:35]
	;; [unrolled: 1-line block ×5, first 2 shown]
	v_rndne_f64_e32 v[34:35], v[58:59]
	v_fma_f64 v[22:23], v[48:49], v[22:23], 1.0
	v_fma_f64 v[54:55], v[50:51], v[54:55], s[30:31]
	v_fma_f64 v[56:57], v[44:45], v[56:57], s[20:21]
	v_fma_f64 v[58:59], v[46:47], v[60:61], 1.0
	v_fma_f64 v[52:53], v[42:43], v[52:53], s[24:25]
	v_mov_b32_e32 v60, 0x1200000
	v_mov_b32_e32 v61, 0x42ad2d35
	v_fma_f64 v[22:23], v[48:49], v[22:23], 1.0
	v_fma_f64 v[48:49], v[34:35], s[6:7], v[28:29]
	v_fma_f64 v[30:31], v[50:51], v[54:55], s[28:29]
	;; [unrolled: 1-line block ×3, first 2 shown]
	v_fma_f64 v[56:57], v[46:47], v[58:59], 1.0
	v_fma_f64 v[58:59], v[4:5], s[58:59], s[0:1]
	v_fma_f64 v[52:53], v[42:43], v[52:53], s[34:35]
	s_mov_b32 s0, 0x69c23b79
	s_mov_b32 s1, 0xc0ad9a71
	s_mov_b32 s59, 0x3ffa6666
	v_ldexp_f64 v[32:33], v[22:23], v7
	v_fma_f64 v[46:47], v[34:35], s[8:9], v[48:49]
	v_fma_f64 v[30:31], v[50:51], v[30:31], s[26:27]
	;; [unrolled: 1-line block ×3, first 2 shown]
	v_ldexp_f64 v[56:57], v[56:57], v13
	v_fma_f64 v[22:23], v[2:3], s[0:1], v[58:59]
	v_fma_f64 v[52:53], v[42:43], v[52:53], s[30:31]
	v_cmp_ngt_f64_e64 s0, 0xc090cc00, v[18:19]
	v_cmp_nlt_f64_e64 s1, 0x40900000, v[11:12]
	v_cndmask_b32_e32 v7, 0x7ff00000, v33, vcc_lo
	v_fma_f64 v[54:55], v[46:47], s[16:17], s[14:15]
	v_fma_f64 v[30:31], v[50:51], v[30:31], 1.0
	v_fma_f64 v[48:49], v[44:45], v[48:49], s[34:35]
	v_mul_f64 v[18:19], v[22:23], s[12:13]
	v_fma_f64 v[52:53], v[42:43], v[52:53], s[28:29]
	s_and_b32 vcc_lo, s0, vcc_lo
	v_cndmask_b32_e64 v33, 0, v7, s0
	v_cndmask_b32_e32 v32, 0, v32, vcc_lo
	v_cndmask_b32_e64 v13, 0x7ff00000, v57, s1
	v_cmp_ngt_f64_e64 s0, 0xc090cc00, v[24:25]
	v_fma_f64 v[54:55], v[46:47], v[54:55], s[18:19]
	v_fma_f64 v[50:51], v[50:51], v[30:31], 1.0
	v_fma_f64 v[40:41], v[44:45], v[48:49], s[30:31]
	v_rndne_f64_e32 v[30:31], v[18:19]
	v_fma_f64 v[18:19], v[4:5], s[42:43], s[2:3]
	v_fma_f64 v[48:49], v[42:43], v[52:53], s[26:27]
	v_cmp_ngt_f64_e64 s2, 0xc090cc00, v[11:12]
	v_lshlrev_b64 v[11:12], 3, v[0:1]
	v_add_nc_u32_e32 v0, s33, v0
	v_add_co_u32 v11, vcc_lo, s10, v11
	v_add_co_ci_u32_e64 v12, null, s11, v12, vcc_lo
	global_store_dwordx2 v[11:12], v[32:33], off
	v_fma_f64 v[52:53], v[46:47], v[54:55], s[20:21]
	v_ldexp_f64 v[32:33], v[50:51], v15
	v_fma_f64 v[11:12], v[44:45], v[40:41], s[28:29]
	v_lshlrev_b64 v[50:51], 3, v[0:1]
	v_fma_f64 v[40:41], v[30:31], s[6:7], v[22:23]
	v_fma_f64 v[18:19], v[2:3], s[40:41], v[18:19]
	v_fma_f64 v[48:49], v[42:43], v[48:49], 1.0
	v_add_nc_u32_e32 v0, s33, v0
	s_and_b32 vcc_lo, s2, s1
	v_cndmask_b32_e64 v55, 0, v13, s2
	v_cndmask_b32_e32 v54, 0, v56, vcc_lo
	v_add_co_u32 v50, vcc_lo, s10, v50
	v_lshlrev_b64 v[56:57], 3, v[0:1]
	s_mov_b32 s2, 0x385e155f
	s_mov_b32 s40, 0x8f5c28f6
	v_add_co_ci_u32_e64 v51, null, s11, v51, vcc_lo
	s_mov_b32 s3, 0x402e28c6
	v_add_co_u32 v56, vcc_lo, s10, v56
	s_mov_b32 s41, 0x4000f5c2
	v_fma_f64 v[52:53], v[46:47], v[52:53], s[22:23]
	v_add_co_ci_u32_e64 v57, null, s11, v57, vcc_lo
	v_cmp_nlt_f64_e32 vcc_lo, 0x40900000, v[24:25]
	v_fma_f64 v[11:12], v[44:45], v[11:12], s[26:27]
	v_fma_f64 v[40:41], v[30:31], s[8:9], v[40:41]
	v_mul_f64 v[24:25], v[18:19], s[12:13]
	v_fma_f64 v[42:43], v[42:43], v[48:49], 1.0
	v_fma_f64 v[48:49], v[4:5], s[40:41], s[2:3]
	s_mov_b32 s2, 0xa8fc0d2c
	s_mov_b32 s3, 0xc07b5cc6
	v_cvt_i32_f64_e32 v13, v[36:37]
	v_add_nc_u32_e32 v0, s33, v0
	v_cvt_i32_f64_e32 v15, v[38:39]
	global_store_dwordx2 v[50:51], v[54:55], off
	s_mov_b32 s40, 0x820e6299
	global_store_dwordx2 v[56:57], v[8:9], off
	s_mov_b32 s41, 0x40714c4e
	v_fma_f64 v[52:53], v[46:47], v[52:53], s[24:25]
	v_cndmask_b32_e32 v7, 0x7ff00000, v33, vcc_lo
	v_fma_f64 v[58:59], v[44:45], v[11:12], 1.0
	v_fma_f64 v[36:37], v[40:41], s[16:17], s[14:15]
	v_rndne_f64_e32 v[11:12], v[24:25]
	s_and_b32 vcc_lo, s0, vcc_lo
	v_fma_f64 v[24:25], v[2:3], s[2:3], v[48:49]
	v_cndmask_b32_e32 v32, 0, v32, vcc_lo
	v_cndmask_b32_e64 v33, 0, v7, s0
	v_ldexp_f64 v[38:39], v[42:43], v13
	v_lshlrev_b64 v[42:43], 3, v[0:1]
	v_add_nc_u32_e32 v0, s33, v0
	v_cmp_ngt_f64_e64 s0, 0xc090cc00, v[20:21]
	s_mov_b32 s2, 0x176f885
	s_mov_b32 s3, 0x403f51e5
	v_lshlrev_b64 v[54:55], 3, v[0:1]
	v_add_co_u32 v42, s1, s10, v42
	v_add_co_ci_u32_e64 v43, null, s11, v43, s1
	v_fma_f64 v[48:49], v[46:47], v[52:53], s[34:35]
	v_add_co_u32 v54, vcc_lo, s10, v54
	v_fma_f64 v[44:45], v[44:45], v[58:59], 1.0
	v_fma_f64 v[36:37], v[40:41], v[36:37], s[18:19]
	v_fma_f64 v[50:51], v[11:12], s[6:7], v[18:19]
	v_add_co_ci_u32_e64 v55, null, s11, v55, vcc_lo
	v_mul_f64 v[52:53], v[24:25], s[12:13]
	v_cmp_nlt_f64_e32 vcc_lo, 0x40900000, v[20:21]
	v_fma_f64 v[20:21], v[2:3], s[40:41], s[2:3]
	s_mov_b32 s2, 0x4ef60759
	s_mov_b32 s3, 0x402f42bb
	global_store_dwordx2 v[42:43], v[8:9], off
	global_store_dwordx2 v[54:55], v[32:33], off
	v_fma_f64 v[42:43], v[4:5], s[38:39], s[2:3]
	v_add_nc_u32_e32 v0, s33, v0
	v_cmp_nlt_f64_e64 s1, 0x40900000, v[26:27]
	v_cmp_ngt_f64_e64 s2, 0xc090cc00, v[26:27]
	s_mov_b32 s38, 0x3ae685db
	s_mov_b32 s39, 0xc0b48a9d
	v_lshlrev_b64 v[7:8], 3, v[0:1]
	v_add_nc_u32_e32 v0, s33, v0
	v_fma_f64 v[48:49], v[46:47], v[48:49], s[30:31]
	v_ldexp_f64 v[56:57], v[44:45], v15
	v_fma_f64 v[58:59], v[40:41], v[36:37], s[20:21]
	v_fma_f64 v[44:45], v[11:12], s[8:9], v[50:51]
	v_mov_b32_e32 v15, 0x427d1a94
	v_rndne_f64_e32 v[36:37], v[52:53]
	v_cndmask_b32_e32 v13, 0x7ff00000, v39, vcc_lo
	s_and_b32 vcc_lo, s0, vcc_lo
	v_mul_f64 v[52:53], v[20:21], s[12:13]
	v_cndmask_b32_e32 v26, 0, v38, vcc_lo
	v_add_co_u32 v7, vcc_lo, s10, v7
	v_cndmask_b32_e64 v27, 0, v13, s0
	v_add_co_ci_u32_e64 v8, null, s11, v8, vcc_lo
	s_and_b32 vcc_lo, s2, s1
	global_store_dwordx2 v[7:8], v[26:27], off
	v_fma_f64 v[32:33], v[46:47], v[48:49], s[28:29]
	v_fma_f64 v[26:27], v[2:3], s[38:39], v[42:43]
	v_cndmask_b32_e64 v9, 0x7ff00000, v57, s1
	v_fma_f64 v[38:39], v[40:41], v[58:59], s[22:23]
	v_fma_f64 v[48:49], v[44:45], s[16:17], s[14:15]
	v_cndmask_b32_e32 v42, 0, v56, vcc_lo
	s_mov_b32 s0, 0x2e000000
	v_fma_f64 v[50:51], v[36:37], s[6:7], v[24:25]
	v_cndmask_b32_e64 v43, 0, v9, s2
	v_cvt_i32_f64_e32 v9, v[34:35]
	s_mov_b32 s1, 0x42517659
	s_mov_b32 s2, 0xb7564303
	;; [unrolled: 1-line block ×3, first 2 shown]
	v_fma_f64 v[7:8], v[46:47], v[32:33], s[26:27]
	v_lshlrev_b64 v[32:33], 3, v[0:1]
	v_add_nc_u32_e32 v0, s33, v0
	v_fma_f64 v[56:57], v[40:41], v[38:39], s[24:25]
	v_fma_f64 v[58:59], v[44:45], v[48:49], s[18:19]
	v_rndne_f64_e32 v[38:39], v[52:53]
	v_mul_f64 v[52:53], v[26:27], s[12:13]
	v_fma_f64 v[48:49], v[36:37], s[8:9], v[50:51]
	v_lshlrev_b64 v[54:55], 3, v[0:1]
	v_add_nc_u32_e32 v0, s33, v0
	v_add_co_u32 v32, vcc_lo, s10, v32
	v_add_co_ci_u32_e64 v33, null, s11, v33, vcc_lo
	v_add_co_u32 v50, vcc_lo, s10, v54
	v_add_co_ci_u32_e64 v51, null, s11, v55, vcc_lo
	v_lshlrev_b64 v[54:55], 3, v[0:1]
	v_add_nc_u32_e32 v0, s33, v0
	global_store_dwordx2 v[32:33], v[42:43], off
	global_store_dwordx2 v[50:51], v[14:15], off
	v_fma_f64 v[7:8], v[46:47], v[7:8], 1.0
	v_lshlrev_b64 v[32:33], 3, v[0:1]
	v_add_co_u32 v13, vcc_lo, s10, v54
	v_add_co_ci_u32_e64 v14, null, s11, v55, vcc_lo
	v_fma_f64 v[42:43], v[40:41], v[56:57], s[34:35]
	v_fma_f64 v[50:51], v[44:45], v[58:59], s[20:21]
	;; [unrolled: 1-line block ×3, first 2 shown]
	v_add_co_u32 v58, vcc_lo, s10, v32
	v_fma_f64 v[56:57], v[38:39], s[6:7], v[20:21]
	v_add_co_ci_u32_e64 v59, null, s11, v33, vcc_lo
	v_rndne_f64_e32 v[32:33], v[52:53]
	v_add_nc_u32_e32 v0, s33, v0
	v_bfrev_b32_e32 v52, 4
	v_mov_b32_e32 v53, 0x4212a05f
	v_fma_f64 v[7:8], v[46:47], v[7:8], 1.0
	v_mov_b32_e32 v46, 0x20b40000
	v_mov_b32_e32 v47, 0x42d23c41
	global_store_dwordx2 v[13:14], v[60:61], off
	global_store_dwordx2 v[58:59], v[46:47], off
	v_lshlrev_b64 v[13:14], 3, v[0:1]
	v_fma_f64 v[34:35], v[40:41], v[42:43], s[30:31]
	v_fma_f64 v[42:43], v[44:45], v[50:51], s[22:23]
	;; [unrolled: 1-line block ×3, first 2 shown]
	v_add_nc_u32_e32 v0, s33, v0
	v_mov_b32_e32 v59, s1
	v_fma_f64 v[46:47], v[38:39], s[8:9], v[56:57]
	v_add_co_u32 v13, vcc_lo, s10, v13
	v_fma_f64 v[56:57], v[32:33], s[6:7], v[26:27]
	v_lshlrev_b64 v[54:55], 3, v[0:1]
	v_add_co_ci_u32_e64 v14, null, s11, v14, vcc_lo
	v_add_nc_u32_e32 v0, s33, v0
	v_mov_b32_e32 v58, s0
	v_ldexp_f64 v[7:8], v[7:8], v9
	global_store_dwordx2 v[13:14], v[52:53], off
	v_add_co_u32 v13, vcc_lo, s10, v54
	v_add_co_ci_u32_e64 v14, null, s11, v55, vcc_lo
	v_lshlrev_b64 v[60:61], 3, v[0:1]
	v_cmp_ngt_f64_e64 s0, 0xc090cc00, v[28:29]
	v_fma_f64 v[34:35], v[40:41], v[34:35], s[28:29]
	v_fma_f64 v[52:53], v[44:45], v[42:43], s[24:25]
	;; [unrolled: 1-line block ×3, first 2 shown]
	global_store_dwordx2 v[13:14], v[58:59], off
	v_add_co_u32 v13, vcc_lo, s10, v60
	v_fma_f64 v[54:55], v[46:47], s[16:17], s[14:15]
	v_add_co_ci_u32_e64 v14, null, s11, v61, vcc_lo
	v_fma_f64 v[42:43], v[32:33], s[8:9], v[56:57]
	v_cmp_nlt_f64_e32 vcc_lo, 0x40900000, v[28:29]
	v_add_nc_u32_e32 v0, s33, v0
	global_store_dwordx2 v[13:14], v[58:59], off
	v_cvt_i32_f64_e32 v60, v[11:12]
	v_fma_f64 v[13:14], v[40:41], v[34:35], s[26:27]
	v_fma_f64 v[28:29], v[44:45], v[52:53], s[34:35]
	;; [unrolled: 1-line block ×5, first 2 shown]
	v_cndmask_b32_e32 v15, 0x7ff00000, v8, vcc_lo
	v_lshlrev_b64 v[8:9], 3, v[0:1]
	s_and_b32 vcc_lo, s0, vcc_lo
	v_add_nc_u32_e32 v0, s33, v0
	v_cndmask_b32_e32 v56, 0, v7, vcc_lo
	v_cndmask_b32_e64 v57, 0, v15, s0
	v_cvt_i32_f64_e32 v7, v[30:31]
	v_add_co_u32 v52, s1, s10, v8
	v_add_co_ci_u32_e64 v53, null, s11, v9, s1
	s_mov_b32 s0, 0x4e8ed94c
	s_mov_b32 s1, 0x403e3802
	v_fma_f64 v[13:14], v[40:41], v[13:14], 1.0
	v_fma_f64 v[58:59], v[48:49], v[34:35], s[24:25]
	v_fma_f64 v[28:29], v[44:45], v[28:29], s[30:31]
	;; [unrolled: 1-line block ×3, first 2 shown]
	v_mov_b32_e32 v8, s66
	v_fma_f64 v[50:51], v[46:47], v[50:51], s[20:21]
	v_mov_b32_e32 v9, s67
	s_mov_b32 s0, 0x7683141c
	v_fma_f64 v[54:55], v[42:43], v[54:55], s[18:19]
	s_mov_b32 s2, 0x51eb851f
	s_mov_b32 s1, 0x4049903d
	global_store_dwordx2 v[52:53], v[8:9], off
	v_lshlrev_b64 v[52:53], 3, v[0:1]
	s_mov_b32 s3, 0xc0031eb8
	v_add_nc_u32_e32 v0, s33, v0
	v_add_co_u32 v52, vcc_lo, s10, v52
	v_add_co_ci_u32_e64 v53, null, s11, v53, vcc_lo
	v_fma_f64 v[13:14], v[40:41], v[13:14], 1.0
	v_fma_f64 v[58:59], v[48:49], v[58:59], s[34:35]
	v_fma_f64 v[28:29], v[44:45], v[28:29], s[28:29]
	global_store_dwordx2 v[52:53], v[56:57], off
	v_fma_f64 v[52:53], v[4:5], s[2:3], s[0:1]
	v_fma_f64 v[40:41], v[46:47], v[50:51], s[22:23]
	v_cmp_nlt_f64_e32 vcc_lo, 0x40900000, v[22:23]
	s_mov_b32 s2, 0x5bea0ba2
	v_fma_f64 v[50:51], v[42:43], v[54:55], s[20:21]
	v_mul_f64 v[54:55], v[34:35], s[12:13]
	s_mov_b32 s3, 0xc0b5f9f6
	v_cmp_ngt_f64_e64 s0, 0xc090cc00, v[22:23]
	v_ldexp_f64 v[13:14], v[13:14], v7
	v_fma_f64 v[58:59], v[48:49], v[58:59], s[30:31]
	v_fma_f64 v[28:29], v[44:45], v[28:29], s[26:27]
	;; [unrolled: 1-line block ×4, first 2 shown]
	s_mov_b32 s2, 0xabaa3d56
	s_mov_b32 s3, 0x4028164c
	v_fma_f64 v[50:51], v[42:43], v[50:51], s[22:23]
	v_rndne_f64_e32 v[40:41], v[54:55]
	v_fma_f64 v[52:53], 0x40040000, v[4:5], s[2:3]
	s_mov_b32 s2, 0xc154c986
	s_mov_b32 s3, 0xc06491a8
	v_cndmask_b32_e32 v7, 0x7ff00000, v14, vcc_lo
	v_fma_f64 v[54:55], v[48:49], v[58:59], s[28:29]
	v_fma_f64 v[28:29], v[44:45], v[28:29], 1.0
	v_lshlrev_b64 v[14:15], 3, v[0:1]
	s_and_b32 vcc_lo, s0, vcc_lo
	v_fma_f64 v[30:31], v[46:47], v[30:31], s[34:35]
	v_add_nc_u32_e32 v0, s33, v0
	v_fma_f64 v[50:51], v[42:43], v[50:51], s[24:25]
	v_fma_f64 v[58:59], v[40:41], s[6:7], v[34:35]
	v_add_co_u32 v11, s1, s10, v14
	v_add_co_ci_u32_e64 v12, null, s11, v15, s1
	v_fma_f64 v[54:55], v[48:49], v[54:55], s[26:27]
	v_fma_f64 v[28:29], v[44:45], v[28:29], 1.0
	v_fma_f64 v[30:31], v[46:47], v[30:31], s[30:31]
	v_fma_f64 v[50:51], v[42:43], v[50:51], s[34:35]
	;; [unrolled: 1-line block ×3, first 2 shown]
	v_mul_f64 v[58:59], v[22:23], s[12:13]
	v_fma_f64 v[14:15], v[48:49], v[54:55], 1.0
	v_mov_b32_e32 v54, 0x57e00000
	v_mov_b32_e32 v55, 0x42db48eb
	v_ldexp_f64 v[60:61], v[28:29], v60
	v_fma_f64 v[30:31], v[46:47], v[30:31], s[28:29]
	v_lshlrev_b64 v[28:29], 3, v[0:1]
	v_add_nc_u32_e32 v0, s33, v0
	v_fma_f64 v[50:51], v[42:43], v[50:51], s[30:31]
	v_fma_f64 v[56:57], v[44:45], s[16:17], s[14:15]
	global_store_dwordx2 v[11:12], v[54:55], off
	v_cndmask_b32_e64 v55, 0, v7, s0
	s_mov_b32 s0, 0xba5e353f
	s_mov_b32 s1, 0xc0939409
	v_cndmask_b32_e32 v54, 0, v13, vcc_lo
	v_fma_f64 v[12:13], v[2:3], s[0:1], v[52:53]
	s_mov_b32 s0, 0x5bd5e9ac
	s_mov_b32 s1, 0x40329a5e
	v_cvt_i32_f64_e32 v7, v[36:37]
	v_fma_f64 v[36:37], v[4:5], s[58:59], s[0:1]
	v_add_co_u32 v28, vcc_lo, s10, v28
	v_add_co_ci_u32_e64 v29, null, s11, v29, vcc_lo
	v_fma_f64 v[14:15], v[48:49], v[14:15], 1.0
	v_cmp_nlt_f64_e32 vcc_lo, 0x40900000, v[18:19]
	v_cmp_ngt_f64_e64 s0, 0xc090cc00, v[18:19]
	v_fma_f64 v[48:49], v[46:47], v[30:31], s[26:27]
	v_rndne_f64_e32 v[30:31], v[58:59]
	global_store_dwordx2 v[28:29], v[54:55], off
	v_fma_f64 v[50:51], v[42:43], v[50:51], s[28:29]
	v_fma_f64 v[52:53], v[44:45], v[56:57], s[18:19]
	v_lshlrev_b64 v[54:55], 3, v[0:1]
	v_add_nc_u32_e32 v0, s33, v0
	v_mul_f64 v[18:19], v[12:13], s[12:13]
	v_ldexp_f64 v[56:57], v[14:15], v7
	v_fma_f64 v[14:15], v[2:3], s[2:3], v[36:37]
	v_cndmask_b32_e32 v11, 0x7ff00000, v61, vcc_lo
	v_fma_f64 v[36:37], v[46:47], v[48:49], 1.0
	s_and_b32 vcc_lo, s0, vcc_lo
	s_mov_b32 s2, 0x96d670ba
	v_fma_f64 v[48:49], v[42:43], v[50:51], s[26:27]
	v_fma_f64 v[50:51], v[44:45], v[52:53], s[20:21]
	;; [unrolled: 1-line block ×3, first 2 shown]
	s_mov_b32 s3, 0x40315ef0
	v_rndne_f64_e32 v[28:29], v[18:19]
	v_cndmask_b32_e64 v19, 0, v11, s0
	v_cndmask_b32_e32 v18, 0, v60, vcc_lo
	v_cmp_nlt_f64_e32 vcc_lo, 0x40900000, v[24:25]
	v_cmp_ngt_f64_e64 s0, 0xc090cc00, v[24:25]
	v_cvt_i32_f64_e32 v11, v[38:39]
	v_add_co_u32 v38, s1, s10, v54
	v_add_co_ci_u32_e64 v39, null, s11, v55, s1
	v_mul_f64 v[24:25], v[14:15], s[12:13]
	v_fma_f64 v[54:55], v[4:5], s[58:59], s[2:3]
	v_fma_f64 v[46:47], v[46:47], v[36:37], 1.0
	global_store_dwordx2 v[38:39], v[18:19], off
	s_mov_b32 s59, 0x3fe66666
	v_fma_f64 v[48:49], v[42:43], v[48:49], 1.0
	v_fma_f64 v[50:51], v[44:45], v[50:51], s[22:23]
	v_fma_f64 v[36:37], v[30:31], s[8:9], v[52:53]
	s_mov_b32 s2, 0xf91e646f
	s_mov_b32 s3, 0xc0a71dd3
	v_fma_f64 v[52:53], v[28:29], s[6:7], v[12:13]
	v_cndmask_b32_e32 v7, 0x7ff00000, v57, vcc_lo
	s_and_b32 vcc_lo, s0, vcc_lo
	v_rndne_f64_e32 v[38:39], v[24:25]
	v_cndmask_b32_e64 v25, 0, v7, s0
	v_cvt_i32_f64_e32 v7, v[32:33]
	v_cndmask_b32_e32 v24, 0, v56, vcc_lo
	v_ldexp_f64 v[56:57], v[46:47], v11
	v_lshlrev_b64 v[46:47], 3, v[0:1]
	v_fma_f64 v[50:51], v[44:45], v[50:51], s[24:25]
	v_fma_f64 v[32:33], v[36:37], s[16:17], s[14:15]
	s_mov_b32 s0, 0x8ec52a41
	s_mov_b32 s1, 0x407e9206
	v_fma_f64 v[48:49], v[42:43], v[48:49], 1.0
	v_fma_f64 v[18:19], v[2:3], s[0:1], v[54:55]
	s_mov_b32 s0, 0x92245a52
	v_add_co_u32 v46, vcc_lo, s10, v46
	s_mov_b32 s1, 0x4039ea8d
	v_fma_f64 v[42:43], v[28:29], s[8:9], v[52:53]
	v_add_co_ci_u32_e64 v47, null, s11, v47, vcc_lo
	v_fma_f64 v[54:55], v[4:5], s[58:59], s[0:1]
	v_cmp_nlt_f64_e32 vcc_lo, 0x40900000, v[20:21]
	v_cmp_ngt_f64_e64 s0, 0xc090cc00, v[20:21]
	v_fma_f64 v[52:53], v[38:39], s[6:7], v[14:15]
	global_store_dwordx2 v[46:47], v[24:25], off
	v_add_nc_u32_e32 v0, s33, v0
	v_cmp_nlt_f64_e64 s1, 0x40900000, v[26:27]
	v_fma_f64 v[50:51], v[44:45], v[50:51], s[34:35]
	v_fma_f64 v[32:33], v[36:37], v[32:33], s[18:19]
	v_ldexp_f64 v[48:49], v[48:49], v7
	v_fma_f64 v[24:25], v[42:43], s[16:17], s[14:15]
	v_fma_f64 v[20:21], v[2:3], s[2:3], v[54:55]
	v_cndmask_b32_e32 v7, 0x7ff00000, v57, vcc_lo
	v_mul_f64 v[57:58], v[18:19], s[12:13]
	v_fma_f64 v[46:47], v[38:39], s[8:9], v[52:53]
	v_lshlrev_b64 v[52:53], 3, v[0:1]
	s_and_b32 vcc_lo, s0, vcc_lo
	v_cmp_ngt_f64_e64 s2, 0xc090cc00, v[26:27]
	v_cndmask_b32_e32 v26, 0, v56, vcc_lo
	v_cndmask_b32_e64 v27, 0, v7, s0
	v_fma_f64 v[50:51], v[44:45], v[50:51], s[30:31]
	v_fma_f64 v[32:33], v[36:37], v[32:33], s[20:21]
	v_add_co_u32 v52, vcc_lo, s10, v52
	v_add_co_ci_u32_e64 v53, null, s11, v53, vcc_lo
	v_cndmask_b32_e64 v11, 0x7ff00000, v49, s1
	v_add_nc_u32_e32 v0, s33, v0
	v_cvt_i32_f64_e32 v7, v[40:41]
	global_store_dwordx2 v[52:53], v[26:27], off
	v_fma_f64 v[54:55], v[42:43], v[24:25], s[18:19]
	v_cmp_ngt_f64_e64 s0, 0xc090cc00, v[34:35]
	v_mul_f64 v[52:53], v[20:21], s[12:13]
	v_rndne_f64_e32 v[24:25], v[57:58]
	v_fma_f64 v[26:27], v[46:47], s[16:17], s[14:15]
	v_lshlrev_b64 v[56:57], 3, v[0:1]
	v_add_nc_u32_e32 v0, s33, v0
	s_and_b32 vcc_lo, s2, s1
	v_cndmask_b32_e64 v59, 0, v11, s2
	v_cndmask_b32_e32 v58, 0, v48, vcc_lo
	v_fma_f64 v[49:50], v[44:45], v[50:51], s[28:29]
	v_fma_f64 v[32:33], v[36:37], v[32:33], s[22:23]
	v_add_co_u32 v56, vcc_lo, s10, v56
	v_add_co_ci_u32_e64 v57, null, s11, v57, vcc_lo
	v_mov_b32_e32 v11, 0x42e6bcc4
	s_mov_b32 s2, 0xbdcd5589
	s_mov_b32 s3, 0x402de4d1
	global_store_dwordx2 v[56:57], v[58:59], off
	v_fma_f64 v[54:55], v[42:43], v[54:55], s[20:21]
	v_fma_f64 v[60:61], v[24:25], s[6:7], v[18:19]
	;; [unrolled: 1-line block ×3, first 2 shown]
	v_rndne_f64_e32 v[26:27], v[52:53]
	v_lshlrev_b64 v[52:53], 3, v[0:1]
	v_add_nc_u32_e32 v0, s37, v0
	s_mov_b32 s37, 0xc0075c28
	v_fma_f64 v[48:49], v[44:45], v[49:50], s[26:27]
	v_fma_f64 v[50:51], v[36:37], v[32:33], s[24:25]
	v_add_co_u32 v52, vcc_lo, s10, v52
	v_add_co_ci_u32_e64 v53, null, s11, v53, vcc_lo
	global_store_dwordx2 v[52:53], v[10:11], off
	v_fma_f64 v[54:55], v[42:43], v[54:55], s[22:23]
	v_fma_f64 v[32:33], v[24:25], s[8:9], v[60:61]
	;; [unrolled: 1-line block ×4, first 2 shown]
	v_fma_f64 v[48:49], v[44:45], v[48:49], 1.0
	v_fma_f64 v[50:51], v[36:37], v[50:51], s[34:35]
	v_fma_f64 v[54:55], v[42:43], v[54:55], s[24:25]
	v_fma_f64 v[52:53], v[32:33], s[16:17], s[14:15]
	v_fma_f64 v[56:57], v[46:47], v[56:57], s[22:23]
	v_fma_f64 v[10:11], v[26:27], s[8:9], v[58:59]
	v_lshlrev_b64 v[58:59], 3, v[0:1]
	v_add_nc_u32_e32 v0, s33, v0
	v_fma_f64 v[44:45], v[44:45], v[48:49], 1.0
	v_fma_f64 v[40:41], v[36:37], v[50:51], s[30:31]
	v_add_co_u32 v48, vcc_lo, s10, v58
	v_add_co_ci_u32_e64 v49, null, s11, v59, vcc_lo
	v_mov_b32_e32 v50, 0xd7400000
	v_mov_b32_e32 v51, 0x42835aa2
	;; [unrolled: 1-line block ×4, first 2 shown]
	global_store_dwordx2 v[48:49], v[50:51], off
	v_fma_f64 v[48:49], v[42:43], v[54:55], s[34:35]
	v_fma_f64 v[52:53], v[32:33], v[52:53], s[18:19]
	;; [unrolled: 1-line block ×4, first 2 shown]
	v_lshlrev_b64 v[56:57], 3, v[0:1]
	v_add_nc_u32_e32 v0, s33, v0
	v_ldexp_f64 v[44:45], v[44:45], v7
	v_fma_f64 v[40:41], v[36:37], v[40:41], s[28:29]
	v_add_co_u32 v56, vcc_lo, s10, v56
	v_add_co_ci_u32_e64 v57, null, s11, v57, vcc_lo
	v_cmp_nlt_f64_e32 vcc_lo, 0x40900000, v[34:35]
	global_store_dwordx2 v[56:57], v[58:59], off
	v_lshlrev_b64 v[56:57], 3, v[0:1]
	v_add_nc_u32_e32 v0, s33, v0
	v_fma_f64 v[48:49], v[42:43], v[48:49], s[30:31]
	v_fma_f64 v[52:53], v[32:33], v[52:53], s[20:21]
	;; [unrolled: 1-line block ×5, first 2 shown]
	v_add_co_u32 v40, s1, s10, v56
	v_add_co_ci_u32_e64 v41, null, s11, v57, s1
	v_fma_f64 v[56:57], v[4:5], 2.0, s[2:3]
	v_cndmask_b32_e32 v7, 0x7ff00000, v45, vcc_lo
	s_and_b32 vcc_lo, s0, vcc_lo
	global_store_dwordx2 v[40:41], v[16:17], off
	v_lshlrev_b64 v[16:17], 3, v[0:1]
	v_cndmask_b32_e32 v44, 0, v44, vcc_lo
	s_mov_b32 s2, 0x1cf45780
	v_fma_f64 v[48:49], v[42:43], v[48:49], s[28:29]
	s_mov_b32 s3, 0x402256cb
	v_fma_f64 v[40:41], v[32:33], v[52:53], s[22:23]
	v_add_co_u32 v60, vcc_lo, s10, v16
	v_fma_f64 v[52:53], v[10:11], v[54:55], s[20:21]
	v_add_co_ci_u32_e64 v61, null, s11, v17, vcc_lo
	v_fma_f64 v[54:55], v[4:5], s[46:47], s[2:3]
	v_fma_f64 v[50:51], v[46:47], v[50:51], s[30:31]
	v_fma_f64 v[58:59], v[36:37], v[34:35], 1.0
	v_cndmask_b32_e64 v45, 0, v7, s0
	s_mov_b32 s0, 0xedefb22a
	s_mov_b32 s1, 0x3fe93b0a
	v_cvt_i32_f64_e32 v7, v[30:31]
	v_fma_f64 v[16:17], v[2:3], s[54:55], v[56:57]
	v_fma_f64 v[56:57], 0x400c0000, v[4:5], s[0:1]
	global_store_dwordx2 v[60:61], v[44:45], off
	s_mov_b32 s0, 0x6cf41f21
	s_mov_b32 s1, 0xc0bb57be
	v_cmp_nlt_f64_e32 vcc_lo, 0x40900000, v[22:23]
	s_mov_b32 s2, 0xf8fcd680
	v_fma_f64 v[48:49], v[42:43], v[48:49], s[26:27]
	s_mov_b32 s3, 0x4052c2cb
	v_fma_f64 v[40:41], v[32:33], v[40:41], s[24:25]
	v_add_nc_u32_e32 v0, s33, v0
	v_fma_f64 v[52:53], v[10:11], v[52:53], s[22:23]
	v_fma_f64 v[34:35], v[2:3], s[0:1], v[54:55]
	s_mov_b32 s0, 0xd2079f3
	s_mov_b32 s1, 0x404c4902
	v_fma_f64 v[54:55], v[36:37], v[58:59], 1.0
	v_fma_f64 v[36:37], v[4:5], s[36:37], s[0:1]
	v_fma_f64 v[50:51], v[46:47], v[50:51], s[28:29]
	s_mov_b32 s0, 0x599ed7c7
	v_mul_f64 v[44:45], v[16:17], s[12:13]
	s_mov_b32 s1, 0xc0a64f82
	v_fma_f64 v[4:5], v[4:5], s[4:5], s[2:3]
	v_fma_f64 v[30:31], v[2:3], s[0:1], v[56:57]
	s_mov_b32 s0, 0x743e963e
	s_mov_b32 s1, 0xc0b894b9
	;; [unrolled: 1-line block ×3, first 2 shown]
	v_fma_f64 v[48:49], v[42:43], v[48:49], 1.0
	s_mov_b32 s3, 0xc0c36882
	v_fma_f64 v[40:41], v[32:33], v[40:41], s[34:35]
	v_fma_f64 v[52:53], v[10:11], v[52:53], s[24:25]
	v_mul_f64 v[56:57], v[34:35], s[12:13]
	v_ldexp_f64 v[54:55], v[54:55], v7
	v_fma_f64 v[36:37], v[2:3], s[0:1], v[36:37]
	v_fma_f64 v[50:51], v[46:47], v[50:51], s[26:27]
	v_cvt_i32_f64_e32 v7, v[28:29]
	v_rndne_f64_e32 v[44:45], v[44:45]
	v_cmp_ngt_f64_e64 s0, 0xc090cc00, v[22:23]
	v_fma_f64 v[2:3], v[2:3], s[2:3], v[4:5]
	v_mul_f64 v[58:59], v[30:31], s[12:13]
	v_cmp_ngt_f64_e64 s2, 0xc090cc00, v[18:19]
	v_fma_f64 v[42:43], v[42:43], v[48:49], 1.0
	v_fma_f64 v[40:41], v[32:33], v[40:41], s[30:31]
	v_fma_f64 v[48:49], v[10:11], v[52:53], s[34:35]
	v_mul_f64 v[52:53], v[36:37], s[12:13]
	v_fma_f64 v[28:29], v[46:47], v[50:51], 1.0
	v_rndne_f64_e32 v[50:51], v[56:57]
	v_fma_f64 v[22:23], v[44:45], s[6:7], v[16:17]
	v_cndmask_b32_e32 v57, 0x7ff00000, v55, vcc_lo
	s_and_b32 vcc_lo, s0, vcc_lo
	v_rndne_f64_e32 v[55:56], v[58:59]
	v_ldexp_f64 v[42:43], v[42:43], v7
	v_cvt_i32_f64_e32 v7, v[38:39]
	v_fma_f64 v[40:41], v[32:33], v[40:41], s[28:29]
	v_fma_f64 v[38:39], v[10:11], v[48:49], s[30:31]
	v_rndne_f64_e32 v[48:49], v[52:53]
	v_cndmask_b32_e64 v53, 0, v57, s0
	v_cndmask_b32_e32 v52, 0, v54, vcc_lo
	v_fma_f64 v[22:23], v[44:45], s[8:9], v[22:23]
	v_cmp_nlt_f64_e32 vcc_lo, 0x40900000, v[12:13]
	v_cmp_ngt_f64_e64 s0, 0xc090cc00, v[12:13]
	v_lshlrev_b64 v[12:13], 3, v[0:1]
	v_fma_f64 v[28:29], v[46:47], v[28:29], 1.0
	v_fma_f64 v[46:47], v[50:51], s[6:7], v[34:35]
	v_fma_f64 v[57:58], v[55:56], s[6:7], v[30:31]
	v_add_nc_u32_e32 v0, s33, v0
	v_cvt_i32_f64_e32 v54, v[44:45]
	v_fma_f64 v[40:41], v[32:33], v[40:41], s[26:27]
	v_add_co_u32 v4, s1, s10, v12
	v_fma_f64 v[38:39], v[10:11], v[38:39], s[28:29]
	v_add_co_ci_u32_e64 v5, null, s11, v13, s1
	global_store_dwordx2 v[4:5], v[52:53], off
	v_fma_f64 v[12:13], v[48:49], s[6:7], v[36:37]
	v_fma_f64 v[4:5], v[22:23], s[16:17], s[14:15]
	v_cndmask_b32_e32 v43, 0x7ff00000, v43, vcc_lo
	s_and_b32 vcc_lo, s0, vcc_lo
	v_cndmask_b32_e32 v42, 0, v42, vcc_lo
	v_fma_f64 v[46:47], v[50:51], s[8:9], v[46:47]
	v_fma_f64 v[52:53], v[55:56], s[8:9], v[57:58]
	v_cndmask_b32_e64 v43, 0, v43, s0
	v_cmp_nlt_f64_e32 vcc_lo, 0x40900000, v[14:15]
	v_fma_f64 v[40:41], v[32:33], v[40:41], 1.0
	v_cmp_ngt_f64_e64 s0, 0xc090cc00, v[14:15]
	v_ldexp_f64 v[28:29], v[28:29], v7
	v_fma_f64 v[14:15], v[10:11], v[38:39], s[26:27]
	v_mul_f64 v[38:39], v[2:3], s[12:13]
	v_fma_f64 v[12:13], v[48:49], s[8:9], v[12:13]
	v_fma_f64 v[4:5], v[22:23], v[4:5], s[18:19]
	;; [unrolled: 1-line block ×3, first 2 shown]
	v_fma_f64 v[32:33], v[32:33], v[40:41], 1.0
	v_fma_f64 v[40:41], v[52:53], s[16:17], s[14:15]
	v_cndmask_b32_e32 v7, 0x7ff00000, v29, vcc_lo
	v_fma_f64 v[14:15], v[10:11], v[14:15], 1.0
	v_rndne_f64_e32 v[38:39], v[38:39]
	v_cvt_i32_f64_e32 v29, v[24:25]
	s_and_b32 vcc_lo, s0, vcc_lo
	v_cndmask_b32_e32 v28, 0, v28, vcc_lo
	v_fma_f64 v[24:25], v[12:13], s[16:17], s[14:15]
	v_fma_f64 v[4:5], v[22:23], v[4:5], s[20:21]
	v_fma_f64 v[57:58], v[46:47], v[57:58], s[18:19]
	v_fma_f64 v[40:41], v[52:53], v[40:41], s[18:19]
	v_fma_f64 v[10:11], v[10:11], v[14:15], 1.0
	v_fma_f64 v[14:15], v[38:39], s[6:7], v[2:3]
	v_ldexp_f64 v[32:33], v[32:33], v29
	v_cvt_i32_f64_e32 v29, v[26:27]
	v_fma_f64 v[24:25], v[12:13], v[24:25], s[18:19]
	v_fma_f64 v[4:5], v[22:23], v[4:5], s[22:23]
	;; [unrolled: 1-line block ×5, first 2 shown]
	v_ldexp_f64 v[10:11], v[10:11], v29
	v_cndmask_b32_e64 v29, 0, v7, s0
	v_cmp_ngt_f64_e64 s0, 0xc090cc00, v[20:21]
	v_cvt_i32_f64_e32 v7, v[50:51]
	v_fma_f64 v[24:25], v[12:13], v[24:25], s[20:21]
	v_fma_f64 v[4:5], v[22:23], v[4:5], s[24:25]
	;; [unrolled: 1-line block ×26, first 2 shown]
	v_fma_f64 v[4:5], v[22:23], v[4:5], 1.0
	v_fma_f64 v[57:58], v[46:47], v[57:58], s[26:27]
	v_fma_f64 v[40:41], v[52:53], v[40:41], s[26:27]
	;; [unrolled: 1-line block ×4, first 2 shown]
	v_fma_f64 v[4:5], v[22:23], v[4:5], 1.0
	v_lshlrev_b64 v[22:23], 3, v[0:1]
	v_add_nc_u32_e32 v0, s33, v0
	v_fma_f64 v[57:58], v[46:47], v[57:58], 1.0
	v_add_co_u32 v22, s1, s10, v22
	v_add_co_ci_u32_e64 v23, null, s11, v23, s1
	v_cmp_nlt_f64_e64 s1, 0x40900000, v[18:19]
	v_fma_f64 v[40:41], v[52:53], v[40:41], 1.0
	v_fma_f64 v[26:27], v[14:15], v[26:27], s[30:31]
	v_lshlrev_b64 v[18:19], 3, v[0:1]
	v_add_nc_u32_e32 v0, s33, v0
	v_fma_f64 v[24:25], v[12:13], v[24:25], 1.0
	v_add_co_u32 v18, vcc_lo, s10, v18
	v_add_co_ci_u32_e64 v19, null, s11, v19, vcc_lo
	v_cmp_nlt_f64_e32 vcc_lo, 0x40900000, v[20:21]
	v_ldexp_f64 v[4:5], v[4:5], v54
	global_store_dwordx2 v[22:23], v[42:43], off
	global_store_dwordx2 v[18:19], v[28:29], off
	v_fma_f64 v[44:45], v[46:47], v[57:58], 1.0
	v_cvt_i32_f64_e32 v46, v[55:56]
	v_cndmask_b32_e64 v33, 0x7ff00000, v33, s1
	s_and_b32 s1, s2, s1
	v_fma_f64 v[40:41], v[52:53], v[40:41], 1.0
	v_cndmask_b32_e64 v20, 0, v32, s1
	v_cmp_nlt_f64_e64 s1, 0x40900000, v[16:17]
	v_cndmask_b32_e64 v21, 0, v33, s2
	v_cmp_ngt_f64_e64 s2, 0xc090cc00, v[16:17]
	v_fma_f64 v[18:19], v[14:15], v[26:27], s[28:29]
	v_cndmask_b32_e32 v47, 0x7ff00000, v11, vcc_lo
	s_and_b32 vcc_lo, s0, vcc_lo
	v_fma_f64 v[11:12], v[12:13], v[24:25], 1.0
	v_ldexp_f64 v[22:23], v[44:45], v7
	v_cndmask_b32_e32 v26, 0, v10, vcc_lo
	v_cndmask_b32_e64 v27, 0, v47, s0
	v_cmp_nlt_f64_e32 vcc_lo, 0x40900000, v[34:35]
	v_cmp_ngt_f64_e64 s0, 0xc090cc00, v[34:35]
	v_cvt_i32_f64_e32 v7, v[48:49]
	v_lshlrev_b64 v[24:25], 3, v[0:1]
	v_add_nc_u32_e32 v0, s33, v0
	v_ldexp_f64 v[16:17], v[40:41], v46
	v_cndmask_b32_e64 v5, 0x7ff00000, v5, s1
	s_and_b32 s1, s2, s1
	v_fma_f64 v[18:19], v[14:15], v[18:19], s[26:27]
	v_cndmask_b32_e64 v4, 0, v4, s1
	v_cmp_nlt_f64_e64 s1, 0x40900000, v[30:31]
	v_lshlrev_b64 v[28:29], 3, v[0:1]
	v_add_nc_u32_e32 v0, s33, v0
	v_add_co_u32 v24, s3, s10, v24
	v_cndmask_b32_e64 v5, 0, v5, s2
	v_cmp_ngt_f64_e64 s2, 0xc090cc00, v[30:31]
	v_add_co_ci_u32_e64 v25, null, s11, v25, s3
	v_cndmask_b32_e32 v23, 0x7ff00000, v23, vcc_lo
	s_and_b32 vcc_lo, s0, vcc_lo
	v_ldexp_f64 v[10:11], v[11:12], v7
	v_cndmask_b32_e32 v22, 0, v22, vcc_lo
	v_cmp_nlt_f64_e32 vcc_lo, 0x40900000, v[36:37]
	v_add_co_u32 v12, s3, s10, v28
	v_add_co_ci_u32_e64 v13, null, s11, v29, s3
	v_lshlrev_b64 v[28:29], 3, v[0:1]
	v_add_nc_u32_e32 v0, s33, v0
	v_cndmask_b32_e64 v23, 0, v23, s0
	v_cndmask_b32_e64 v7, 0x7ff00000, v17, s1
	v_fma_f64 v[17:18], v[14:15], v[18:19], 1.0
	v_cmp_ngt_f64_e64 s0, 0xc090cc00, v[36:37]
	v_lshlrev_b64 v[30:31], 3, v[0:1]
	v_add_co_u32 v28, s3, s10, v28
	v_add_co_ci_u32_e64 v29, null, s11, v29, s3
	v_add_nc_u32_e32 v0, s33, v0
	v_add_co_u32 v30, s3, s10, v30
	v_add_co_ci_u32_e64 v31, null, s11, v31, s3
	global_store_dwordx2 v[24:25], v[20:21], off
	v_cndmask_b32_e32 v19, 0x7ff00000, v11, vcc_lo
	global_store_dwordx2 v[12:13], v[26:27], off
	global_store_dwordx2 v[28:29], v[4:5], off
	;; [unrolled: 1-line block ×3, first 2 shown]
	v_lshlrev_b64 v[11:12], 3, v[0:1]
	v_add_nc_u32_e32 v0, s33, v0
	v_cndmask_b32_e64 v5, 0, v7, s2
	v_cvt_i32_f64_e32 v7, v[38:39]
	s_and_b32 s1, s2, s1
	v_mov_b32_e32 v23, 0xc5000000
	v_cndmask_b32_e64 v4, 0, v16, s1
	v_fma_f64 v[13:14], v[14:15], v[17:18], 1.0
	v_lshlrev_b64 v[15:16], 3, v[0:1]
	v_add_nc_u32_e32 v0, s33, v0
	v_cndmask_b32_e64 v18, 0, v19, s0
	s_and_b32 vcc_lo, s0, vcc_lo
	v_add_co_u32 v11, s1, s10, v11
	v_lshlrev_b64 v[19:20], 3, v[0:1]
	v_add_nc_u32_e32 v0, s33, v0
	v_cndmask_b32_e32 v17, 0, v10, vcc_lo
	v_add_co_u32 v15, vcc_lo, s10, v15
	v_add_co_ci_u32_e64 v16, null, s11, v16, vcc_lo
	v_lshlrev_b64 v[21:22], 3, v[0:1]
	v_add_nc_u32_e32 v0, s33, v0
	v_add_co_u32 v19, vcc_lo, s10, v19
	v_add_co_ci_u32_e64 v12, null, s11, v12, s1
	v_lshlrev_b64 v[25:26], 3, v[0:1]
	v_add_co_ci_u32_e64 v20, null, s11, v20, vcc_lo
	v_add_co_u32 v21, vcc_lo, s10, v21
	v_mov_b32_e32 v24, 0x427a3185
	v_ldexp_f64 v[13:14], v[13:14], v7
	v_add_co_ci_u32_e64 v22, null, s11, v22, vcc_lo
	v_mov_b32_e32 v7, 0x42d5d3ef
	global_store_dwordx2 v[11:12], v[4:5], off
	global_store_dwordx2 v[15:16], v[17:18], off
	global_store_dwordx2 v[19:20], v[23:24], off
	global_store_dwordx2 v[21:22], v[6:7], off
	v_add_co_u32 v6, vcc_lo, s10, v25
	v_add_co_ci_u32_e64 v7, null, s11, v26, vcc_lo
	v_cmp_nlt_f64_e32 vcc_lo, 0x40900000, v[2:3]
	v_add_nc_u32_e32 v0, s33, v0
	v_cmp_ngt_f64_e64 s0, 0xc090cc00, v[2:3]
	v_mov_b32_e32 v16, 0x2f600000
	v_mov_b32_e32 v17, 0x42a40246
	v_lshlrev_b64 v[4:5], 3, v[0:1]
	v_add_nc_u32_e32 v0, s33, v0
	v_lshlrev_b64 v[10:11], 3, v[0:1]
	v_add_nc_u32_e32 v0, s33, v0
	v_add_co_u32 v2, s1, s10, v4
	v_add_co_ci_u32_e64 v3, null, s11, v5, s1
	v_add_co_u32 v10, s1, s10, v10
	v_bfrev_b32_e32 v4, 32
	v_mov_b32_e32 v5, 0x4234f46b
	v_cndmask_b32_e32 v12, 0x7ff00000, v14, vcc_lo
	v_lshlrev_b64 v[14:15], 3, v[0:1]
	v_add_nc_u32_e32 v0, s33, v0
	s_and_b32 vcc_lo, s0, vcc_lo
	v_add_co_ci_u32_e64 v11, null, s11, v11, s1
	v_cndmask_b32_e32 v18, 0, v13, vcc_lo
	v_lshlrev_b64 v[0:1], 3, v[0:1]
	v_add_co_u32 v14, s1, s10, v14
	v_add_co_ci_u32_e64 v15, null, s11, v15, s1
	v_cndmask_b32_e64 v19, 0, v12, s0
	v_add_co_u32 v0, vcc_lo, s10, v0
	v_add_co_ci_u32_e64 v1, null, s11, v1, vcc_lo
	global_store_dwordx2 v[6:7], v[8:9], off
	global_store_dwordx2 v[2:3], v[4:5], off
	;; [unrolled: 1-line block ×5, first 2 shown]
	s_endpgm
	.section	.rodata,"a",@progbits
	.p2align	6, 0x0
	.amdhsa_kernel _Z11ratt_kernelIdEvPKT_PS0_S0_
		.amdhsa_group_segment_fixed_size 0
		.amdhsa_private_segment_fixed_size 0
		.amdhsa_kernarg_size 280
		.amdhsa_user_sgpr_count 6
		.amdhsa_user_sgpr_private_segment_buffer 1
		.amdhsa_user_sgpr_dispatch_ptr 0
		.amdhsa_user_sgpr_queue_ptr 0
		.amdhsa_user_sgpr_kernarg_segment_ptr 1
		.amdhsa_user_sgpr_dispatch_id 0
		.amdhsa_user_sgpr_flat_scratch_init 0
		.amdhsa_user_sgpr_private_segment_size 0
		.amdhsa_wavefront_size32 1
		.amdhsa_uses_dynamic_stack 0
		.amdhsa_system_sgpr_private_segment_wavefront_offset 0
		.amdhsa_system_sgpr_workgroup_id_x 1
		.amdhsa_system_sgpr_workgroup_id_y 0
		.amdhsa_system_sgpr_workgroup_id_z 0
		.amdhsa_system_sgpr_workgroup_info 0
		.amdhsa_system_vgpr_workitem_id 0
		.amdhsa_next_free_vgpr 66
		.amdhsa_next_free_sgpr 82
		.amdhsa_reserve_vcc 1
		.amdhsa_reserve_flat_scratch 0
		.amdhsa_float_round_mode_32 0
		.amdhsa_float_round_mode_16_64 0
		.amdhsa_float_denorm_mode_32 3
		.amdhsa_float_denorm_mode_16_64 3
		.amdhsa_dx10_clamp 1
		.amdhsa_ieee_mode 1
		.amdhsa_fp16_overflow 0
		.amdhsa_workgroup_processor_mode 1
		.amdhsa_memory_ordered 1
		.amdhsa_forward_progress 1
		.amdhsa_shared_vgpr_count 0
		.amdhsa_exception_fp_ieee_invalid_op 0
		.amdhsa_exception_fp_denorm_src 0
		.amdhsa_exception_fp_ieee_div_zero 0
		.amdhsa_exception_fp_ieee_overflow 0
		.amdhsa_exception_fp_ieee_underflow 0
		.amdhsa_exception_fp_ieee_inexact 0
		.amdhsa_exception_int_div_zero 0
	.end_amdhsa_kernel
	.section	.text._Z11ratt_kernelIdEvPKT_PS0_S0_,"axG",@progbits,_Z11ratt_kernelIdEvPKT_PS0_S0_,comdat
.Lfunc_end27:
	.size	_Z11ratt_kernelIdEvPKT_PS0_S0_, .Lfunc_end27-_Z11ratt_kernelIdEvPKT_PS0_S0_
                                        ; -- End function
	.set _Z11ratt_kernelIdEvPKT_PS0_S0_.num_vgpr, 66
	.set _Z11ratt_kernelIdEvPKT_PS0_S0_.num_agpr, 0
	.set _Z11ratt_kernelIdEvPKT_PS0_S0_.numbered_sgpr, 82
	.set _Z11ratt_kernelIdEvPKT_PS0_S0_.num_named_barrier, 0
	.set _Z11ratt_kernelIdEvPKT_PS0_S0_.private_seg_size, 0
	.set _Z11ratt_kernelIdEvPKT_PS0_S0_.uses_vcc, 1
	.set _Z11ratt_kernelIdEvPKT_PS0_S0_.uses_flat_scratch, 0
	.set _Z11ratt_kernelIdEvPKT_PS0_S0_.has_dyn_sized_stack, 0
	.set _Z11ratt_kernelIdEvPKT_PS0_S0_.has_recursion, 0
	.set _Z11ratt_kernelIdEvPKT_PS0_S0_.has_indirect_call, 0
	.section	.AMDGPU.csdata,"",@progbits
; Kernel info:
; codeLenInByte = 33996
; TotalNumSgprs: 84
; NumVgprs: 66
; ScratchSize: 0
; MemoryBound: 0
; FloatMode: 240
; IeeeMode: 1
; LDSByteSize: 0 bytes/workgroup (compile time only)
; SGPRBlocks: 0
; VGPRBlocks: 8
; NumSGPRsForWavesPerEU: 84
; NumVGPRsForWavesPerEU: 66
; Occupancy: 12
; WaveLimiterHint : 0
; COMPUTE_PGM_RSRC2:SCRATCH_EN: 0
; COMPUTE_PGM_RSRC2:USER_SGPR: 6
; COMPUTE_PGM_RSRC2:TRAP_HANDLER: 0
; COMPUTE_PGM_RSRC2:TGID_X_EN: 1
; COMPUTE_PGM_RSRC2:TGID_Y_EN: 0
; COMPUTE_PGM_RSRC2:TGID_Z_EN: 0
; COMPUTE_PGM_RSRC2:TIDIG_COMP_CNT: 0
	.section	.text._Z12rdsmh_kernelIdEvPKT_PS0_S0_,"axG",@progbits,_Z12rdsmh_kernelIdEvPKT_PS0_S0_,comdat
	.protected	_Z12rdsmh_kernelIdEvPKT_PS0_S0_ ; -- Begin function _Z12rdsmh_kernelIdEvPKT_PS0_S0_
	.globl	_Z12rdsmh_kernelIdEvPKT_PS0_S0_
	.p2align	8
	.type	_Z12rdsmh_kernelIdEvPKT_PS0_S0_,@function
_Z12rdsmh_kernelIdEvPKT_PS0_S0_:        ; @_Z12rdsmh_kernelIdEvPKT_PS0_S0_
; %bb.0:
	s_clause 0x1
	s_load_dword s0, s[4:5], 0x24
	s_load_dwordx4 s[8:11], s[4:5], 0x0
	s_mov_b32 s2, 0x6b47b09a
	s_mov_b32 s3, 0x3fc38538
	s_waitcnt lgkmcnt(0)
	s_and_b32 s12, s0, 0xffff
	s_load_dwordx2 s[0:1], s[4:5], 0x10
	v_mad_u64_u32 v[0:1], null, s6, s12, v[0:1]
	v_mov_b32_e32 v1, 0
	s_mov_b32 s6, 0xbf559e2b
	s_mov_b32 s7, 0x3fc3ab76
	v_lshlrev_b64 v[9:10], 3, v[0:1]
	v_add_co_u32 v2, vcc_lo, s8, v9
	v_add_co_ci_u32_e64 v3, null, s9, v10, vcc_lo
	s_mov_b32 s9, 0x3c7abc9e
	s_mov_b32 s8, 0x3b39803f
	global_load_dwordx2 v[2:3], v[2:3], off
	s_waitcnt vmcnt(0) lgkmcnt(0)
	v_mul_f64 v[2:3], s[0:1], v[2:3]
	s_mov_b32 s1, 0x3fe55555
	s_mov_b32 s0, 0x55555555
	v_frexp_mant_f64_e32 v[4:5], v[2:3]
	v_frexp_exp_i32_f64_e32 v8, v[2:3]
	v_div_scale_f64 v[25:26], null, v[2:3], v[2:3], 1.0
	v_cmp_gt_f64_e32 vcc_lo, s[0:1], v[4:5]
	s_mov_b32 s0, 0x55555780
	v_cndmask_b32_e64 v6, 0, 1, vcc_lo
	v_subrev_co_ci_u32_e64 v8, null, 0, v8, vcc_lo
	v_ldexp_f64 v[4:5], v[4:5], v6
	v_add_f64 v[6:7], v[4:5], 1.0
	v_add_f64 v[15:16], v[4:5], -1.0
	v_rcp_f64_e32 v[11:12], v[6:7]
	v_add_f64 v[17:18], v[6:7], -1.0
	v_add_f64 v[4:5], v[4:5], -v[17:18]
	v_fma_f64 v[13:14], -v[6:7], v[11:12], 1.0
	v_fma_f64 v[11:12], v[13:14], v[11:12], v[11:12]
	v_fma_f64 v[13:14], -v[6:7], v[11:12], 1.0
	v_fma_f64 v[11:12], v[13:14], v[11:12], v[11:12]
	v_mul_f64 v[13:14], v[15:16], v[11:12]
	v_mul_f64 v[19:20], v[6:7], v[13:14]
	v_fma_f64 v[6:7], v[13:14], v[6:7], -v[19:20]
	v_fma_f64 v[4:5], v[13:14], v[4:5], v[6:7]
	v_add_f64 v[6:7], v[19:20], v[4:5]
	v_add_f64 v[17:18], v[15:16], -v[6:7]
	v_add_f64 v[19:20], v[6:7], -v[19:20]
	;; [unrolled: 1-line block ×5, first 2 shown]
	v_add_f64 v[4:5], v[4:5], v[6:7]
	v_add_f64 v[4:5], v[17:18], v[4:5]
	v_mul_f64 v[4:5], v[11:12], v[4:5]
	v_add_f64 v[6:7], v[13:14], v[4:5]
	v_mul_f64 v[11:12], v[6:7], v[6:7]
	v_fma_f64 v[15:16], v[11:12], s[6:7], s[2:3]
	s_mov_b32 s2, 0xd7f4df2e
	s_mov_b32 s3, 0x3fc7474d
	v_mul_f64 v[17:18], v[6:7], v[11:12]
	s_mov_b32 s7, 0x3fe62e42
	s_mov_b32 s6, 0xfefa39ef
	v_fma_f64 v[15:16], v[11:12], v[15:16], s[2:3]
	s_mov_b32 s2, 0x16291751
	s_mov_b32 s3, 0x3fcc71c0
	v_fma_f64 v[15:16], v[11:12], v[15:16], s[2:3]
	;; [unrolled: 3-line block ×4, first 2 shown]
	v_fma_f64 v[11:12], v[11:12], v[15:16], s[0:1]
	v_ldexp_f64 v[15:16], v[6:7], 1
	v_add_f64 v[6:7], v[6:7], -v[13:14]
	v_cmp_class_f64_e64 s0, v[2:3], 0x204
	s_load_dword s1, s[4:5], 0x18
	v_mul_f64 v[11:12], v[17:18], v[11:12]
	v_cvt_f64_i32_e32 v[17:18], v8
	v_add_f64 v[4:5], v[4:5], -v[6:7]
	s_waitcnt lgkmcnt(0)
	s_mul_i32 s33, s1, s12
	v_add_nc_u32_e32 v8, s33, v0
	v_add_f64 v[13:14], v[15:16], v[11:12]
	v_mul_f64 v[19:20], v[17:18], s[6:7]
	v_ldexp_f64 v[4:5], v[4:5], 1
	v_add_f64 v[6:7], v[13:14], -v[15:16]
	v_fma_f64 v[15:16], v[17:18], s[6:7], -v[19:20]
	v_add_f64 v[6:7], v[11:12], -v[6:7]
	v_fma_f64 v[11:12], v[17:18], s[8:9], v[15:16]
	v_add_f64 v[4:5], v[4:5], v[6:7]
	v_add_f64 v[6:7], v[19:20], v[11:12]
	;; [unrolled: 1-line block ×3, first 2 shown]
	v_add_f64 v[19:20], v[6:7], -v[19:20]
	v_add_f64 v[17:18], v[6:7], v[15:16]
	v_add_f64 v[13:14], v[15:16], -v[13:14]
	v_add_f64 v[11:12], v[11:12], -v[19:20]
	;; [unrolled: 1-line block ×6, first 2 shown]
	v_rcp_f64_e32 v[15:16], v[25:26]
	v_add_f64 v[19:20], v[11:12], v[4:5]
	v_add_f64 v[6:7], v[6:7], -v[23:24]
	v_add_f64 v[21:22], v[19:20], -v[11:12]
	v_add_f64 v[6:7], v[13:14], v[6:7]
	v_fma_f64 v[13:14], -v[25:26], v[15:16], 1.0
	v_add_f64 v[4:5], v[4:5], -v[21:22]
	v_add_f64 v[6:7], v[19:20], v[6:7]
	v_fma_f64 v[13:14], v[15:16], v[13:14], v[15:16]
	v_add_f64 v[15:16], v[19:20], -v[21:22]
	v_add_f64 v[19:20], v[17:18], v[6:7]
	v_fma_f64 v[23:24], -v[25:26], v[13:14], 1.0
	v_add_f64 v[11:12], v[11:12], -v[15:16]
	v_add_f64 v[15:16], v[19:20], -v[17:18]
	v_div_scale_f64 v[17:18], vcc_lo, 1.0, v[2:3], 1.0
	v_add_f64 v[4:5], v[4:5], v[11:12]
	v_fma_f64 v[13:14], v[13:14], v[23:24], v[13:14]
	v_add_f64 v[6:7], v[6:7], -v[15:16]
	v_mul_f64 v[11:12], v[17:18], v[13:14]
	v_add_f64 v[4:5], v[4:5], v[6:7]
	v_fma_f64 v[6:7], -v[25:26], v[11:12], v[17:18]
	v_add_f64 v[4:5], v[19:20], v[4:5]
	v_div_fmas_f64 v[6:7], v[6:7], v[13:14], v[11:12]
                                        ; implicit-def: $vgpr11_vgpr12
                                        ; implicit-def: $vgpr13_vgpr14
	v_cndmask_b32_e64 v5, v5, v3, s0
	v_cndmask_b32_e64 v4, v4, v2, s0
	v_cmp_ngt_f64_e64 s0, 0, v[2:3]
	v_div_fixup_f64 v[6:7], v[6:7], v[2:3], 1.0
	v_add_f64 v[4:5], v[4:5], -1.0
	v_cndmask_b32_e64 v5, 0x7ff80000, v5, s0
	v_cmp_nge_f64_e64 s0, 0, v[2:3]
	v_cndmask_b32_e64 v4, 0, v4, s0
	v_cmp_neq_f64_e64 s0, 0, v[2:3]
	v_cndmask_b32_e64 v5, 0xfff00000, v5, s0
	s_mov_b32 s0, exec_lo
	v_cmpx_nlt_f64_e32 0x408f4000, v[2:3]
	s_xor_b32 s42, exec_lo, s0
	s_cbranch_execz .LBB28_2
; %bb.1:
	s_mov_b32 s0, 0x3f5fda7
	s_mov_b32 s2, 0xecc7a7b5
	;; [unrolled: 1-line block ×5, first 2 shown]
	v_fma_f64 v[11:12], v[2:3], s[2:3], s[0:1]
	s_mov_b32 s2, 0x496161b4
	s_mov_b32 s14, 0x759749d1
	s_mov_b32 s0, 0x2ac5033d
	s_mov_b32 s4, 0x33011ea8
	s_mov_b32 s3, 0x3fe5db38
	s_mov_b32 s13, 0x408caf7b
	s_mov_b32 s15, 0xbecb3b80
	s_mov_b32 s1, 0x3c0c4b88
	s_mov_b32 s5, 0xbb4c09fb
	v_fma_f64 v[13:14], v[6:7], s[12:13], s[2:3]
	v_fma_f64 v[15:16], v[2:3], s[4:5], s[0:1]
	s_mov_b32 s0, 0xac9b2911
	s_mov_b32 s2, 0x5caab342
	s_mov_b32 s4, 0xad546a18
	s_mov_b32 s12, 0x3bcd35a8
	s_mov_b32 s1, 0x4002c130
	s_mov_b32 s3, 0x3f705817
	s_mov_b32 s5, 0xbfdc9673
	s_mov_b32 s13, 0xc0d8e06a
	s_mov_b32 s7, 0xbfe62e42
	v_fma_f64 v[17:18], v[6:7], s[12:13], s[4:5]
	;; [unrolled: 11-line block ×4, first 2 shown]
	v_fma_f64 v[11:12], v[2:3], v[11:12], s[2:3]
	s_mov_b32 s2, 0xa8926402
	s_mov_b32 s3, 0x3d3dbba8
	;; [unrolled: 1-line block ×7, first 2 shown]
	v_fma_f64 v[32:33], v[2:3], s[24:25], s[22:23]
	s_mov_b32 s22, 0x1852b7b0
	s_mov_b32 s24, 0xdb54f242
	;; [unrolled: 1-line block ×13, first 2 shown]
	v_fma_f64 v[18:19], v[2:3], v[11:12], v[13:14]
	v_fma_f64 v[11:12], v[2:3], v[15:16], s[0:1]
	s_mov_b32 s0, 0x89193451
	s_mov_b32 s1, 0xbe018beb
	;; [unrolled: 1-line block ×6, first 2 shown]
	v_fma_f64 v[32:33], v[2:3], v[32:33], s[28:29]
	s_mov_b32 s28, 0x63eb52f4
	s_mov_b32 s29, 0x3d38f039
	;; [unrolled: 1-line block ×9, first 2 shown]
	v_mul_f64 v[16:17], v[18:19], s[14:15]
	v_fma_f64 v[14:15], v[2:3], v[11:12], v[20:21]
	v_rndne_f64_e32 v[16:17], v[16:17]
	v_mul_f64 v[11:12], v[14:15], s[14:15]
	v_fma_f64 v[20:21], v[16:17], s[6:7], v[18:19]
	v_rndne_f64_e32 v[24:25], v[11:12]
	v_fma_f64 v[30:31], v[16:17], s[8:9], v[20:21]
	v_fma_f64 v[11:12], v[24:25], s[6:7], v[14:15]
	;; [unrolled: 1-line block ×5, first 2 shown]
	s_mov_b32 s0, 0x1702251e
	s_mov_b32 s2, 0x96bb98c8
	s_mov_b32 s1, 0x40006a5c
	s_mov_b32 s3, 0xc0dc7090
	v_fma_f64 v[26:27], v[6:7], s[2:3], s[0:1]
	s_mov_b32 s0, 0xdfaaca22
	s_mov_b32 s2, 0xae87f7e5
	s_mov_b32 s1, 0xbe0bb876
	s_mov_b32 s3, 0x3d46d361
	v_fma_f64 v[28:29], v[2:3], s[2:3], s[0:1]
	;; [unrolled: 5-line block ×3, first 2 shown]
	v_fma_f64 v[22:23], v[34:35], s[12:13], s[4:5]
	v_fma_f64 v[11:12], v[2:3], v[11:12], s[18:19]
	s_mov_b32 s18, 0x7c89e6b0
	s_mov_b32 s19, 0x3efa0199
	v_fma_f64 v[26:27], v[4:5], s[20:21], v[26:27]
	s_mov_b32 s20, 0x14761f6e
	s_mov_b32 s21, 0x3f2a01a0
	;; [unrolled: 3-line block ×3, first 2 shown]
	v_fma_f64 v[20:21], v[30:31], v[20:21], s[18:19]
	v_fma_f64 v[22:23], v[34:35], v[22:23], s[16:17]
	;; [unrolled: 1-line block ×3, first 2 shown]
	s_mov_b32 s0, 0x7e3dc88d
	s_mov_b32 s1, 0x400d42eb
	v_fma_f64 v[36:37], v[6:7], s[2:3], s[0:1]
	s_mov_b32 s0, 0x7ae5fa45
	s_mov_b32 s2, 0x66c8c0df
	;; [unrolled: 1-line block ×4, first 2 shown]
	v_fma_f64 v[28:29], v[2:3], v[28:29], s[2:3]
	s_mov_b32 s2, 0x86e71c7d
	s_mov_b32 s3, 0xbf53abed
	v_fma_f64 v[32:33], v[2:3], v[32:33], s[2:3]
	s_mov_b32 s2, 0x8240b780
	s_mov_b32 s3, 0x40dd956e
	v_fma_f64 v[20:21], v[30:31], v[20:21], s[20:21]
	v_fma_f64 v[22:23], v[34:35], v[22:23], s[18:19]
	v_fma_f64 v[12:13], v[2:3], v[11:12], v[26:27]
	v_fma_f64 v[26:27], v[6:7], s[26:27], s[24:25]
	s_mov_b32 s26, 0x340991cc
	s_mov_b32 s24, 0x11122322
	v_fma_f64 v[36:37], v[4:5], s[0:1], v[36:37]
	s_mov_b32 s0, 0xc927d1ab
	s_mov_b32 s27, 0xbdff6d73
	;; [unrolled: 1-line block ×4, first 2 shown]
	v_fma_f64 v[40:41], v[2:3], s[28:29], s[26:27]
	s_mov_b32 s28, 0x54155c03
	s_mov_b32 s26, 0x555502a1
	;; [unrolled: 1-line block ×4, first 2 shown]
	v_cvt_i32_f64_e32 v11, v[16:17]
	v_fma_f64 v[20:21], v[30:31], v[20:21], s[22:23]
	v_fma_f64 v[22:23], v[34:35], v[22:23], s[20:21]
	v_mul_f64 v[38:39], v[12:13], s[14:15]
	v_fma_f64 v[42:43], v[4:5], s[0:1], v[26:27]
	s_mov_b32 s0, 0x97d38a9b
	s_mov_b32 s1, 0xbfeb2b45
	v_fma_f64 v[26:27], v[2:3], v[28:29], v[36:37]
	v_fma_f64 v[40:41], v[2:3], v[40:41], s[28:29]
	s_mov_b32 s28, 0x55555511
	s_mov_b32 s29, 0x3fc55555
	v_fma_f64 v[20:21], v[30:31], v[20:21], s[24:25]
	v_fma_f64 v[22:23], v[34:35], v[22:23], s[22:23]
	v_rndne_f64_e32 v[28:29], v[38:39]
	v_fma_f64 v[38:39], v[6:7], s[2:3], s[0:1]
	s_mov_b32 s0, 0x6e536fbf
	s_mov_b32 s2, 0x3b84c925
	;; [unrolled: 1-line block ×4, first 2 shown]
	v_fma_f64 v[40:41], v[2:3], v[40:41], s[2:3]
	s_mov_b32 s2, 0xa0c9e349
	s_mov_b32 s3, 0x3d6058db
	v_fma_f64 v[20:21], v[30:31], v[20:21], s[26:27]
	v_fma_f64 v[36:37], v[34:35], v[22:23], s[24:25]
	;; [unrolled: 1-line block ×3, first 2 shown]
	v_mul_f64 v[32:33], v[26:27], s[14:15]
	v_fma_f64 v[42:43], v[28:29], s[6:7], v[12:13]
	v_fma_f64 v[44:45], v[4:5], s[0:1], v[38:39]
	s_mov_b32 s0, 0x603eb53
	s_mov_b32 s1, 0xbe2160b2
	v_fma_f64 v[20:21], v[30:31], v[20:21], s[28:29]
	v_fma_f64 v[36:37], v[34:35], v[36:37], s[26:27]
	v_mul_f64 v[46:47], v[22:23], s[14:15]
	v_rndne_f64_e32 v[32:33], v[32:33]
	v_fma_f64 v[38:39], v[28:29], s[8:9], v[42:43]
	v_fma_f64 v[42:43], v[2:3], s[2:3], s[0:1]
	s_mov_b32 s0, 0x85c82b7d
	s_mov_b32 s2, 0xbb59ddc2
	;; [unrolled: 1-line block ×4, first 2 shown]
	v_fma_f64 v[48:49], v[30:31], v[20:21], s[30:31]
	v_fma_f64 v[50:51], v[34:35], v[36:37], s[28:29]
	;; [unrolled: 1-line block ×3, first 2 shown]
	v_rndne_f64_e32 v[36:37], v[46:47]
	v_fma_f64 v[40:41], v[32:33], s[6:7], v[26:27]
	v_fma_f64 v[44:45], v[38:39], s[12:13], s[4:5]
	;; [unrolled: 1-line block ×4, first 2 shown]
	s_mov_b32 s0, 0x899bcaa1
	s_mov_b32 s2, 0x53b75995
	;; [unrolled: 1-line block ×6, first 2 shown]
	v_fma_f64 v[48:49], v[30:31], v[48:49], 1.0
	v_fma_f64 v[50:51], v[34:35], v[50:51], s[30:31]
	v_mul_f64 v[54:55], v[20:21], s[14:15]
	v_fma_f64 v[56:57], v[36:37], s[6:7], v[22:23]
	v_fma_f64 v[42:43], v[32:33], s[8:9], v[40:41]
	;; [unrolled: 1-line block ×5, first 2 shown]
	v_cmp_ngt_f64_e64 s0, 0xc090cc00, v[18:19]
	s_mov_b32 s2, 0x48f63e0a
	s_mov_b32 s3, 0x40111abd
	v_fma_f64 v[48:49], v[30:31], v[48:49], 1.0
	v_fma_f64 v[50:51], v[34:35], v[50:51], 1.0
	v_rndne_f64_e32 v[30:31], v[54:55]
	v_fma_f64 v[44:45], v[36:37], s[8:9], v[56:57]
	v_fma_f64 v[54:55], v[42:43], s[12:13], s[4:5]
	;; [unrolled: 1-line block ×3, first 2 shown]
	v_cvt_i32_f64_e32 v56, v[24:25]
	v_fma_f64 v[16:17], v[2:3], v[52:53], v[46:47]
	v_add_co_u32 v46, vcc_lo, s10, v9
	v_add_co_ci_u32_e64 v47, null, s11, v10, vcc_lo
	v_cmp_nlt_f64_e32 vcc_lo, 0x40900000, v[18:19]
	v_mov_b32_e32 v9, v1
	v_ldexp_f64 v[24:25], v[48:49], v11
	v_fma_f64 v[34:35], v[34:35], v[50:51], 1.0
	v_fma_f64 v[10:11], v[30:31], s[6:7], v[20:21]
	v_fma_f64 v[48:49], v[44:45], s[12:13], s[4:5]
	;; [unrolled: 1-line block ×4, first 2 shown]
	v_mul_f64 v[54:55], v[16:17], s[14:15]
	v_cndmask_b32_e32 v25, 0x7ff00000, v25, vcc_lo
	v_ldexp_f64 v[18:19], v[34:35], v56
	v_fma_f64 v[40:41], v[30:31], s[8:9], v[10:11]
	v_fma_f64 v[10:11], v[44:45], v[48:49], s[16:17]
	;; [unrolled: 1-line block ×5, first 2 shown]
	v_rndne_f64_e32 v[34:35], v[54:55]
	s_and_b32 vcc_lo, s0, vcc_lo
	v_lshlrev_b64 v[56:57], 3, v[8:9]
	v_cndmask_b32_e32 v24, 0, v24, vcc_lo
	v_cmp_nlt_f64_e32 vcc_lo, 0x40900000, v[14:15]
	v_cndmask_b32_e64 v25, 0, v25, s0
	v_cmp_ngt_f64_e64 s0, 0xc090cc00, v[14:15]
	s_mov_b32 s44, 0xbc981c95
	s_mov_b32 s45, 0xbd33c9f9
	v_fma_f64 v[54:55], v[6:7], s[40:41], s[38:39]
	global_store_dwordx2 v[46:47], v[24:25], off
	v_fma_f64 v[24:25], v[2:3], s[44:45], s[50:51]
	s_mov_b32 s38, 0xb1c432ca
	s_mov_b32 s40, 0x3d9fc7e3
	;; [unrolled: 1-line block ×5, first 2 shown]
	v_fma_f64 v[14:15], v[40:41], s[12:13], s[4:5]
	v_fma_f64 v[9:10], v[44:45], v[10:11], s[18:19]
	;; [unrolled: 1-line block ×3, first 2 shown]
	v_add_co_u32 v48, s1, s10, v56
	v_add_co_ci_u32_e64 v49, null, s11, v57, s1
	v_fma_f64 v[50:51], v[38:39], v[50:51], s[24:25]
	v_fma_f64 v[52:53], v[2:3], v[52:53], s[48:49]
	;; [unrolled: 1-line block ×3, first 2 shown]
	v_cndmask_b32_e32 v19, 0x7ff00000, v19, vcc_lo
	s_and_b32 vcc_lo, s0, vcc_lo
	s_mov_b32 s41, 0xbe92e41b
	v_cndmask_b32_e32 v18, 0, v18, vcc_lo
	s_mov_b32 s45, 0xbdf60d7e
	v_cndmask_b32_e64 v19, 0, v19, s0
	s_mov_b32 s47, 0x3d37bf8f
	v_fma_f64 v[60:61], v[6:7], s[38:39], s[36:37]
	v_fma_f64 v[24:25], v[2:3], v[24:25], s[40:41]
	s_mov_b32 s0, 0xfde64a4c
	global_store_dwordx2 v[48:49], v[18:19], off
	v_fma_f64 v[18:19], v[2:3], s[46:47], s[44:45]
	v_fma_f64 v[58:59], v[40:41], v[14:15], s[16:17]
	v_fma_f64 v[9:10], v[44:45], v[9:10], s[20:21]
	v_fma_f64 v[46:47], v[42:43], v[46:47], s[22:23]
	v_fma_f64 v[48:49], v[4:5], s[2:3], v[54:55]
	s_mov_b32 s2, 0xfea885d
	s_mov_b32 s36, 0x487fcb92
	;; [unrolled: 1-line block ×3, first 2 shown]
	v_fma_f64 v[50:51], v[38:39], v[50:51], s[26:27]
	v_fma_f64 v[52:53], v[2:3], v[52:53], s[34:35]
	;; [unrolled: 1-line block ×3, first 2 shown]
	s_mov_b32 s34, 0x65ab5584
	s_mov_b32 s1, 0x400beb24
	;; [unrolled: 1-line block ×6, first 2 shown]
	v_fma_f64 v[56:57], v[6:7], s[36:37], s[34:35]
	s_mov_b32 s34, 0x4830649b
	v_fma_f64 v[24:25], v[2:3], v[24:25], s[2:3]
	s_mov_b32 s2, 0x1614006e
	s_mov_b32 s3, 0x3f3fbf7d
	s_mov_b32 s35, 0x3eb70562
	v_fma_f64 v[54:55], v[40:41], v[58:59], s[18:19]
	v_fma_f64 v[9:10], v[44:45], v[9:10], s[22:23]
	;; [unrolled: 1-line block ×5, first 2 shown]
	s_mov_b32 s0, 0x46480de1
	s_mov_b32 s1, 0x400e19f7
	v_fma_f64 v[50:51], v[38:39], v[50:51], s[28:29]
	v_fma_f64 v[18:19], v[2:3], v[52:53], v[48:49]
	;; [unrolled: 1-line block ×3, first 2 shown]
	v_cmp_nlt_f64_e32 vcc_lo, 0x40900000, v[12:13]
	v_add_nc_u32_e32 v8, s33, v8
	s_mov_b32 s38, 0xbdaf257e
	s_mov_b32 s40, 0x21fd8e05
	;; [unrolled: 1-line block ×4, first 2 shown]
	v_fma_f64 v[56:57], v[4:5], s[0:1], v[56:57]
	s_mov_b32 s0, 0x15bab05d
	s_mov_b32 s1, 0xbe032679
	;; [unrolled: 1-line block ×5, first 2 shown]
	v_fma_f64 v[52:53], v[40:41], v[54:55], s[20:21]
	v_fma_f64 v[54:55], v[44:45], v[9:10], s[24:25]
	;; [unrolled: 1-line block ×5, first 2 shown]
	s_mov_b32 s2, 0x1c91768b
	s_mov_b32 s3, 0x3d3b58ed
	v_fma_f64 v[50:51], v[38:39], v[50:51], s[30:31]
	v_mul_f64 v[58:59], v[18:19], s[14:15]
	v_fma_f64 v[48:49], v[14:15], v[48:49], s[16:17]
	v_cvt_i32_f64_e32 v9, v[28:29]
	s_mov_b32 s45, 0x3eb005d9
	v_fma_f64 v[52:53], v[40:41], v[52:53], s[22:23]
	v_fma_f64 v[54:55], v[44:45], v[54:55], s[26:27]
	;; [unrolled: 1-line block ×5, first 2 shown]
	s_mov_b32 s0, 0x613ff21a
	v_fma_f64 v[50:51], v[38:39], v[50:51], 1.0
	v_rndne_f64_e32 v[46:47], v[58:59]
	v_fma_f64 v[48:49], v[14:15], v[48:49], s[18:19]
	s_mov_b32 s2, 0x1f212d77
	s_mov_b32 s1, 0xbfe89c9f
	;; [unrolled: 1-line block ×3, first 2 shown]
	v_add_nc_u32_e32 v60, s33, v8
	v_fma_f64 v[28:29], v[6:7], s[2:3], s[0:1]
	s_mov_b32 s0, 0xe035346a
	s_mov_b32 s2, 0x52eb8373
	;; [unrolled: 1-line block ×4, first 2 shown]
	v_mov_b32_e32 v61, v1
	v_fma_f64 v[52:53], v[40:41], v[52:53], s[24:25]
	v_fma_f64 v[54:55], v[44:45], v[54:55], s[28:29]
	;; [unrolled: 1-line block ×3, first 2 shown]
	v_cvt_i32_f64_e32 v62, v[32:33]
	v_cvt_i32_f64_e32 v63, v[36:37]
	v_fma_f64 v[32:33], v[2:3], v[56:57], s[34:35]
	s_mov_b32 s34, 0xa59ad9b6
	v_fma_f64 v[38:39], v[38:39], v[50:51], 1.0
	v_fma_f64 v[50:51], v[46:47], s[6:7], v[18:19]
	v_fma_f64 v[56:57], v[14:15], v[48:49], s[20:21]
	s_mov_b32 s35, 0x3ff9ac4b
	v_fma_f64 v[28:29], v[4:5], s[0:1], v[28:29]
	v_cmp_ngt_f64_e64 s0, 0xc090cc00, v[12:13]
	v_fma_f64 v[52:53], v[40:41], v[52:53], s[26:27]
	v_fma_f64 v[54:55], v[44:45], v[54:55], s[30:31]
	v_fma_f64 v[58:59], v[42:43], v[58:59], 1.0
	v_fma_f64 v[32:33], v[2:3], v[32:33], s[2:3]
	v_cmp_ngt_f64_e64 s2, 0xc090cc00, v[26:27]
	v_ldexp_f64 v[38:39], v[38:39], v9
	v_fma_f64 v[48:49], v[46:47], s[8:9], v[50:51]
	v_fma_f64 v[50:51], v[14:15], v[56:57], s[22:23]
	v_mul_f64 v[56:57], v[10:11], s[14:15]
	v_mov_b32_e32 v9, v1
	v_cvt_i32_f64_e32 v47, v[46:47]
	v_lshlrev_b64 v[8:9], 3, v[8:9]
	v_add_co_u32 v8, s1, s10, v8
	v_fma_f64 v[52:53], v[40:41], v[52:53], s[28:29]
	v_fma_f64 v[54:55], v[44:45], v[54:55], 1.0
	v_fma_f64 v[42:43], v[42:43], v[58:59], 1.0
	v_fma_f64 v[28:29], v[2:3], v[32:33], v[28:29]
	v_add_co_ci_u32_e64 v9, null, s11, v9, s1
	v_fma_f64 v[58:59], v[48:49], s[12:13], s[4:5]
	v_fma_f64 v[50:51], v[14:15], v[50:51], s[24:25]
	v_rndne_f64_e32 v[32:33], v[56:57]
	v_cndmask_b32_e32 v39, 0x7ff00000, v39, vcc_lo
	s_and_b32 vcc_lo, s0, vcc_lo
	v_cmp_nlt_f64_e64 s1, 0x40900000, v[26:27]
	v_cndmask_b32_e32 v26, 0, v38, vcc_lo
	v_cndmask_b32_e64 v27, 0, v39, s0
	v_cmp_ngt_f64_e64 s0, 0xc090cc00, v[22:23]
	global_store_dwordx2 v[8:9], v[26:27], off
	v_fma_f64 v[8:9], v[2:3], s[40:41], s[38:39]
	v_lshlrev_b64 v[26:27], 3, v[60:61]
	v_fma_f64 v[36:37], v[40:41], v[52:53], s[30:31]
	v_fma_f64 v[44:45], v[44:45], v[54:55], 1.0
	v_mul_f64 v[52:53], v[24:25], s[14:15]
	v_mul_f64 v[54:55], v[28:29], s[14:15]
	v_ldexp_f64 v[42:43], v[42:43], v62
	v_add_co_u32 v26, vcc_lo, s10, v26
	v_fma_f64 v[12:13], v[48:49], v[58:59], s[16:17]
	v_fma_f64 v[50:51], v[14:15], v[50:51], s[26:27]
	v_add_co_ci_u32_e64 v27, null, s11, v27, vcc_lo
	v_cmp_nlt_f64_e32 vcc_lo, 0x40900000, v[22:23]
	v_cvt_i32_f64_e32 v58, v[30:31]
	s_mov_b32 s38, 0x7731d0ca
	s_mov_b32 s39, 0x3d6d533a
	v_fma_f64 v[8:9], v[2:3], v[8:9], s[44:45]
	v_fma_f64 v[56:57], v[40:41], v[36:37], 1.0
	v_ldexp_f64 v[44:45], v[44:45], v63
	v_rndne_f64_e32 v[36:37], v[52:53]
	v_fma_f64 v[52:53], v[32:33], s[6:7], v[10:11]
	v_rndne_f64_e32 v[38:39], v[54:55]
	v_fma_f64 v[54:55], v[6:7], s[36:37], s[34:35]
	v_cndmask_b32_e64 v43, 0x7ff00000, v43, s1
	v_fma_f64 v[12:13], v[48:49], v[12:13], s[18:19]
	v_fma_f64 v[50:51], v[14:15], v[50:51], s[28:29]
	s_and_b32 s1, s2, s1
	s_mov_b32 s34, 0x81608816
	v_cndmask_b32_e64 v43, 0, v43, s2
	v_cndmask_b32_e64 v42, 0, v42, s1
	s_mov_b32 s2, 0x5d17324c
	s_mov_b32 s36, 0x4468a2a1
	;; [unrolled: 1-line block ×5, first 2 shown]
	global_store_dwordx2 v[26:27], v[42:43], off
	v_fma_f64 v[8:9], v[2:3], v[8:9], s[34:35]
	s_mov_b32 s34, 0xe48e8a72
	v_fma_f64 v[40:41], v[40:41], v[56:57], 1.0
	v_cndmask_b32_e32 v45, 0x7ff00000, v45, vcc_lo
	v_fma_f64 v[22:23], v[36:37], s[6:7], v[24:25]
	v_fma_f64 v[30:31], v[32:33], s[8:9], v[52:53]
	;; [unrolled: 1-line block ×3, first 2 shown]
	s_and_b32 vcc_lo, s0, vcc_lo
	v_add_nc_u32_e32 v56, s33, v60
	v_fma_f64 v[12:13], v[48:49], v[12:13], s[20:21]
	v_fma_f64 v[50:51], v[14:15], v[50:51], s[30:31]
	;; [unrolled: 1-line block ×3, first 2 shown]
	v_mov_b32_e32 v57, v1
	s_mov_b32 s2, 0xeed001e0
	s_mov_b32 s3, 0xc01290b1
	;; [unrolled: 1-line block ×3, first 2 shown]
	v_lshlrev_b64 v[26:27], 3, v[56:57]
	v_add_co_u32 v26, s1, s10, v26
	v_ldexp_f64 v[58:59], v[40:41], v58
	v_fma_f64 v[42:43], v[36:37], s[8:9], v[22:23]
	v_fma_f64 v[60:61], v[30:31], s[12:13], s[4:5]
	;; [unrolled: 1-line block ×3, first 2 shown]
	v_cndmask_b32_e64 v23, 0, v45, s0
	v_cndmask_b32_e32 v22, 0, v44, vcc_lo
	v_fma_f64 v[12:13], v[48:49], v[12:13], s[22:23]
	v_fma_f64 v[50:51], v[14:15], v[50:51], 1.0
	v_cmp_nlt_f64_e32 vcc_lo, 0x40900000, v[20:21]
	v_cmp_ngt_f64_e64 s0, 0xc090cc00, v[20:21]
	v_fma_f64 v[20:21], v[2:3], s[38:39], s[36:37]
	s_mov_b32 s36, 0xa9253b9f
	s_mov_b32 s37, 0x3ee1308e
	v_add_co_ci_u32_e64 v27, null, s11, v27, s1
	s_mov_b32 s38, 0xd95eec46
	s_mov_b32 s39, 0x3ee4f3ae
	global_store_dwordx2 v[26:27], v[22:23], off
	v_add_nc_u32_e32 v26, s33, v56
	v_mov_b32_e32 v27, v1
	v_fma_f64 v[52:53], v[40:41], s[12:13], s[4:5]
	v_fma_f64 v[44:45], v[14:15], v[50:51], 1.0
	v_cndmask_b32_e32 v57, 0x7ff00000, v59, vcc_lo
	v_cvt_i32_f64_e32 v59, v[34:35]
	v_fma_f64 v[14:15], v[48:49], v[12:13], s[24:25]
	v_fma_f64 v[34:35], v[30:31], v[60:61], s[16:17]
	;; [unrolled: 1-line block ×6, first 2 shown]
	s_mov_b32 s2, 0x20d33445
	s_mov_b32 s34, 0xb6cd6efa
	;; [unrolled: 1-line block ×4, first 2 shown]
	s_and_b32 vcc_lo, s0, vcc_lo
	s_mov_b32 s36, 0xc64f90c1
	s_mov_b32 s37, 0x3ec34408
	v_fma_f64 v[52:53], v[40:41], v[52:53], s[16:17]
	v_ldexp_f64 v[59:60], v[44:45], v59
	v_fma_f64 v[14:15], v[48:49], v[14:15], s[26:27]
	v_fma_f64 v[34:35], v[30:31], v[34:35], s[18:19]
	;; [unrolled: 1-line block ×5, first 2 shown]
	s_mov_b32 s2, 0x1efa0089
	s_mov_b32 s34, 0xb9906b82
	;; [unrolled: 1-line block ×4, first 2 shown]
	v_fma_f64 v[52:53], v[40:41], v[52:53], s[18:19]
	v_fma_f64 v[54:55], v[48:49], v[14:15], s[28:29]
	;; [unrolled: 1-line block ×5, first 2 shown]
	v_mul_f64 v[8:9], v[12:13], s[14:15]
	v_fma_f64 v[22:23], v[48:49], v[54:55], s[30:31]
	v_fma_f64 v[34:35], v[30:31], v[34:35], s[22:23]
	;; [unrolled: 1-line block ×4, first 2 shown]
	v_lshlrev_b64 v[54:55], 3, v[26:27]
	v_cndmask_b32_e32 v52, 0, v58, vcc_lo
	v_rndne_f64_e32 v[20:21], v[8:9]
	v_mul_f64 v[8:9], v[14:15], s[14:15]
	v_cmp_nlt_f64_e32 vcc_lo, 0x40900000, v[16:17]
	v_cndmask_b32_e64 v53, 0, v57, s0
	v_cmp_ngt_f64_e64 s0, 0xc090cc00, v[16:17]
	v_add_co_u32 v16, s1, s10, v54
	v_add_co_ci_u32_e64 v17, null, s11, v55, s1
	v_fma_f64 v[56:57], v[2:3], s[34:35], s[2:3]
	s_mov_b32 s2, 0x20c49ba
	s_mov_b32 s34, 0x92797344
	global_store_dwordx2 v[16:17], v[52:53], off
	s_mov_b32 s3, 0x40cc040b
	s_mov_b32 s35, 0x3e86bee9
	v_fma_f64 v[54:55], v[48:49], v[22:23], 1.0
	v_fma_f64 v[16:17], v[30:31], v[34:35], s[24:25]
	v_fma_f64 v[34:35], v[42:43], v[44:45], s[22:23]
	;; [unrolled: 1-line block ×3, first 2 shown]
	v_add_nc_u32_e32 v44, s33, v26
	v_mov_b32_e32 v45, v1
	v_fma_f64 v[52:53], v[20:21], s[6:7], v[12:13]
	v_rndne_f64_e32 v[22:23], v[8:9]
	v_cndmask_b32_e32 v27, 0x7ff00000, v60, vcc_lo
	v_lshlrev_b64 v[8:9], 3, v[44:45]
	s_and_b32 vcc_lo, s0, vcc_lo
	v_cndmask_b32_e32 v59, 0, v59, vcc_lo
	v_cndmask_b32_e64 v60, 0, v27, s0
	s_mov_b32 s0, 0xe274a9cb
	v_add_co_u32 v8, vcc_lo, s10, v8
	v_add_co_ci_u32_e64 v9, null, s11, v9, vcc_lo
	s_mov_b32 s1, 0x400c1138
	v_cmp_nlt_f64_e32 vcc_lo, 0x40900000, v[18:19]
	v_fma_f64 v[48:49], v[48:49], v[54:55], 1.0
	v_fma_f64 v[54:55], v[2:3], v[56:57], s[34:35]
	v_fma_f64 v[34:35], v[42:43], v[34:35], s[24:25]
	;; [unrolled: 1-line block ×4, first 2 shown]
	global_store_dwordx2 v[8:9], v[59:60], off
	v_fma_f64 v[26:27], v[20:21], s[8:9], v[52:53]
	v_fma_f64 v[50:51], v[22:23], s[6:7], v[14:15]
	;; [unrolled: 1-line block ×3, first 2 shown]
	s_mov_b32 s0, 0x5fda8f8
	s_mov_b32 s2, 0x83a1a924
	;; [unrolled: 1-line block ×5, first 2 shown]
	v_fma_f64 v[8:9], v[2:3], s[2:3], s[0:1]
	s_mov_b32 s0, 0x71a4b2fd
	s_mov_b32 s2, 0x8c1ba1b0
	;; [unrolled: 1-line block ×5, first 2 shown]
	v_ldexp_f64 v[47:48], v[48:49], v47
	v_fma_f64 v[56:57], v[42:43], v[34:35], s[26:27]
	v_fma_f64 v[45:46], v[40:41], v[45:46], s[26:27]
	;; [unrolled: 1-line block ×7, first 2 shown]
	s_mov_b32 s0, 0xb771c6c2
	s_mov_b32 s2, 0x7c84b5e
	;; [unrolled: 1-line block ×4, first 2 shown]
	v_fma_f64 v[8:9], v[2:3], v[8:9], s[34:35]
	v_fma_f64 v[53:54], v[6:7], s[2:3], s[0:1]
	s_mov_b32 s0, 0x1343d496
	s_mov_b32 s2, 0x2ab3e914
	;; [unrolled: 1-line block ×6, first 2 shown]
	v_fma_f64 v[55:56], v[42:43], v[56:57], s[28:29]
	v_fma_f64 v[45:46], v[40:41], v[45:46], s[28:29]
	;; [unrolled: 1-line block ×4, first 2 shown]
	v_cvt_i32_f64_e32 v59, v[32:33]
	v_fma_f64 v[16:17], v[2:3], v[51:52], v[49:50]
	v_fma_f64 v[49:50], v[34:35], s[12:13], s[4:5]
	;; [unrolled: 1-line block ×4, first 2 shown]
	s_mov_b32 s2, 0x59e0e268
	s_mov_b32 s3, 0xbe130fc8
	v_cmp_ngt_f64_e64 s0, 0xc090cc00, v[18:19]
	v_fma_f64 v[18:19], v[2:3], s[34:35], s[2:3]
	s_mov_b32 s2, 0xbb8a5a37
	s_mov_b32 s34, 0x426fe719
	;; [unrolled: 1-line block ×4, first 2 shown]
	v_fma_f64 v[53:54], v[42:43], v[55:56], s[30:31]
	v_fma_f64 v[45:46], v[40:41], v[45:46], s[30:31]
	v_fma_f64 v[55:56], v[30:31], v[60:61], 1.0
	v_cvt_i32_f64_e32 v61, v[36:37]
	v_fma_f64 v[57:58], v[26:27], v[57:58], s[18:19]
	v_cndmask_b32_e32 v60, 0x7ff00000, v48, vcc_lo
	v_cmp_nlt_f64_e64 s1, 0x40900000, v[24:25]
	v_fma_f64 v[49:50], v[34:35], v[49:50], s[16:17]
	v_fma_f64 v[8:9], v[2:3], v[8:9], v[51:52]
	v_mul_f64 v[51:52], v[16:17], s[14:15]
	s_and_b32 vcc_lo, s0, vcc_lo
	v_fma_f64 v[18:19], v[2:3], v[18:19], s[36:37]
	s_mov_b32 s36, 0x7854cd93
	s_mov_b32 s37, 0x3ee3f522
	v_fma_f64 v[53:54], v[42:43], v[53:54], 1.0
	v_fma_f64 v[45:46], v[40:41], v[45:46], 1.0
	;; [unrolled: 1-line block ×3, first 2 shown]
	v_fma_f64 v[55:56], v[26:27], v[57:58], s[20:21]
	v_add_nc_u32_e32 v57, s33, v44
	v_mov_b32_e32 v58, v1
	v_fma_f64 v[49:50], v[34:35], v[49:50], s[18:19]
	v_lshlrev_b64 v[36:37], 3, v[57:58]
	v_rndne_f64_e32 v[32:33], v[51:52]
	v_mul_f64 v[51:52], v[8:9], s[14:15]
	v_fma_f64 v[42:43], v[42:43], v[53:54], 1.0
	v_fma_f64 v[40:41], v[40:41], v[45:46], 1.0
	v_ldexp_f64 v[53:54], v[30:31], v59
	v_cvt_i32_f64_e32 v46, v[38:39]
	v_fma_f64 v[38:39], v[26:27], v[55:56], s[22:23]
	v_cndmask_b32_e32 v55, 0, v47, vcc_lo
	v_add_co_u32 v36, vcc_lo, s10, v36
	v_fma_f64 v[44:45], v[34:35], v[49:50], s[20:21]
	v_cndmask_b32_e64 v56, 0, v60, s0
	v_add_co_ci_u32_e64 v37, null, s11, v37, vcc_lo
	v_cmp_nlt_f64_e32 vcc_lo, 0x40900000, v[10:11]
	v_cmp_ngt_f64_e64 s0, 0xc090cc00, v[10:11]
	v_fma_f64 v[48:49], v[32:33], s[6:7], v[16:17]
	v_rndne_f64_e32 v[30:31], v[51:52]
	v_fma_f64 v[50:51], v[6:7], s[34:35], s[2:3]
	s_mov_b32 s2, 0x8a748d9c
	s_mov_b32 s34, 0x251f436f
	;; [unrolled: 1-line block ×4, first 2 shown]
	global_store_dwordx2 v[36:37], v[55:56], off
	v_ldexp_f64 v[42:43], v[42:43], v61
	v_fma_f64 v[18:19], v[2:3], v[18:19], s[34:35]
	v_add_nc_u32_e32 v36, s33, v57
	v_ldexp_f64 v[46:47], v[40:41], v46
	v_fma_f64 v[10:11], v[26:27], v[38:39], s[24:25]
	v_mov_b32_e32 v37, v1
	s_mov_b32 s34, 0x3dfa2eee
	s_mov_b32 s35, 0x3d672e83
	v_fma_f64 v[38:39], v[34:35], v[44:45], s[22:23]
	v_mov_b32_e32 v56, v1
	v_cndmask_b32_e32 v52, 0x7ff00000, v54, vcc_lo
	s_and_b32 vcc_lo, s0, vcc_lo
	v_fma_f64 v[44:45], v[32:33], s[8:9], v[48:49]
	v_fma_f64 v[40:41], v[30:31], s[6:7], v[8:9]
	;; [unrolled: 1-line block ×3, first 2 shown]
	v_cmp_ngt_f64_e64 s2, 0xc090cc00, v[24:25]
	v_add_nc_u32_e32 v24, s33, v36
	v_lshlrev_b64 v[36:37], 3, v[36:37]
	v_cndmask_b32_e32 v50, 0, v53, vcc_lo
	v_cmp_nlt_f64_e32 vcc_lo, 0x40900000, v[28:29]
	v_cndmask_b32_e64 v43, 0x7ff00000, v43, s1
	v_cndmask_b32_e64 v51, 0, v52, s0
	v_cmp_ngt_f64_e64 s0, 0xc090cc00, v[28:29]
	v_mov_b32_e32 v25, v1
	v_fma_f64 v[28:29], v[26:27], v[10:11], s[26:27]
	v_fma_f64 v[38:39], v[34:35], v[38:39], s[24:25]
	v_lshlrev_b64 v[52:53], 3, v[24:25]
	v_fma_f64 v[54:55], v[44:45], s[12:13], s[4:5]
	v_fma_f64 v[40:41], v[30:31], s[8:9], v[40:41]
	;; [unrolled: 1-line block ×3, first 2 shown]
	v_add_co_u32 v18, s3, s10, v36
	v_add_co_ci_u32_e64 v19, null, s11, v37, s3
	v_cndmask_b32_e64 v37, 0, v43, s2
	s_and_b32 s1, s2, s1
	s_mov_b32 s2, 0xd59a1ba5
	s_mov_b32 s3, 0xbe2b2679
	global_store_dwordx2 v[18:19], v[50:51], off
	v_fma_f64 v[18:19], v[2:3], s[34:35], s[2:3]
	v_cndmask_b32_e64 v36, 0, v42, s1
	v_add_co_u32 v42, s1, s10, v52
	v_cndmask_b32_e32 v25, 0x7ff00000, v47, vcc_lo
	v_add_co_ci_u32_e64 v43, null, s11, v53, s1
	s_and_b32 vcc_lo, s0, vcc_lo
	s_mov_b32 s2, 0x52c6841a
	s_mov_b32 s3, 0x3d3d362c
	global_store_dwordx2 v[42:43], v[36:37], off
	v_cndmask_b32_e64 v37, 0, v25, s0
	s_mov_b32 s0, 0x47e5fda7
	s_mov_b32 s1, 0xbe051fdd
	v_fma_f64 v[28:29], v[26:27], v[28:29], s[28:29]
	v_fma_f64 v[38:39], v[34:35], v[38:39], s[26:27]
	;; [unrolled: 1-line block ×4, first 2 shown]
	v_mul_f64 v[49:50], v[10:11], s[14:15]
	s_mov_b32 s34, 0x47636be0
	v_fma_f64 v[51:52], v[2:3], s[2:3], s[0:1]
	s_mov_b32 s0, 0x7525460b
	s_mov_b32 s2, 0x3ea672eb
	;; [unrolled: 1-line block ×5, first 2 shown]
	v_fma_f64 v[53:54], v[6:7], s[0:1], s[34:35]
	v_fma_f64 v[18:19], v[2:3], v[18:19], s[2:3]
	s_mov_b32 s0, 0x24cc6823
	s_mov_b32 s2, 0xd844d01
	;; [unrolled: 1-line block ×6, first 2 shown]
	v_cndmask_b32_e32 v36, 0, v46, vcc_lo
	v_add_nc_u32_e32 v55, s33, v24
	v_fma_f64 v[24:25], v[26:27], v[28:29], s[30:31]
	v_fma_f64 v[28:29], v[34:35], v[38:39], s[28:29]
	;; [unrolled: 1-line block ×4, first 2 shown]
	v_rndne_f64_e32 v[42:43], v[49:50]
	v_fma_f64 v[48:49], v[6:7], s[2:3], s[0:1]
	v_fma_f64 v[50:51], v[2:3], v[51:52], s[34:35]
	s_mov_b32 s0, 0xc2ed4ffa
	s_mov_b32 s2, 0x9984744
	;; [unrolled: 1-line block ×5, first 2 shown]
	v_fma_f64 v[52:53], v[4:5], s[0:1], v[53:54]
	v_fma_f64 v[18:19], v[2:3], v[18:19], s[2:3]
	s_mov_b32 s0, 0x7b95a294
	s_mov_b32 s2, 0xf83733c9
	;; [unrolled: 1-line block ×5, first 2 shown]
	v_cvt_i32_f64_e32 v54, v[20:21]
	v_lshlrev_b64 v[56:57], 3, v[55:56]
	v_fma_f64 v[58:59], v[26:27], v[24:25], 1.0
	v_fma_f64 v[28:29], v[34:35], v[28:29], s[30:31]
	v_fma_f64 v[38:39], v[44:45], v[38:39], s[20:21]
	;; [unrolled: 1-line block ×6, first 2 shown]
	s_mov_b32 s0, 0x2a942f1
	s_mov_b32 s2, 0xd30d2640
	;; [unrolled: 1-line block ×4, first 2 shown]
	v_add_co_u32 v56, vcc_lo, s10, v56
	v_fma_f64 v[24:25], v[2:3], v[18:19], v[52:53]
	v_fma_f64 v[18:19], v[2:3], s[2:3], s[0:1]
	s_mov_b32 s0, 0x6e0c4d1
	s_mov_b32 s2, 0xc3c9eecc
	;; [unrolled: 1-line block ×4, first 2 shown]
	v_add_co_ci_u32_e64 v57, null, s11, v57, vcc_lo
	v_cmp_nlt_f64_e32 vcc_lo, 0x40900000, v[12:13]
	v_fma_f64 v[52:53], v[26:27], v[58:59], 1.0
	v_fma_f64 v[28:29], v[34:35], v[28:29], 1.0
	v_fma_f64 v[38:39], v[44:45], v[38:39], s[22:23]
	v_fma_f64 v[58:59], v[40:41], v[46:47], s[20:21]
	;; [unrolled: 1-line block ×3, first 2 shown]
	v_cvt_i32_f64_e32 v60, v[22:23]
	v_fma_f64 v[26:27], v[2:3], v[50:51], v[48:49]
	v_fma_f64 v[48:49], v[6:7], s[2:3], s[0:1]
	s_mov_b32 s0, 0x2c73f3ba
	s_mov_b32 s2, 0xf4461617
	;; [unrolled: 1-line block ×4, first 2 shown]
	global_store_dwordx2 v[56:57], v[36:37], off
	v_mul_f64 v[50:51], v[24:25], s[14:15]
	v_fma_f64 v[18:19], v[2:3], v[18:19], s[34:35]
	s_mov_b32 s34, 0xe09f2e5b
	s_mov_b32 s35, 0xbe9aae7f
	v_ldexp_f64 v[52:53], v[52:53], v54
	v_fma_f64 v[20:21], v[34:35], v[28:29], 1.0
	v_fma_f64 v[22:23], v[44:45], v[38:39], s[24:25]
	v_fma_f64 v[28:29], v[40:41], v[58:59], s[22:23]
	;; [unrolled: 1-line block ×4, first 2 shown]
	v_cmp_ngt_f64_e64 s0, 0xc090cc00, v[12:13]
	v_cmp_nlt_f64_e64 s1, 0x40900000, v[14:15]
	v_rndne_f64_e32 v[34:35], v[50:51]
	v_fma_f64 v[18:19], v[2:3], v[18:19], s[2:3]
	v_mul_f64 v[50:51], v[26:27], s[14:15]
	v_cmp_ngt_f64_e64 s2, 0xc090cc00, v[14:15]
	v_fma_f64 v[22:23], v[44:45], v[22:23], s[26:27]
	v_fma_f64 v[58:59], v[40:41], v[28:29], s[24:25]
	;; [unrolled: 1-line block ×5, first 2 shown]
	v_rndne_f64_e32 v[28:29], v[50:51]
	v_ldexp_f64 v[50:51], v[20:21], v60
	v_cndmask_b32_e32 v60, 0x7ff00000, v53, vcc_lo
	s_and_b32 vcc_lo, s0, vcc_lo
	v_cndmask_b32_e32 v14, 0, v52, vcc_lo
	v_cndmask_b32_e64 v15, 0, v60, s0
	v_fma_f64 v[12:13], v[44:45], v[22:23], s[28:29]
	v_fma_f64 v[20:21], v[40:41], v[58:59], s[26:27]
	;; [unrolled: 1-line block ×3, first 2 shown]
	v_add_nc_u32_e32 v22, s33, v55
	v_mov_b32_e32 v23, v1
	v_lshlrev_b64 v[55:56], 3, v[22:23]
	v_add_nc_u32_e32 v22, s33, v22
	v_mul_f64 v[53:54], v[18:19], s[14:15]
	v_fma_f64 v[38:39], v[34:35], s[8:9], v[48:49]
	v_fma_f64 v[48:49], v[28:29], s[6:7], v[26:27]
	v_cndmask_b32_e64 v61, 0x7ff00000, v51, s1
	v_add_co_u32 v51, vcc_lo, s10, v55
	v_add_co_ci_u32_e64 v52, null, s11, v56, vcc_lo
	s_and_b32 vcc_lo, s2, s1
	s_mov_b32 s0, 0x2fffba5f
	v_fma_f64 v[12:13], v[44:45], v[12:13], s[30:31]
	v_fma_f64 v[55:56], v[40:41], v[20:21], s[28:29]
	;; [unrolled: 1-line block ×3, first 2 shown]
	global_store_dwordx2 v[51:52], v[14:15], off
	v_lshlrev_b64 v[14:15], 3, v[22:23]
	s_mov_b32 s1, 0xbddbba1d
	v_cvt_i32_f64_e32 v23, v[32:33]
	v_rndne_f64_e32 v[20:21], v[53:54]
	v_fma_f64 v[59:60], v[38:39], s[12:13], s[4:5]
	v_fma_f64 v[36:37], v[28:29], s[8:9], v[48:49]
	v_cndmask_b32_e32 v48, 0, v50, vcc_lo
	v_add_co_u32 v14, vcc_lo, s10, v14
	v_cndmask_b32_e64 v49, 0, v61, s2
	v_add_co_ci_u32_e64 v15, null, s11, v15, vcc_lo
	s_mov_b32 s2, 0x6846b667
	v_fma_f64 v[12:13], v[44:45], v[12:13], 1.0
	v_fma_f64 v[50:51], v[40:41], v[55:56], s[30:31]
	s_mov_b32 s3, 0x3d2ba34d
	v_fma_f64 v[52:53], v[46:47], v[57:58], s[22:23]
	global_store_dwordx2 v[14:15], v[48:49], off
	v_fma_f64 v[14:15], v[2:3], s[2:3], s[0:1]
	s_mov_b32 s0, 0xfa722186
	s_mov_b32 s2, 0x6872b021
	s_mov_b32 s1, 0x4017ae7a
	s_mov_b32 s3, 0xc0e7bdb9
	v_cmp_nlt_f64_e32 vcc_lo, 0x40900000, v[16:17]
	v_fma_f64 v[54:55], v[38:39], v[59:60], s[16:17]
	v_fma_f64 v[58:59], v[20:21], s[6:7], v[18:19]
	;; [unrolled: 1-line block ×3, first 2 shown]
	v_fma_f64 v[12:13], v[44:45], v[12:13], 1.0
	v_fma_f64 v[32:33], v[40:41], v[50:51], 1.0
	v_fma_f64 v[48:49], v[46:47], v[52:53], s[24:25]
	v_fma_f64 v[14:15], v[2:3], v[14:15], s[34:35]
	s_mov_b32 s34, 0xad97a807
	s_mov_b32 s35, 0x3ed21ebb
	v_fma_f64 v[50:51], v[38:39], v[54:55], s[18:19]
	v_fma_f64 v[44:45], v[20:21], s[8:9], v[58:59]
	;; [unrolled: 1-line block ×3, first 2 shown]
	s_mov_b32 s0, 0x3ca2348d
	s_mov_b32 s2, 0xf1cd550
	;; [unrolled: 1-line block ×4, first 2 shown]
	v_fma_f64 v[52:53], v[36:37], v[56:57], s[16:17]
	v_fma_f64 v[56:57], v[2:3], s[2:3], s[0:1]
	v_ldexp_f64 v[58:59], v[12:13], v23
	v_fma_f64 v[12:13], v[40:41], v[32:33], 1.0
	v_cvt_i32_f64_e32 v23, v[30:31]
	s_mov_b32 s0, 0x6525f486
	s_mov_b32 s2, 0x59362e0e
	;; [unrolled: 1-line block ×4, first 2 shown]
	v_fma_f64 v[30:31], v[46:47], v[48:49], s[26:27]
	v_fma_f64 v[14:15], v[2:3], v[14:15], s[2:3]
	s_mov_b32 s2, 0x18fc5048
	s_mov_b32 s3, 0xc0e1057b
	v_fma_f64 v[32:33], v[38:39], v[50:51], s[20:21]
	v_fma_f64 v[48:49], v[44:45], s[12:13], s[4:5]
	;; [unrolled: 1-line block ×3, first 2 shown]
	s_mov_b32 s0, 0x881a1555
	s_mov_b32 s1, 0x40210565
	v_fma_f64 v[40:41], v[36:37], v[52:53], s[18:19]
	v_fma_f64 v[52:53], v[6:7], s[2:3], s[0:1]
	;; [unrolled: 1-line block ×3, first 2 shown]
	v_cndmask_b32_e32 v61, 0x7ff00000, v59, vcc_lo
	v_add_nc_u32_e32 v56, s33, v22
	v_ldexp_f64 v[59:60], v[12:13], v23
	s_mov_b32 s2, 0x9c31fa4e
	s_mov_b32 s34, 0x1df63fcd
	;; [unrolled: 1-line block ×4, first 2 shown]
	v_cmp_ngt_f64_e64 s0, 0xc090cc00, v[16:17]
	v_fma_f64 v[16:17], v[46:47], v[30:31], s[28:29]
	v_mov_b32_e32 v57, v1
	v_fma_f64 v[22:23], v[38:39], v[32:33], s[22:23]
	v_fma_f64 v[32:33], v[44:45], v[48:49], s[16:17]
	;; [unrolled: 1-line block ×3, first 2 shown]
	v_lshlrev_b64 v[48:49], 3, v[56:57]
	v_fma_f64 v[30:31], v[36:37], v[40:41], s[20:21]
	v_fma_f64 v[14:15], v[4:5], s[2:3], v[52:53]
	;; [unrolled: 1-line block ×3, first 2 shown]
	s_mov_b32 s2, 0xbc2922ba
	s_mov_b32 s34, 0x7e223a7d
	;; [unrolled: 1-line block ×4, first 2 shown]
	v_fma_f64 v[52:53], v[2:3], s[34:35], s[2:3]
	s_mov_b32 s2, 0xba285a67
	s_and_b32 vcc_lo, s0, vcc_lo
	s_mov_b32 s34, 0xa35935fc
	v_cndmask_b32_e32 v50, 0, v58, vcc_lo
	v_add_co_u32 v48, vcc_lo, s10, v48
	v_fma_f64 v[22:23], v[38:39], v[22:23], s[24:25]
	v_fma_f64 v[32:33], v[44:45], v[32:33], s[18:19]
	s_mov_b32 s3, 0x401063aa
	s_mov_b32 s35, 0xc0b3e1c6
	v_cndmask_b32_e64 v51, 0, v61, s0
	v_add_co_ci_u32_e64 v49, null, s11, v49, vcc_lo
	v_cmp_nlt_f64_e32 vcc_lo, 0x40900000, v[8:9]
	v_cmp_ngt_f64_e64 s0, 0xc090cc00, v[8:9]
	v_fma_f64 v[8:9], v[46:47], v[16:17], s[30:31]
	v_fma_f64 v[30:31], v[36:37], v[30:31], s[22:23]
	v_mul_f64 v[54:55], v[12:13], s[14:15]
	v_fma_f64 v[16:17], v[2:3], v[40:41], v[14:15]
	v_fma_f64 v[14:15], v[6:7], s[34:35], s[2:3]
	s_mov_b32 s2, 0xd356ff96
	v_fma_f64 v[40:41], v[2:3], v[52:53], s[36:37]
	s_mov_b32 s34, 0xa77197f7
	s_mov_b32 s3, 0x400fac71
	;; [unrolled: 1-line block ×3, first 2 shown]
	global_store_dwordx2 v[48:49], v[50:51], off
	v_add_nc_u32_e32 v48, s33, v56
	v_mov_b32_e32 v49, v1
	v_fma_f64 v[52:53], v[38:39], v[22:23], s[26:27]
	v_fma_f64 v[32:33], v[44:45], v[32:33], s[20:21]
	v_cvt_i32_f64_e32 v58, v[42:43]
	s_mov_b32 s36, 0xe7e42173
	s_mov_b32 s37, 0xbf6125f4
	v_mov_b32_e32 v61, v1
	v_cndmask_b32_e32 v57, 0x7ff00000, v60, vcc_lo
	s_and_b32 vcc_lo, s0, vcc_lo
	v_fma_f64 v[8:9], v[46:47], v[8:9], 1.0
	v_fma_f64 v[30:31], v[36:37], v[30:31], s[24:25]
	v_rndne_f64_e32 v[22:23], v[54:55]
	v_cndmask_b32_e64 v55, 0, v57, s0
	v_fma_f64 v[14:15], v[4:5], s[2:3], v[14:15]
	s_mov_b32 s2, 0x3ad81749
	v_fma_f64 v[40:41], v[2:3], v[40:41], s[34:35]
	s_mov_b32 s34, 0xf0472426
	s_mov_b32 s3, 0xbe35718e
	;; [unrolled: 1-line block ×4, first 2 shown]
	v_cndmask_b32_e32 v54, 0, v59, vcc_lo
	s_mov_b32 s1, 0x4012d42e
	v_fma_f64 v[52:53], v[38:39], v[52:53], s[28:29]
	v_fma_f64 v[32:33], v[44:45], v[32:33], s[22:23]
	v_add_nc_u32_e32 v60, s33, v48
	v_fma_f64 v[8:9], v[46:47], v[8:9], 1.0
	v_fma_f64 v[30:31], v[36:37], v[30:31], s[26:27]
	v_fma_f64 v[42:43], v[22:23], s[6:7], v[12:13]
	v_mul_f64 v[46:47], v[16:17], s[14:15]
	v_fma_f64 v[14:15], v[2:3], v[40:41], v[14:15]
	v_lshlrev_b64 v[40:41], 3, v[48:49]
	v_fma_f64 v[49:50], v[2:3], s[34:35], s[2:3]
	s_mov_b32 s2, 0xc90bd661
	s_mov_b32 s35, 0xc0c914d0
	;; [unrolled: 1-line block ×4, first 2 shown]
	v_fma_f64 v[51:52], v[38:39], v[52:53], s[30:31]
	v_fma_f64 v[32:33], v[44:45], v[32:33], s[24:25]
	v_add_co_u32 v56, vcc_lo, s10, v40
	v_add_co_ci_u32_e64 v57, null, s11, v41, vcc_lo
	v_cmp_nlt_f64_e32 vcc_lo, 0x40900000, v[10:11]
	v_ldexp_f64 v[58:59], v[8:9], v58
	v_fma_f64 v[8:9], v[36:37], v[30:31], s[28:29]
	v_fma_f64 v[40:41], v[22:23], s[8:9], v[42:43]
	v_rndne_f64_e32 v[30:31], v[46:47]
	v_fma_f64 v[46:47], v[6:7], s[34:35], s[0:1]
	v_cmp_ngt_f64_e64 s0, 0xc090cc00, v[10:11]
	v_mul_f64 v[42:43], v[14:15], s[14:15]
	global_store_dwordx2 v[56:57], v[54:55], off
	v_fma_f64 v[49:50], v[2:3], v[49:50], s[2:3]
	s_mov_b32 s2, 0x23a3c91d
	s_mov_b32 s3, 0x401139d2
	;; [unrolled: 1-line block ×3, first 2 shown]
	v_fma_f64 v[51:52], v[38:39], v[51:52], 1.0
	v_fma_f64 v[10:11], v[44:45], v[32:33], s[26:27]
	v_cndmask_b32_e32 v57, 0x7ff00000, v59, vcc_lo
	v_fma_f64 v[8:9], v[36:37], v[8:9], s[30:31]
	v_fma_f64 v[53:54], v[40:41], s[12:13], s[4:5]
	;; [unrolled: 1-line block ×3, first 2 shown]
	v_cvt_i32_f64_e32 v59, v[34:35]
	s_and_b32 vcc_lo, s0, vcc_lo
	v_rndne_f64_e32 v[32:33], v[42:43]
	v_fma_f64 v[42:43], v[4:5], s[2:3], v[46:47]
	v_fma_f64 v[46:47], v[2:3], v[49:50], s[36:37]
	s_mov_b32 s2, 0x17bccd0f
	s_mov_b32 s36, 0x5c95727
	;; [unrolled: 1-line block ×4, first 2 shown]
	v_fma_f64 v[49:50], v[38:39], v[51:52], 1.0
	v_fma_f64 v[51:52], v[2:3], s[36:37], s[2:3]
	v_fma_f64 v[10:11], v[44:45], v[10:11], s[28:29]
	s_mov_b32 s2, 0x618352b0
	s_mov_b32 s36, 0x4dd2f1aa
	;; [unrolled: 1-line block ×4, first 2 shown]
	v_cndmask_b32_e32 v58, 0, v58, vcc_lo
	v_cmp_nlt_f64_e32 vcc_lo, 0x40900000, v[24:25]
	v_fma_f64 v[34:35], v[36:37], v[8:9], 1.0
	v_fma_f64 v[53:54], v[40:41], v[53:54], s[16:17]
	v_fma_f64 v[38:39], v[30:31], s[8:9], v[55:56]
	;; [unrolled: 1-line block ×5, first 2 shown]
	s_mov_b32 s2, 0x4b528ec3
	s_mov_b32 s36, 0x1f95b2df
	;; [unrolled: 1-line block ×3, first 2 shown]
	v_ldexp_f64 v[49:50], v[49:50], v59
	v_fma_f64 v[46:47], v[2:3], v[51:52], s[38:39]
	v_fma_f64 v[10:11], v[44:45], v[10:11], s[30:31]
	v_cvt_i32_f64_e32 v59, v[28:29]
	s_mov_b32 s37, 0xbf6688c9
	s_mov_b32 s38, 0xefdfac2e
	;; [unrolled: 1-line block ×3, first 2 shown]
	v_fma_f64 v[34:35], v[36:37], v[34:35], 1.0
	v_fma_f64 v[28:29], v[40:41], v[53:54], s[18:19]
	v_fma_f64 v[51:52], v[38:39], s[12:13], s[4:5]
	;; [unrolled: 1-line block ×3, first 2 shown]
	v_mul_f64 v[53:54], v[8:9], s[14:15]
	v_fma_f64 v[42:43], v[4:5], s[2:3], v[42:43]
	v_cmp_ngt_f64_e64 s2, 0xc090cc00, v[26:27]
	v_cndmask_b32_e32 v48, 0x7ff00000, v50, vcc_lo
	v_fma_f64 v[46:47], v[2:3], v[46:47], s[36:37]
	v_fma_f64 v[55:56], v[44:45], v[10:11], 1.0
	s_mov_b32 s36, 0xbc6a7efa
	s_mov_b32 s37, 0xc0d396dc
	v_ldexp_f64 v[34:35], v[34:35], v59
	v_fma_f64 v[62:63], v[40:41], v[28:29], s[20:21]
	v_fma_f64 v[51:52], v[38:39], v[51:52], s[16:17]
	v_cndmask_b32_e64 v59, 0, v57, s0
	v_cmp_ngt_f64_e64 s0, 0xc090cc00, v[24:25]
	v_fma_f64 v[64:65], v[36:37], s[12:13], s[4:5]
	v_lshlrev_b64 v[24:25], 3, v[60:61]
	v_rndne_f64_e32 v[28:29], v[53:54]
	v_fma_f64 v[10:11], v[2:3], v[46:47], v[42:43]
	v_fma_f64 v[42:43], v[44:45], v[55:56], 1.0
	v_cvt_i32_f64_e32 v56, v[20:21]
	v_add_co_u32 v20, s1, s10, v24
	v_add_co_ci_u32_e64 v21, null, s11, v25, s1
	v_cmp_nlt_f64_e64 s1, 0x40900000, v[26:27]
	v_add_nc_u32_e32 v24, s33, v60
	v_mov_b32_e32 v25, v1
	v_fma_f64 v[26:27], v[40:41], v[62:63], s[22:23]
	v_fma_f64 v[44:45], v[38:39], v[51:52], s[18:19]
	global_store_dwordx2 v[20:21], v[58:59], off
	s_and_b32 vcc_lo, s0, vcc_lo
	v_fma_f64 v[46:47], v[36:37], v[64:65], s[16:17]
	v_lshlrev_b64 v[20:21], 3, v[24:25]
	v_fma_f64 v[50:51], v[28:29], s[6:7], v[8:9]
	v_add_nc_u32_e32 v24, s33, v24
	v_cndmask_b32_e64 v55, 0, v48, s0
	v_cndmask_b32_e32 v54, 0, v49, vcc_lo
	v_add_co_u32 v48, vcc_lo, s10, v20
	v_mul_f64 v[52:53], v[10:11], s[14:15]
	v_ldexp_f64 v[42:43], v[42:43], v56
	v_lshlrev_b64 v[56:57], 3, v[24:25]
	v_add_co_ci_u32_e64 v49, null, s11, v21, vcc_lo
	v_cndmask_b32_e64 v35, 0x7ff00000, v35, s1
	s_and_b32 vcc_lo, s2, s1
	s_mov_b32 s0, 0xf34767a7
	v_cndmask_b32_e32 v34, 0, v34, vcc_lo
	v_fma_f64 v[58:59], v[40:41], v[26:27], s[24:25]
	v_cndmask_b32_e64 v35, 0, v35, s2
	s_mov_b32 s2, 0xa8be7d
	s_mov_b32 s1, 0x3e18bba1
	;; [unrolled: 1-line block ×3, first 2 shown]
	v_fma_f64 v[26:27], v[28:29], s[8:9], v[50:51]
	v_add_co_u32 v50, vcc_lo, s10, v56
	v_add_co_ci_u32_e64 v51, null, s11, v57, vcc_lo
	v_cmp_nlt_f64_e32 vcc_lo, 0x40900000, v[18:19]
	v_fma_f64 v[60:61], v[38:39], v[44:45], s[20:21]
	v_rndne_f64_e32 v[20:21], v[52:53]
	v_fma_f64 v[52:53], v[2:3], s[2:3], s[0:1]
	v_cmp_ngt_f64_e64 s0, 0xc090cc00, v[18:19]
	v_fma_f64 v[46:47], v[36:37], v[46:47], s[18:19]
	s_mov_b32 s2, 0xefe0ce0c
	v_add_nc_u32_e32 v44, s33, v24
	v_mov_b32_e32 v45, v1
	s_mov_b32 s3, 0x4028fb17
	global_store_dwordx2 v[48:49], v[54:55], off
	global_store_dwordx2 v[50:51], v[34:35], off
	v_fma_f64 v[56:57], v[6:7], s[36:37], s[2:3]
	v_fma_f64 v[34:35], v[40:41], v[58:59], s[26:27]
	s_mov_b32 s2, 0xe42a9e11
	s_mov_b32 s36, 0x8609475f
	;; [unrolled: 1-line block ×4, first 2 shown]
	v_fma_f64 v[50:51], v[26:27], s[12:13], s[4:5]
	v_cndmask_b32_e32 v25, 0x7ff00000, v43, vcc_lo
	v_fma_f64 v[48:49], v[38:39], v[60:61], s[22:23]
	v_fma_f64 v[54:55], v[20:21], s[6:7], v[10:11]
	;; [unrolled: 1-line block ×3, first 2 shown]
	s_and_b32 vcc_lo, s0, vcc_lo
	v_cndmask_b32_e64 v19, 0, v25, s0
	v_lshlrev_b64 v[24:25], 3, v[44:45]
	v_fma_f64 v[45:46], v[36:37], v[46:47], s[20:21]
	v_cndmask_b32_e32 v18, 0, v42, vcc_lo
	v_fma_f64 v[42:43], v[2:3], s[36:37], s[2:3]
	s_mov_b32 s0, 0x8265a06e
	s_mov_b32 s2, 0x67388492
	;; [unrolled: 1-line block ×4, first 2 shown]
	v_add_co_u32 v24, vcc_lo, s10, v24
	v_fma_f64 v[58:59], v[40:41], v[34:35], s[28:29]
	s_mov_b32 s36, 0x966938a0
	v_add_co_ci_u32_e64 v25, null, s11, v25, vcc_lo
	s_mov_b32 s37, 0xbec851d2
	v_cmp_nlt_f64_e32 vcc_lo, 0x40900000, v[12:13]
	v_fma_f64 v[47:48], v[38:39], v[48:49], s[24:25]
	v_fma_f64 v[49:50], v[26:27], v[50:51], s[16:17]
	;; [unrolled: 1-line block ×5, first 2 shown]
	s_mov_b32 s0, 0x6a26e547
	s_mov_b32 s2, 0x4ab606b
	s_mov_b32 s1, 0x40286e69
	s_mov_b32 s3, 0x40bb82eb
	v_fma_f64 v[45:46], v[36:37], v[45:46], s[22:23]
	v_fma_f64 v[56:57], v[6:7], s[2:3], s[0:1]
	;; [unrolled: 1-line block ×3, first 2 shown]
	s_mov_b32 s0, 0x2213f08
	s_mov_b32 s2, 0xfa3e34f6
	;; [unrolled: 1-line block ×4, first 2 shown]
	global_store_dwordx2 v[24:25], v[18:19], off
	v_fma_f64 v[24:25], v[2:3], s[2:3], s[0:1]
	s_mov_b32 s0, 0x5790e08d
	s_mov_b32 s2, 0xec708b6b
	;; [unrolled: 1-line block ×4, first 2 shown]
	v_fma_f64 v[58:59], v[40:41], v[58:59], s[30:31]
	v_fma_f64 v[47:48], v[38:39], v[47:48], s[26:27]
	;; [unrolled: 1-line block ×5, first 2 shown]
	s_mov_b32 s36, 0xaa41db60
	s_mov_b32 s37, 0x3e9527ee
	v_fma_f64 v[45:46], v[36:37], v[45:46], s[24:25]
	v_fma_f64 v[51:52], v[4:5], s[0:1], v[56:57]
	v_fma_f64 v[42:43], v[2:3], v[42:43], s[2:3]
	s_mov_b32 s0, 0x8d9b5e96
	s_mov_b32 s2, 0x9d49518
	;; [unrolled: 1-line block ×4, first 2 shown]
	v_fma_f64 v[53:54], v[6:7], s[2:3], s[0:1]
	v_fma_f64 v[55:56], v[2:3], v[24:25], s[36:37]
	s_mov_b32 s0, 0x81f02fa8
	s_mov_b32 s2, 0x115dd40
	s_mov_b32 s1, 0x400b45c2
	v_fma_f64 v[57:58], v[40:41], v[58:59], 1.0
	v_fma_f64 v[47:48], v[38:39], v[47:48], s[28:29]
	v_fma_f64 v[49:50], v[26:27], v[49:50], s[20:21]
	;; [unrolled: 1-line block ×3, first 2 shown]
	s_mov_b32 s3, 0x3f75fe1b
	v_cvt_i32_f64_e32 v61, v[22:23]
	s_mov_b32 s36, 0x8840b02f
	s_mov_b32 s37, 0x3d734a72
	v_fma_f64 v[45:46], v[36:37], v[45:46], s[26:27]
	v_fma_f64 v[24:25], v[2:3], v[42:43], v[51:52]
	v_mul_f64 v[42:43], v[18:19], s[14:15]
	v_fma_f64 v[51:52], v[4:5], s[0:1], v[53:54]
	v_fma_f64 v[53:54], v[2:3], v[55:56], s[2:3]
	v_cmp_ngt_f64_e64 s0, 0xc090cc00, v[12:13]
	s_mov_b32 s2, 0x6e8b7f34
	s_mov_b32 s3, 0xbe3490b3
	v_fma_f64 v[40:41], v[40:41], v[57:58], 1.0
	v_fma_f64 v[47:48], v[38:39], v[47:48], s[30:31]
	v_fma_f64 v[49:50], v[26:27], v[49:50], s[22:23]
	;; [unrolled: 1-line block ×3, first 2 shown]
	v_cvt_i32_f64_e32 v59, v[30:31]
	v_fma_f64 v[45:46], v[36:37], v[45:46], s[28:29]
	v_mul_f64 v[57:58], v[24:25], s[14:15]
	v_rndne_f64_e32 v[42:43], v[42:43]
	v_fma_f64 v[22:23], v[2:3], v[53:54], v[51:52]
	v_ldexp_f64 v[51:52], v[40:41], v61
	v_fma_f64 v[47:48], v[38:39], v[47:48], 1.0
	v_fma_f64 v[49:50], v[26:27], v[49:50], s[24:25]
	v_fma_f64 v[53:54], v[34:35], v[55:56], s[20:21]
	;; [unrolled: 1-line block ×3, first 2 shown]
	v_rndne_f64_e32 v[40:41], v[57:58]
	v_fma_f64 v[55:56], v[42:43], s[6:7], v[18:19]
	v_mul_f64 v[57:58], v[22:23], s[14:15]
	v_fma_f64 v[47:48], v[38:39], v[47:48], 1.0
	v_fma_f64 v[49:50], v[26:27], v[49:50], s[26:27]
	v_fma_f64 v[53:54], v[34:35], v[53:54], s[22:23]
	v_fma_f64 v[45:46], v[36:37], v[45:46], 1.0
	v_fma_f64 v[38:39], v[42:43], s[8:9], v[55:56]
	v_fma_f64 v[55:56], v[40:41], s[6:7], v[24:25]
	v_rndne_f64_e32 v[30:31], v[57:58]
	v_cndmask_b32_e32 v58, 0x7ff00000, v52, vcc_lo
	s_and_b32 vcc_lo, s0, vcc_lo
	v_mov_b32_e32 v57, v1
	v_ldexp_f64 v[47:48], v[47:48], v59
	v_cndmask_b32_e64 v59, 0, v58, s0
	v_cndmask_b32_e32 v58, 0, v51, vcc_lo
	v_cmp_nlt_f64_e32 vcc_lo, 0x40900000, v[16:17]
	v_cmp_ngt_f64_e64 s0, 0xc090cc00, v[16:17]
	v_fma_f64 v[36:37], v[36:37], v[45:46], 1.0
	v_fma_f64 v[45:46], v[26:27], v[49:50], s[28:29]
	v_fma_f64 v[49:50], v[34:35], v[53:54], s[24:25]
	;; [unrolled: 1-line block ×4, first 2 shown]
	v_add_nc_u32_e32 v56, s33, v44
	v_cvt_i32_f64_e32 v44, v[32:33]
	v_fma_f64 v[54:55], v[30:31], s[6:7], v[22:23]
	v_lshlrev_b64 v[32:33], 3, v[56:57]
	v_add_co_u32 v60, s1, s10, v32
	v_cndmask_b32_e32 v57, 0x7ff00000, v48, vcc_lo
	s_and_b32 vcc_lo, s0, vcc_lo
	v_add_co_ci_u32_e64 v61, null, s11, v33, s1
	v_cmp_nlt_f64_e64 s1, 0x40900000, v[8:9]
	v_fma_f64 v[62:63], v[26:27], v[45:46], s[30:31]
	v_fma_f64 v[48:49], v[34:35], v[49:50], s[26:27]
	;; [unrolled: 1-line block ×4, first 2 shown]
	v_mov_b32_e32 v45, v1
	v_ldexp_f64 v[32:33], v[36:37], v44
	v_cndmask_b32_e32 v36, 0, v47, vcc_lo
	v_add_nc_u32_e32 v44, s33, v56
	v_fma_f64 v[16:17], v[30:31], s[8:9], v[54:55]
	v_cndmask_b32_e64 v37, 0, v57, s0
	v_cmp_ngt_f64_e64 s0, 0xc090cc00, v[14:15]
	global_store_dwordx2 v[60:61], v[58:59], off
	v_lshlrev_b64 v[45:46], 3, v[44:45]
	v_cvt_i32_f64_e32 v59, v[20:21]
	v_mov_b32_e32 v58, v1
	v_add_co_u32 v45, vcc_lo, s10, v45
	v_add_co_ci_u32_e64 v46, null, s11, v46, vcc_lo
	v_fma_f64 v[54:55], v[26:27], v[62:63], 1.0
	v_fma_f64 v[47:48], v[34:35], v[48:49], s[28:29]
	v_fma_f64 v[49:50], v[38:39], v[50:51], s[18:19]
	;; [unrolled: 1-line block ×3, first 2 shown]
	v_cmp_nlt_f64_e32 vcc_lo, 0x40900000, v[14:15]
	v_fma_f64 v[14:15], v[2:3], s[36:37], s[2:3]
	s_mov_b32 s2, 0x5df3d
	s_mov_b32 s3, 0x4010697d
	v_fma_f64 v[56:57], v[16:17], s[12:13], s[4:5]
	s_mov_b32 s36, 0x3f7e1a43
	s_mov_b32 s37, 0x3d6be0a9
	global_store_dwordx2 v[45:46], v[36:37], off
	v_mov_b32_e32 v37, v1
	v_cvt_i32_f64_e32 v46, v[40:41]
	v_fma_f64 v[26:27], v[26:27], v[54:55], 1.0
	v_fma_f64 v[47:48], v[34:35], v[47:48], s[30:31]
	v_fma_f64 v[49:50], v[38:39], v[49:50], s[20:21]
	;; [unrolled: 1-line block ×3, first 2 shown]
	v_cndmask_b32_e32 v33, 0x7ff00000, v33, vcc_lo
	s_and_b32 vcc_lo, s0, vcc_lo
	v_fma_f64 v[53:54], v[16:17], v[56:57], s[16:17]
	v_fma_f64 v[55:56], v[6:7], s[34:35], s[2:3]
	s_mov_b32 s2, 0x4c7edf0f
	s_mov_b32 s3, 0x3ee09d5a
	;; [unrolled: 1-line block ×3, first 2 shown]
	v_fma_f64 v[14:15], v[2:3], v[14:15], s[2:3]
	s_mov_b32 s2, 0x6e6106ab
	s_mov_b32 s3, 0x4012eaf7
	;; [unrolled: 1-line block ×3, first 2 shown]
	v_cvt_i32_f64_e32 v57, v[28:29]
	v_fma_f64 v[47:48], v[34:35], v[47:48], 1.0
	v_fma_f64 v[28:29], v[38:39], v[49:50], s[22:23]
	v_fma_f64 v[49:50], v[12:13], v[51:52], s[20:21]
	;; [unrolled: 1-line block ×5, first 2 shown]
	s_mov_b32 s2, 0x427d2efe
	s_mov_b32 s3, 0xbf5a28ce
	;; [unrolled: 1-line block ×3, first 2 shown]
	v_fma_f64 v[14:15], v[2:3], v[14:15], s[2:3]
	s_mov_b32 s2, 0x8defcf27
	s_mov_b32 s3, 0xbe17e4a0
	;; [unrolled: 1-line block ×5, first 2 shown]
	v_ldexp_f64 v[26:27], v[26:27], v57
	v_add_nc_u32_e32 v57, s33, v44
	v_fma_f64 v[34:35], v[34:35], v[47:48], 1.0
	v_fma_f64 v[47:48], v[2:3], s[34:35], s[2:3]
	s_mov_b32 s2, 0xc0b13598
	s_mov_b32 s34, 0x4189374c
	;; [unrolled: 1-line block ×4, first 2 shown]
	v_fma_f64 v[20:21], v[38:39], v[28:29], s[24:25]
	v_fma_f64 v[28:29], v[12:13], v[49:50], s[22:23]
	;; [unrolled: 1-line block ×5, first 2 shown]
	s_mov_b32 s2, 0x92ccf7
	s_mov_b32 s34, 0xd2f1a9fc
	;; [unrolled: 1-line block ×4, first 2 shown]
	v_fma_f64 v[14:15], v[2:3], v[14:15], v[53:54]
	v_fma_f64 v[53:54], v[6:7], s[34:35], s[2:3]
	s_mov_b32 s2, 0x806f2629
	s_mov_b32 s34, 0x4d0b06d
	;; [unrolled: 1-line block ×6, first 2 shown]
	v_cndmask_b32_e64 v60, 0x7ff00000, v27, s1
	v_fma_f64 v[47:48], v[2:3], v[47:48], s[36:37]
	v_add_nc_u32_e32 v36, s33, v57
	v_ldexp_f64 v[34:35], v[34:35], v59
	v_fma_f64 v[20:21], v[38:39], v[20:21], s[26:27]
	v_fma_f64 v[28:29], v[12:13], v[28:29], s[24:25]
	;; [unrolled: 1-line block ×5, first 2 shown]
	s_mov_b32 s2, 0xe17e34b9
	s_mov_b32 s34, 0xf0d3924
	;; [unrolled: 1-line block ×4, first 2 shown]
	v_fma_f64 v[53:54], v[4:5], s[2:3], v[53:54]
	v_cmp_ngt_f64_e64 s2, 0xc090cc00, v[8:9]
	v_cndmask_b32_e64 v9, 0, v33, s0
	v_cndmask_b32_e32 v8, 0, v32, vcc_lo
	v_lshlrev_b64 v[32:33], 3, v[57:58]
	v_lshlrev_b64 v[57:58], 3, v[36:37]
	v_cmp_ngt_f64_e64 s0, 0xc090cc00, v[10:11]
	v_fma_f64 v[47:48], v[2:3], v[47:48], s[34:35]
	v_add_co_u32 v32, vcc_lo, s10, v32
	v_fma_f64 v[20:21], v[38:39], v[20:21], s[28:29]
	v_fma_f64 v[28:29], v[12:13], v[28:29], s[26:27]
	;; [unrolled: 1-line block ×3, first 2 shown]
	v_add_co_ci_u32_e64 v33, null, s11, v33, vcc_lo
	v_fma_f64 v[51:52], v[2:3], v[55:56], v[51:52]
	v_mul_f64 v[55:56], v[14:15], s[14:15]
	s_and_b32 vcc_lo, s2, s1
	v_cndmask_b32_e64 v60, 0, v60, s2
	v_cndmask_b32_e32 v59, 0, v26, vcc_lo
	v_add_co_u32 v57, vcc_lo, s10, v57
	v_add_co_ci_u32_e64 v58, null, s11, v58, vcc_lo
	v_fma_f64 v[47:48], v[2:3], v[47:48], v[53:54]
	v_cmp_nlt_f64_e32 vcc_lo, 0x40900000, v[10:11]
	global_store_dwordx2 v[32:33], v[8:9], off
	global_store_dwordx2 v[57:58], v[59:60], off
	v_cmp_nlt_f64_e64 s1, 0x40900000, v[18:19]
	v_fma_f64 v[20:21], v[38:39], v[20:21], s[30:31]
	v_fma_f64 v[27:28], v[12:13], v[28:29], s[28:29]
	;; [unrolled: 1-line block ×3, first 2 shown]
	v_cmp_ngt_f64_e64 s2, 0xc090cc00, v[18:19]
	v_mul_f64 v[53:54], v[51:52], s[14:15]
	v_rndne_f64_e32 v[44:45], v[55:56]
	v_mul_f64 v[55:56], v[47:48], s[14:15]
	v_cndmask_b32_e32 v35, 0x7ff00000, v35, vcc_lo
	s_and_b32 vcc_lo, s0, vcc_lo
	v_fma_f64 v[20:21], v[38:39], v[20:21], 1.0
	v_fma_f64 v[10:11], v[12:13], v[27:28], s[30:31]
	v_fma_f64 v[49:50], v[16:17], v[49:50], s[28:29]
	v_cndmask_b32_e32 v18, 0, v34, vcc_lo
	v_cndmask_b32_e64 v19, 0, v35, s0
	v_rndne_f64_e32 v[28:29], v[53:54]
	v_fma_f64 v[26:27], v[44:45], s[6:7], v[14:15]
	v_cmp_ngt_f64_e64 s0, 0xc090cc00, v[24:25]
	v_rndne_f64_e32 v[53:54], v[55:56]
	v_fma_f64 v[20:21], v[38:39], v[20:21], 1.0
	v_fma_f64 v[10:11], v[12:13], v[10:11], 1.0
	v_cvt_i32_f64_e32 v39, v[42:43]
	v_fma_f64 v[42:43], v[16:17], v[49:50], s[30:31]
	v_fma_f64 v[37:38], v[28:29], s[6:7], v[51:52]
	;; [unrolled: 1-line block ×4, first 2 shown]
	s_mov_b32 s6, 0x1c8d79b3
	s_mov_b32 s7, 0xbe1c0db1
	v_fma_f64 v[10:11], v[12:13], v[10:11], 1.0
	v_ldexp_f64 v[20:21], v[20:21], v39
	v_fma_f64 v[42:43], v[16:17], v[42:43], 1.0
	v_fma_f64 v[37:38], v[28:29], s[8:9], v[37:38]
	v_fma_f64 v[12:13], v[26:27], s[12:13], s[4:5]
	;; [unrolled: 1-line block ×3, first 2 shown]
	s_mov_b32 s8, 0x6bb0b46f
	s_mov_b32 s9, 0x3d607cc8
	v_ldexp_f64 v[8:9], v[10:11], v46
	v_add_nc_u32_e32 v10, s33, v36
	v_fma_f64 v[16:17], v[16:17], v[42:43], 1.0
	v_mov_b32_e32 v11, v1
	v_fma_f64 v[39:40], v[37:38], s[12:13], s[4:5]
	v_fma_f64 v[12:13], v[26:27], v[12:13], s[16:17]
	v_cvt_i32_f64_e32 v43, v[30:31]
	v_cndmask_b32_e64 v21, 0x7ff00000, v21, s1
	s_and_b32 s1, s2, s1
	v_cvt_i32_f64_e32 v36, v[44:45]
	v_cndmask_b32_e64 v20, 0, v20, s1
	v_cndmask_b32_e64 v21, 0, v21, s2
	v_cmp_ngt_f64_e64 s2, 0xc090cc00, v[22:23]
	v_fma_f64 v[41:42], v[49:50], s[12:13], s[4:5]
	s_mov_b32 s4, 0x49ba5e35
	s_mov_b32 s5, 0xc0c4242c
	v_fma_f64 v[39:40], v[37:38], v[39:40], s[16:17]
	v_fma_f64 v[12:13], v[26:27], v[12:13], s[18:19]
	v_ldexp_f64 v[16:17], v[16:17], v43
	v_fma_f64 v[41:42], v[49:50], v[41:42], s[16:17]
	v_fma_f64 v[39:40], v[37:38], v[39:40], s[18:19]
	;; [unrolled: 1-line block ×20, first 2 shown]
	v_fma_f64 v[12:13], v[26:27], v[12:13], 1.0
	v_fma_f64 v[30:31], v[49:50], v[41:42], s[30:31]
	v_fma_f64 v[32:33], v[37:38], v[39:40], 1.0
	v_fma_f64 v[12:13], v[26:27], v[12:13], 1.0
	v_lshlrev_b64 v[26:27], 3, v[10:11]
	v_add_nc_u32_e32 v10, s33, v10
	v_add_co_u32 v26, vcc_lo, s10, v26
	v_add_co_ci_u32_e64 v27, null, s11, v27, vcc_lo
	v_cmp_nlt_f64_e32 vcc_lo, 0x40900000, v[24:25]
	v_fma_f64 v[30:31], v[49:50], v[30:31], 1.0
	global_store_dwordx2 v[26:27], v[18:19], off
	v_lshlrev_b64 v[18:19], 3, v[10:11]
	v_add_co_u32 v18, s1, s10, v18
	v_add_co_ci_u32_e64 v19, null, s11, v19, s1
	v_cmp_nlt_f64_e64 s1, 0x40900000, v[22:23]
	v_ldexp_f64 v[11:12], v[12:13], v36
	v_fma_f64 v[24:25], v[37:38], v[32:33], 1.0
	v_cvt_i32_f64_e32 v13, v[28:29]
	v_cvt_i32_f64_e32 v28, v[53:54]
	global_store_dwordx2 v[18:19], v[20:21], off
	v_mov_b32_e32 v33, v1
	v_cndmask_b32_e32 v34, 0x7ff00000, v9, vcc_lo
	s_and_b32 vcc_lo, s0, vcc_lo
	v_fma_f64 v[22:23], v[49:50], v[30:31], 1.0
	v_add_nc_u32_e32 v9, s33, v10
	v_mov_b32_e32 v10, v1
	v_cndmask_b32_e64 v18, 0, v34, s0
	v_cmp_ngt_f64_e64 s0, 0xc090cc00, v[14:15]
	v_mov_b32_e32 v31, v1
	v_lshlrev_b64 v[19:20], 3, v[9:10]
	v_cndmask_b32_e64 v26, 0x7ff00000, v17, s1
	v_cndmask_b32_e32 v17, 0, v8, vcc_lo
	v_cmp_nlt_f64_e32 vcc_lo, 0x40900000, v[14:15]
	v_add_nc_u32_e32 v8, s33, v9
	v_mov_b32_e32 v9, v1
	s_and_b32 s1, s2, s1
	v_ldexp_f64 v[24:25], v[24:25], v13
	v_cndmask_b32_e64 v27, 0, v26, s2
	v_cndmask_b32_e64 v26, 0, v16, s1
	v_mov_b32_e32 v13, v1
	v_ldexp_f64 v[15:16], v[22:23], v28
	v_add_co_u32 v19, s3, s10, v19
	v_add_co_ci_u32_e64 v20, null, s11, v20, s3
	v_lshlrev_b64 v[9:10], 3, v[8:9]
	s_mov_b32 s2, 0x1fcd24e1
	s_mov_b32 s3, 0x403522d3
	v_fma_f64 v[6:7], v[6:7], s[4:5], s[2:3]
	v_cmp_ngt_f64_e64 s2, 0xc090cc00, v[47:48]
	v_add_co_u32 v9, s1, s10, v9
	v_add_co_ci_u32_e64 v10, null, s11, v10, s1
	v_cndmask_b32_e32 v12, 0x7ff00000, v12, vcc_lo
	s_and_b32 vcc_lo, s0, vcc_lo
	s_mov_b32 s4, 0x38d2af65
	v_cndmask_b32_e32 v21, 0, v11, vcc_lo
	v_cmp_nlt_f64_e32 vcc_lo, 0x40900000, v[51:52]
	v_cndmask_b32_e64 v22, 0, v12, s0
	v_add_nc_u32_e32 v12, s33, v8
	v_cmp_ngt_f64_e64 s0, 0xc090cc00, v[51:52]
	s_mov_b32 s5, 0x3ff0c92f
	v_lshlrev_b64 v[13:14], 3, v[12:13]
	v_add_nc_u32_e32 v30, s33, v12
	v_fma_f64 v[11:12], v[4:5], s[4:5], v[6:7]
	v_add_co_u32 v28, s1, s10, v13
	v_add_co_ci_u32_e64 v29, null, s11, v14, s1
	v_cmp_nlt_f64_e64 s1, 0x40900000, v[47:48]
	v_add_nc_u32_e32 v32, s33, v30
	v_lshlrev_b64 v[4:5], 3, v[30:31]
	v_fma_f64 v[13:14], v[2:3], s[8:9], s[6:7]
	v_cndmask_b32_e32 v8, 0x7ff00000, v25, vcc_lo
	s_and_b32 vcc_lo, s0, vcc_lo
	v_cndmask_b32_e32 v6, 0, v24, vcc_lo
	v_lshlrev_b64 v[23:24], 3, v[32:33]
	v_add_co_u32 v4, vcc_lo, s10, v4
	v_add_co_ci_u32_e64 v5, null, s11, v5, vcc_lo
	v_cndmask_b32_e64 v7, 0, v8, s0
                                        ; implicit-def: $vgpr8
	v_cndmask_b32_e64 v16, 0x7ff00000, v16, s1
	s_and_b32 vcc_lo, s2, s1
	v_cndmask_b32_e32 v15, 0, v15, vcc_lo
	v_add_co_u32 v23, vcc_lo, s10, v23
	v_cndmask_b32_e64 v16, 0, v16, s2
	v_add_co_ci_u32_e64 v24, null, s11, v24, vcc_lo
	global_store_dwordx2 v[19:20], v[17:18], off
	global_store_dwordx2 v[9:10], v[26:27], off
	;; [unrolled: 1-line block ×5, first 2 shown]
                                        ; implicit-def: $vgpr6_vgpr7
                                        ; implicit-def: $vgpr4_vgpr5
                                        ; implicit-def: $vgpr9_vgpr10
.LBB28_2:
	s_or_saveexec_b32 s58, s42
	v_mov_b32_e32 v15, 0xa1c00c53
	v_mov_b32_e32 v16, 0x3f8aa218
	;; [unrolled: 1-line block ×5, first 2 shown]
	s_xor_b32 exec_lo, exec_lo, s58
	s_cbranch_execz .LBB28_4
; %bb.3:
	s_mov_b32 s0, 0x322506a6
	s_mov_b32 s2, 0x18342be3
	s_mov_b32 s1, 0xbdb073f4
	s_mov_b32 s3, 0x3cd20993
	s_mov_b32 s4, 0xc265e095
	v_fma_f64 v[11:12], v[2:3], s[2:3], s[0:1]
	s_mov_b32 s0, 0x42daf0fd
	s_mov_b32 s2, 0x78e5c4eb
	s_mov_b32 s1, 0xc009a3e3
	s_mov_b32 s3, 0x408db145
	s_mov_b32 s5, 0x3e765866
	v_fma_f64 v[13:14], v[6:7], s[2:3], s[0:1]
	;; [unrolled: 6-line block ×3, first 2 shown]
	s_mov_b32 s0, 0x6fecf7e5
	s_mov_b32 s2, 0xc08fd91
	;; [unrolled: 1-line block ×9, first 2 shown]
	v_fma_f64 v[11:12], v[2:3], v[11:12], s[4:5]
	s_mov_b32 s4, 0xeed3f77d
	s_mov_b32 s5, 0xbfdc9673
	s_mov_b32 s9, 0x3e928af3
	s_mov_b32 s13, 0x3e5ade15
	s_mov_b32 s16, 0xeebb013
	v_fma_f64 v[13:14], v[4:5], s[0:1], v[13:14]
	s_mov_b32 s0, 0x3bcd35a8
	s_mov_b32 s1, 0xc0d8e06a
	;; [unrolled: 1-line block ×3, first 2 shown]
	v_fma_f64 v[19:20], v[6:7], s[0:1], s[4:5]
	s_mov_b32 s0, 0x5033c5c3
	s_mov_b32 s1, 0xbd6d5f58
	;; [unrolled: 1-line block ×11, first 2 shown]
	v_fma_f64 v[11:12], v[2:3], v[11:12], s[2:3]
	s_mov_b32 s2, 0x3d6bf46
	s_mov_b32 s3, 0x3ce840f1
	v_fma_f64 v[35:36], v[6:7], s[22:23], s[20:21]
	v_fma_f64 v[15:16], v[2:3], v[15:16], s[2:3]
	s_mov_b32 s2, 0x69230ddc
	s_mov_b32 s3, 0x3c91b3c3
	;; [unrolled: 1-line block ×3, first 2 shown]
	v_fma_f64 v[21:22], v[2:3], s[2:3], s[0:1]
	s_mov_b32 s0, 0x15798ee
	s_mov_b32 s2, 0xea91e1b0
	;; [unrolled: 1-line block ×13, first 2 shown]
	v_fma_f64 v[17:18], v[2:3], v[11:12], v[13:14]
	v_fma_f64 v[11:12], v[4:5], s[0:1], v[19:20]
	s_mov_b32 s0, 0xff97247
	s_mov_b32 s1, 0xc0dc8865
	v_fma_f64 v[13:14], v[2:3], v[15:16], s[2:3]
	s_mov_b32 s2, 0xea8ff5b3
	s_mov_b32 s3, 0x3e3e0722
	v_fma_f64 v[15:16], v[6:7], s[0:1], s[4:5]
	v_fma_f64 v[19:20], v[2:3], v[21:22], s[2:3]
	s_mov_b32 s0, 0x7b5e1a3d
	s_mov_b32 s2, 0x73e4c12
	;; [unrolled: 1-line block ×13, first 2 shown]
	v_mul_f64 v[21:22], v[17:18], s[14:15]
	s_mov_b32 s50, 0x7106ba7c
	s_mov_b32 s51, 0x3ccfb83a
	;; [unrolled: 1-line block ×3, first 2 shown]
	v_fma_f64 v[13:14], v[2:3], v[13:14], v[11:12]
	s_mov_b32 s48, 0x8e169ff4
	s_mov_b32 s37, 0xc0f15646
	v_fma_f64 v[11:12], v[4:5], s[0:1], v[15:16]
	v_fma_f64 v[15:16], v[2:3], v[19:20], s[2:3]
	s_mov_b32 s2, 0xaf900c49
	s_mov_b32 s3, 0x3db33164
	;; [unrolled: 1-line block ×5, first 2 shown]
	v_fma_f64 v[23:24], v[2:3], s[18:19], s[0:1]
	s_mov_b32 s0, 0xdd004baa
	s_mov_b32 s18, 0xe2f6b32b
	;; [unrolled: 1-line block ×7, first 2 shown]
	v_rndne_f64_e32 v[29:30], v[21:22]
	s_mov_b32 s45, 0x3f3fd09d
	s_mov_b32 s47, 0x3db7d6d6
	;; [unrolled: 1-line block ×3, first 2 shown]
	v_mul_f64 v[19:20], v[13:14], s[14:15]
	s_mov_b32 s62, 0xdede96a2
	s_mov_b32 s63, 0x3dc32540
	;; [unrolled: 1-line block ×3, first 2 shown]
	v_fma_f64 v[11:12], v[2:3], v[15:16], v[11:12]
	s_mov_b32 s54, 0xa20a06a0
	s_mov_b32 s43, 0xc0e696f3
	;; [unrolled: 1-line block ×5, first 2 shown]
	v_fma_f64 v[23:24], v[2:3], v[23:24], s[24:25]
	s_mov_b32 s24, 0xd7e284d4
	s_mov_b32 s25, 0xbe5d5ca6
	;; [unrolled: 1-line block ×4, first 2 shown]
	v_fma_f64 v[15:16], v[29:30], s[4:5], v[17:18]
	v_cvt_i32_f64_e32 v1, v[29:30]
	v_rndne_f64_e32 v[27:28], v[19:20]
	v_mul_f64 v[19:20], v[11:12], s[14:15]
	v_fma_f64 v[41:42], v[29:30], s[6:7], v[15:16]
	v_fma_f64 v[15:16], v[27:28], s[4:5], v[13:14]
	v_rndne_f64_e32 v[19:20], v[19:20]
	v_fma_f64 v[21:22], v[41:42], s[12:13], s[8:9]
	v_fma_f64 v[45:46], v[27:28], s[6:7], v[15:16]
	;; [unrolled: 1-line block ×3, first 2 shown]
	s_mov_b32 s16, 0x623fde64
	s_mov_b32 s17, 0x3ec71dee
	;; [unrolled: 1-line block ×3, first 2 shown]
	v_fma_f64 v[25:26], v[19:20], s[4:5], v[11:12]
	s_mov_b32 s3, 0x409101d4
	v_fma_f64 v[33:34], v[6:7], s[2:3], s[0:1]
	s_mov_b32 s0, 0x32f575b8
	s_mov_b32 s2, 0x1ecf574d
	s_mov_b32 s1, 0x400a42a3
	s_mov_b32 s3, 0x3f484c85
	v_fma_f64 v[21:22], v[41:42], v[21:22], s[16:17]
	v_fma_f64 v[31:32], v[45:46], s[12:13], s[8:9]
	;; [unrolled: 1-line block ×3, first 2 shown]
	s_mov_b32 s18, 0x7c89e6b0
	s_mov_b32 s19, 0x3efa0199
	v_fma_f64 v[43:44], v[19:20], s[6:7], v[25:26]
	v_fma_f64 v[21:22], v[41:42], v[21:22], s[18:19]
	;; [unrolled: 1-line block ×6, first 2 shown]
	s_mov_b32 s20, 0x14761f6e
	s_mov_b32 s21, 0x3f2a01a0
	;; [unrolled: 1-line block ×4, first 2 shown]
	v_fma_f64 v[35:36], v[2:3], v[23:24], s[22:23]
	v_fma_f64 v[37:38], v[43:44], s[12:13], s[8:9]
	s_mov_b32 s1, 0xbda1c87b
	s_mov_b32 s3, 0x3cce4ce6
	;; [unrolled: 1-line block ×3, first 2 shown]
	v_fma_f64 v[47:48], v[2:3], s[2:3], s[0:1]
	s_mov_b32 s23, 0x3f56c16c
	s_mov_b32 s0, 0xfb2900aa
	;; [unrolled: 1-line block ×4, first 2 shown]
	v_fma_f64 v[39:40], v[41:42], v[21:22], s[20:21]
	s_mov_b32 s3, 0x40dd4d13
	v_fma_f64 v[25:26], v[45:46], v[25:26], s[18:19]
	v_fma_f64 v[23:24], v[2:3], v[15:16], v[31:32]
	;; [unrolled: 1-line block ×5, first 2 shown]
	s_mov_b32 s0, 0xdac6e07a
	s_mov_b32 s2, 0xf9364039
	v_fma_f64 v[35:36], v[2:3], v[47:48], s[24:25]
	s_mov_b32 s24, 0x11122322
	s_mov_b32 s25, 0x3f811111
	;; [unrolled: 1-line block ×4, first 2 shown]
	v_fma_f64 v[31:32], v[41:42], v[39:40], s[22:23]
	v_fma_f64 v[25:26], v[45:46], v[25:26], s[20:21]
	v_mul_f64 v[37:38], v[23:24], s[14:15]
	v_mul_f64 v[39:40], v[21:22], s[14:15]
	v_fma_f64 v[15:16], v[43:44], v[15:16], s[18:19]
	v_fma_f64 v[49:50], v[4:5], s[0:1], v[33:34]
	s_mov_b32 s0, 0x17557031
	s_mov_b32 s1, 0x3da4ef95
	v_fma_f64 v[35:36], v[2:3], v[35:36], s[2:3]
	s_mov_b32 s2, 0x1f4bb474
	s_mov_b32 s3, 0xbcc37067
	v_fma_f64 v[47:48], v[41:42], v[31:32], s[24:25]
	v_fma_f64 v[25:26], v[45:46], v[25:26], s[22:23]
	v_rndne_f64_e32 v[31:32], v[37:38]
	v_rndne_f64_e32 v[33:34], v[39:40]
	v_fma_f64 v[15:16], v[43:44], v[15:16], s[20:21]
	v_fma_f64 v[37:38], v[41:42], v[47:48], s[26:27]
	;; [unrolled: 1-line block ×3, first 2 shown]
	s_mov_b32 s0, 0xa2d22780
	s_mov_b32 s2, 0x62c343b7
	v_fma_f64 v[39:40], v[45:46], v[25:26], s[24:25]
	v_fma_f64 v[25:26], v[2:3], v[35:36], v[49:50]
	;; [unrolled: 1-line block ×3, first 2 shown]
	s_mov_b32 s1, 0x400e47e3
	s_mov_b32 s3, 0xc05bf6d4
	v_fma_f64 v[55:56], v[6:7], s[2:3], s[0:1]
	s_mov_b32 s0, 0xbbf289f6
	v_fma_f64 v[49:50], v[33:34], s[4:5], v[21:22]
	v_fma_f64 v[15:16], v[43:44], v[15:16], s[22:23]
	s_mov_b32 s2, 0x4801d1dd
	s_mov_b32 s1, 0x4010119f
	;; [unrolled: 1-line block ×3, first 2 shown]
	v_fma_f64 v[51:52], v[41:42], v[37:38], s[28:29]
	v_fma_f64 v[47:48], v[2:3], v[47:48], s[30:31]
	s_mov_b32 s30, 11
	s_mov_b32 s31, 0x3fe00000
	v_fma_f64 v[53:54], v[45:46], v[39:40], s[26:27]
	v_mul_f64 v[57:58], v[25:26], s[14:15]
	v_fma_f64 v[39:40], v[31:32], s[6:7], v[35:36]
	v_fma_f64 v[37:38], v[33:34], s[6:7], v[49:50]
	;; [unrolled: 1-line block ×5, first 2 shown]
	s_mov_b32 s2, 0xab01922f
	s_mov_b32 s3, 0xbcd9eeb6
	v_fma_f64 v[51:52], v[45:46], v[53:54], s[28:29]
	v_fma_f64 v[53:54], v[4:5], s[0:1], v[55:56]
	;; [unrolled: 1-line block ×3, first 2 shown]
	v_rndne_f64_e32 v[35:36], v[57:58]
	s_mov_b32 s0, 0xb64fe36e
	s_mov_b32 s1, 0x3dc10150
	v_fma_f64 v[57:58], v[37:38], s[12:13], s[8:9]
	v_fma_f64 v[59:60], v[43:44], v[15:16], s[26:27]
	v_fma_f64 v[61:62], v[41:42], v[49:50], 1.0
	v_add_co_u32 v49, vcc_lo, s10, v9
	v_add_co_ci_u32_e64 v50, null, s11, v10, vcc_lo
	v_fma_f64 v[9:10], v[2:3], s[2:3], s[0:1]
	v_fma_f64 v[51:52], v[45:46], v[51:52], s[30:31]
	;; [unrolled: 1-line block ×5, first 2 shown]
	s_mov_b32 s0, 0xec074fab
	s_mov_b32 s2, 0x69ad42c4
	v_fma_f64 v[55:56], v[37:38], v[57:58], s[16:17]
	v_fma_f64 v[57:58], v[43:44], v[59:60], s[28:29]
	s_mov_b32 s1, 0x40075449
	s_mov_b32 s3, 0x40d17172
	v_cmp_nlt_f64_e32 vcc_lo, 0x40900000, v[17:18]
	v_fma_f64 v[59:60], v[41:42], v[61:62], 1.0
	v_fma_f64 v[61:62], v[6:7], s[2:3], s[0:1]
	s_mov_b32 s0, 0xa9f4bbd8
	s_mov_b32 s1, 0xbda7f2e4
	;; [unrolled: 1-line block ×3, first 2 shown]
	v_fma_f64 v[63:64], v[2:3], v[9:10], s[34:35]
	v_fma_f64 v[51:52], v[45:46], v[51:52], 1.0
	v_cvt_i32_f64_e32 v10, v[19:20]
	v_fma_f64 v[29:30], v[39:40], v[53:54], s[18:19]
	v_fma_f64 v[41:42], v[35:36], s[6:7], v[47:48]
	s_mov_b32 s34, 0x98310ec1
	s_mov_b32 s35, 0x4015f09e
	v_fma_f64 v[47:48], v[37:38], v[55:56], s[18:19]
	v_fma_f64 v[53:54], v[43:44], v[57:58], s[30:31]
	v_mov_b32_e32 v9, 0
	s_mov_b32 s3, 0x40070718
	v_ldexp_f64 v[59:60], v[59:60], v1
	v_fma_f64 v[55:56], v[4:5], s[38:39], v[61:62]
	v_cvt_i32_f64_e32 v1, v[27:28]
	v_fma_f64 v[27:28], v[2:3], s[50:51], s[0:1]
	v_cmp_ngt_f64_e64 s0, 0xc090cc00, v[17:18]
	v_fma_f64 v[57:58], v[2:3], v[63:64], s[40:41]
	v_fma_f64 v[45:46], v[45:46], v[51:52], 1.0
	v_mul_f64 v[51:52], v[15:16], s[14:15]
	v_fma_f64 v[63:64], v[39:40], v[29:30], s[20:21]
	v_fma_f64 v[61:62], v[41:42], s[12:13], s[8:9]
	;; [unrolled: 1-line block ×3, first 2 shown]
	s_mov_b32 s34, 0x79c0fa21
	v_fma_f64 v[65:66], v[37:38], v[47:48], s[20:21]
	v_fma_f64 v[53:54], v[43:44], v[53:54], 1.0
	s_mov_b32 s35, 0xbcde9953
	s_mov_b32 s40, 0x47dc6297
	;; [unrolled: 1-line block ×8, first 2 shown]
	v_cndmask_b32_e32 v60, 0x7ff00000, v60, vcc_lo
	s_mov_b32 s37, 0xbeb007bd
	v_fma_f64 v[27:28], v[2:3], v[27:28], s[48:49]
	s_and_b32 vcc_lo, s0, vcc_lo
	v_fma_f64 v[29:30], v[2:3], v[57:58], v[55:56]
	v_ldexp_f64 v[45:46], v[45:46], v1
	v_rndne_f64_e32 v[47:48], v[51:52]
	v_fma_f64 v[51:52], v[39:40], v[63:64], s[22:23]
	v_fma_f64 v[19:20], v[41:42], v[61:62], s[16:17]
	v_cndmask_b32_e64 v60, 0, v60, s0
	v_cndmask_b32_e32 v59, 0, v59, vcc_lo
	v_fma_f64 v[55:56], v[37:38], v[65:66], s[22:23]
	v_fma_f64 v[43:44], v[43:44], v[53:54], 1.0
	v_cmp_nlt_f64_e32 vcc_lo, 0x40900000, v[13:14]
	v_cmp_ngt_f64_e64 s0, 0xc090cc00, v[13:14]
	v_lshlrev_b64 v[13:14], 3, v[8:9]
	global_store_dwordx2 v[49:50], v[59:60], off
	v_fma_f64 v[59:60], v[2:3], s[60:61], s[46:47]
	v_fma_f64 v[63:64], v[4:5], s[2:3], v[17:18]
	;; [unrolled: 1-line block ×3, first 2 shown]
	v_add_nc_u32_e32 v8, s33, v8
	v_add_co_u32 v13, s1, s10, v13
	v_add_co_ci_u32_e64 v14, null, s11, v14, s1
	v_cmp_nlt_f64_e64 s1, 0x40900000, v[11:12]
	v_mul_f64 v[53:54], v[29:30], s[14:15]
	v_fma_f64 v[27:28], v[2:3], v[27:28], s[44:45]
	v_fma_f64 v[57:58], v[47:48], s[4:5], v[15:16]
	v_fma_f64 v[51:52], v[39:40], v[51:52], s[24:25]
	v_fma_f64 v[19:20], v[41:42], v[19:20], s[18:19]
	v_cmp_ngt_f64_e64 s2, 0xc090cc00, v[11:12]
	s_mov_b32 s34, 0x91aeeb3c
	v_fma_f64 v[55:56], v[37:38], v[55:56], s[24:25]
	v_ldexp_f64 v[43:44], v[43:44], v10
	v_cndmask_b32_e32 v1, 0x7ff00000, v46, vcc_lo
	s_and_b32 vcc_lo, s0, vcc_lo
	s_mov_b32 s35, 0xbe9680c0
	v_cndmask_b32_e32 v10, 0, v45, vcc_lo
	v_cndmask_b32_e64 v11, 0, v1, s0
	v_cvt_i32_f64_e32 v1, v[31:32]
	global_store_dwordx2 v[13:14], v[10:11], off
	v_fma_f64 v[10:11], v[6:7], s[42:43], s[40:41]
	v_fma_f64 v[12:13], v[2:3], v[59:60], s[54:55]
	v_rndne_f64_e32 v[17:18], v[53:54]
	v_fma_f64 v[59:60], v[2:3], v[61:62], s[34:35]
	v_fma_f64 v[49:50], v[47:48], s[6:7], v[57:58]
	v_fma_f64 v[51:52], v[39:40], v[51:52], s[26:27]
	v_fma_f64 v[53:54], v[41:42], v[19:20], s[20:21]
	v_lshlrev_b64 v[19:20], 3, v[8:9]
	v_fma_f64 v[57:58], v[6:7], s[56:57], s[52:53]
	v_fma_f64 v[55:56], v[37:38], v[55:56], s[26:27]
	v_cndmask_b32_e64 v46, 0x7ff00000, v44, s1
	v_add_nc_u32_e32 v8, s33, v8
	s_mov_b32 s34, 0xaa025534
	v_add_co_u32 v44, vcc_lo, s10, v19
	v_add_co_ci_u32_e64 v45, null, s11, v20, vcc_lo
	v_fma_f64 v[19:20], v[2:3], v[27:28], v[63:64]
	s_and_b32 vcc_lo, s2, s1
	v_cndmask_b32_e64 v62, 0, v46, s2
	v_cndmask_b32_e32 v61, 0, v43, vcc_lo
	s_mov_b32 s0, 0x3d389aa6
	v_fma_f64 v[10:11], v[4:5], s[38:39], v[10:11]
	v_fma_f64 v[12:13], v[2:3], v[12:13], s[50:51]
	;; [unrolled: 1-line block ×3, first 2 shown]
	global_store_dwordx2 v[44:45], v[61:62], off
	v_fma_f64 v[27:28], v[49:50], s[12:13], s[8:9]
	v_fma_f64 v[51:52], v[39:40], v[51:52], s[28:29]
	v_lshlrev_b64 v[43:44], 3, v[8:9]
	v_fma_f64 v[53:54], v[41:42], v[53:54], s[22:23]
	s_mov_b32 s2, 0xfbc69f5e
	v_fma_f64 v[55:56], v[37:38], v[55:56], s[28:29]
	s_mov_b32 s1, 0x40025618
	s_mov_b32 s3, 0x3f63120c
	v_add_co_u32 v61, vcc_lo, s10, v43
	v_add_co_ci_u32_e64 v62, null, s11, v44, vcc_lo
	v_fma_f64 v[57:58], v[4:5], s[0:1], v[57:58]
	v_mul_f64 v[65:66], v[19:20], s[14:15]
	v_fma_f64 v[59:60], v[2:3], v[59:60], s[2:3]
	s_mov_b32 s0, 0x6d5abd31
	s_mov_b32 s2, 0x68687bec
	;; [unrolled: 1-line block ×5, first 2 shown]
	v_fma_f64 v[43:44], v[17:18], s[6:7], v[63:64]
	v_cvt_i32_f64_e32 v14, v[33:34]
	v_fma_f64 v[45:46], v[49:50], v[27:28], s[16:17]
	v_fma_f64 v[51:52], v[39:40], v[51:52], s[30:31]
	;; [unrolled: 1-line block ×6, first 2 shown]
	s_mov_b32 s0, 0xf83b907a
	s_mov_b32 s2, 0x652bd3c3
	;; [unrolled: 1-line block ×4, first 2 shown]
	v_cmp_nlt_f64_e32 vcc_lo, 0x40900000, v[23:24]
	v_fma_f64 v[31:32], v[6:7], s[2:3], s[0:1]
	s_mov_b32 s0, 0x5f3a4d2e
	s_mov_b32 s2, 0xf45c2785
	v_fma_f64 v[12:13], v[2:3], v[59:60], v[57:58]
	s_mov_b32 s1, 0x40024926
	s_mov_b32 s3, 0x3f6da795
	v_add_nc_u32_e32 v8, s33, v8
	v_fma_f64 v[57:58], v[43:44], s[12:13], s[8:9]
	v_fma_f64 v[63:64], v[49:50], v[45:46], s[18:19]
	v_fma_f64 v[51:52], v[39:40], v[51:52], 1.0
	v_rndne_f64_e32 v[45:46], v[65:66]
	v_fma_f64 v[53:54], v[41:42], v[53:54], s[26:27]
	v_fma_f64 v[10:11], v[2:3], v[10:11], s[34:35]
	v_fma_f64 v[55:56], v[37:38], v[55:56], 1.0
	s_mov_b32 s34, 0x97ad9a01
	s_mov_b32 s35, 0xbcf6ed3f
	v_fma_f64 v[31:32], v[4:5], s[0:1], v[31:32]
	v_cmp_ngt_f64_e64 s0, 0xc090cc00, v[23:24]
	v_cmp_nlt_f64_e64 s1, 0x40900000, v[21:22]
	v_mul_f64 v[23:24], v[12:13], s[14:15]
	v_fma_f64 v[57:58], v[43:44], v[57:58], s[16:17]
	v_fma_f64 v[33:34], v[49:50], v[63:64], s[20:21]
	v_fma_f64 v[39:40], v[39:40], v[51:52], 1.0
	v_mul_f64 v[51:52], v[27:28], s[14:15]
	v_fma_f64 v[59:60], v[45:46], s[4:5], v[19:20]
	v_fma_f64 v[53:54], v[41:42], v[53:54], s[28:29]
	v_fma_f64 v[55:56], v[37:38], v[55:56], 1.0
	v_fma_f64 v[10:11], v[2:3], v[10:11], s[2:3]
	v_cmp_ngt_f64_e64 s2, 0xc090cc00, v[21:22]
	v_fma_f64 v[63:64], v[49:50], v[33:34], s[22:23]
	v_rndne_f64_e32 v[37:38], v[51:52]
	v_fma_f64 v[33:34], v[45:46], s[6:7], v[59:60]
	v_fma_f64 v[51:52], v[43:44], v[57:58], s[18:19]
	v_fma_f64 v[53:54], v[41:42], v[53:54], s[30:31]
	v_fma_f64 v[10:11], v[2:3], v[10:11], v[31:32]
	v_ldexp_f64 v[59:60], v[39:40], v1
	v_ldexp_f64 v[55:56], v[55:56], v14
	v_fma_f64 v[31:32], v[49:50], v[63:64], s[24:25]
	v_fma_f64 v[57:58], v[37:38], s[4:5], v[27:28]
	;; [unrolled: 1-line block ×4, first 2 shown]
	v_fma_f64 v[53:54], v[41:42], v[53:54], 1.0
	v_cndmask_b32_e32 v1, 0x7ff00000, v60, vcc_lo
	v_cndmask_b32_e64 v14, 0x7ff00000, v56, s1
	s_and_b32 vcc_lo, s0, vcc_lo
	v_fma_f64 v[31:32], v[49:50], v[31:32], s[26:27]
	v_fma_f64 v[39:40], v[37:38], s[6:7], v[57:58]
	;; [unrolled: 1-line block ×4, first 2 shown]
	v_fma_f64 v[41:42], v[41:42], v[53:54], 1.0
	v_lshlrev_b64 v[63:64], 3, v[8:9]
	v_add_nc_u32_e32 v8, s33, v8
	v_fma_f64 v[53:54], v[49:50], v[31:32], s[28:29]
	v_rndne_f64_e32 v[31:32], v[23:24]
	v_fma_f64 v[21:22], v[39:40], s[12:13], s[8:9]
	v_fma_f64 v[56:57], v[33:34], v[57:58], s[18:19]
	;; [unrolled: 1-line block ×3, first 2 shown]
	v_cvt_i32_f64_e32 v58, v[35:36]
	v_fma_f64 v[23:24], v[49:50], v[53:54], s[30:31]
	v_cndmask_b32_e64 v54, 0, v1, s0
	v_fma_f64 v[21:22], v[39:40], v[21:22], s[16:17]
	v_fma_f64 v[35:36], v[33:34], v[56:57], s[20:21]
	;; [unrolled: 1-line block ×4, first 2 shown]
	v_cndmask_b32_e32 v53, 0, v59, vcc_lo
	v_cndmask_b32_e64 v59, 0, v14, s2
	s_and_b32 vcc_lo, s2, s1
	s_mov_b32 s2, 0x62f32c9a
	s_mov_b32 s3, 0x3ddc034f
	v_ldexp_f64 v[41:42], v[41:42], v58
	v_cndmask_b32_e32 v58, 0, v55, vcc_lo
	global_store_dwordx2 v[61:62], v[53:54], off
	v_add_co_u32 v53, vcc_lo, s10, v63
	v_fma_f64 v[62:63], v[2:3], s[34:35], s[2:3]
	v_add_co_ci_u32_e64 v54, null, s11, v64, vcc_lo
	v_cmp_nlt_f64_e32 vcc_lo, 0x40900000, v[25:26]
	v_cmp_ngt_f64_e64 s0, 0xc090cc00, v[25:26]
	s_mov_b32 s2, 0x128bf3bf
	v_fma_f64 v[23:24], v[49:50], v[23:24], 1.0
	s_mov_b32 s34, 0x1b866e44
	v_fma_f64 v[21:22], v[39:40], v[21:22], s[18:19]
	v_fma_f64 v[60:61], v[33:34], v[35:36], s[22:23]
	;; [unrolled: 1-line block ×3, first 2 shown]
	v_mul_f64 v[55:56], v[10:11], s[14:15]
	v_fma_f64 v[51:52], v[43:44], v[51:52], s[28:29]
	s_mov_b32 s3, 0x40326ff4
	s_mov_b32 s35, 0x40c27e2c
	global_store_dwordx2 v[53:54], v[58:59], off
	v_cvt_i32_f64_e32 v14, v[47:48]
	v_cndmask_b32_e32 v1, 0x7ff00000, v42, vcc_lo
	s_and_b32 vcc_lo, s0, vcc_lo
	v_fma_f64 v[23:24], v[49:50], v[23:24], 1.0
	v_cndmask_b32_e32 v41, 0, v41, vcc_lo
	v_fma_f64 v[21:22], v[39:40], v[21:22], s[20:21]
	v_fma_f64 v[49:50], v[33:34], v[60:61], s[24:25]
	;; [unrolled: 1-line block ×3, first 2 shown]
	v_rndne_f64_e32 v[25:26], v[55:56]
	v_fma_f64 v[55:56], v[6:7], s[34:35], s[2:3]
	s_mov_b32 s2, 0x3029e0e7
	s_mov_b32 s34, 0xef78f170
	;; [unrolled: 1-line block ×4, first 2 shown]
	v_fma_f64 v[47:48], v[43:44], v[51:52], s[30:31]
	v_fma_f64 v[53:54], v[2:3], s[34:35], s[2:3]
	;; [unrolled: 1-line block ×3, first 2 shown]
	v_cndmask_b32_e64 v42, 0, v1, s0
	s_mov_b32 s0, 0xb314eac9
	s_mov_b32 s2, 0x711ca116
	;; [unrolled: 1-line block ×6, first 2 shown]
	v_lshlrev_b64 v[63:64], 3, v[8:9]
	v_cvt_i32_f64_e32 v1, v[17:18]
	v_ldexp_f64 v[23:24], v[23:24], v14
	v_fma_f64 v[21:22], v[39:40], v[21:22], s[22:23]
	v_fma_f64 v[49:50], v[33:34], v[49:50], s[26:27]
	;; [unrolled: 1-line block ×3, first 2 shown]
	s_mov_b32 s2, 0xaacd9e84
	v_fma_f64 v[55:56], v[4:5], s[0:1], v[55:56]
	s_mov_b32 s0, 0x12dc25b0
	s_mov_b32 s1, 0x401f4656
	;; [unrolled: 1-line block ×3, first 2 shown]
	v_fma_f64 v[57:58], v[25:26], s[4:5], v[10:11]
	v_fma_f64 v[61:62], v[6:7], s[2:3], s[0:1]
	;; [unrolled: 1-line block ×3, first 2 shown]
	v_fma_f64 v[47:48], v[43:44], v[47:48], 1.0
	v_fma_f64 v[51:52], v[35:36], v[51:52], s[16:17]
	s_mov_b32 s0, 0x3bac2892
	s_mov_b32 s2, 0xfcdc62d9
	;; [unrolled: 1-line block ×4, first 2 shown]
	v_add_nc_u32_e32 v8, s33, v8
	s_mov_b32 s36, 0xdbd7ce26
	s_mov_b32 s37, 0xbe98c5b3
	s_mov_b32 s34, 0x4fdf3b64
	s_mov_b32 s35, 0x40e7cee5
	v_fma_f64 v[21:22], v[39:40], v[21:22], s[24:25]
	v_fma_f64 v[49:50], v[33:34], v[49:50], s[28:29]
	;; [unrolled: 1-line block ×5, first 2 shown]
	s_mov_b32 s0, 0xcf280ec0
	s_mov_b32 s2, 0x854e86a3
	v_fma_f64 v[47:48], v[43:44], v[47:48], 1.0
	v_fma_f64 v[43:44], v[25:26], s[6:7], v[57:58]
	v_add_co_u32 v57, vcc_lo, s10, v63
	s_mov_b32 s1, 0x3dc7fb8e
	s_mov_b32 s3, 0xbce542c2
	v_add_co_ci_u32_e64 v58, null, s11, v64, vcc_lo
	v_cmp_nlt_f64_e32 vcc_lo, 0x40900000, v[15:16]
	v_fma_f64 v[59:60], v[2:3], s[2:3], s[0:1]
	v_cmp_ngt_f64_e64 s0, 0xc090cc00, v[15:16]
	v_fma_f64 v[51:52], v[35:36], v[51:52], s[18:19]
	v_lshlrev_b64 v[14:15], 3, v[8:9]
	global_store_dwordx2 v[57:58], v[41:42], off
	v_fma_f64 v[41:42], v[33:34], v[49:50], s[30:31]
	v_fma_f64 v[49:50], v[39:40], v[21:22], s[26:27]
	s_mov_b32 s2, 0x9340641e
	s_mov_b32 s3, 0x40022c50
	v_mul_f64 v[61:62], v[17:18], s[14:15]
	v_fma_f64 v[21:22], v[2:3], v[53:54], v[55:56]
	v_fma_f64 v[53:54], v[6:7], s[34:35], s[2:3]
	s_mov_b32 s2, 0x23f95973
	v_ldexp_f64 v[47:48], v[47:48], v1
	v_fma_f64 v[57:58], v[43:44], s[12:13], s[8:9]
	s_mov_b32 s34, 0x7e62db66
	s_mov_b32 s3, 0x400edc14
	;; [unrolled: 1-line block ×3, first 2 shown]
	v_add_nc_u32_e32 v8, s33, v8
	v_cndmask_b32_e32 v24, 0x7ff00000, v24, vcc_lo
	v_fma_f64 v[55:56], v[2:3], v[59:60], s[36:37]
	s_and_b32 vcc_lo, s0, vcc_lo
	v_fma_f64 v[51:52], v[35:36], v[51:52], s[20:21]
	v_cndmask_b32_e32 v59, 0, v23, vcc_lo
	v_add_co_u32 v14, vcc_lo, s10, v14
	v_add_co_ci_u32_e64 v15, null, s11, v15, vcc_lo
	v_cmp_nlt_f64_e32 vcc_lo, 0x40900000, v[29:30]
	v_cndmask_b32_e64 v60, 0, v24, s0
	v_cmp_ngt_f64_e64 s0, 0xc090cc00, v[29:30]
	v_fma_f64 v[29:30], v[39:40], v[49:50], s[28:29]
	v_fma_f64 v[23:24], v[33:34], v[41:42], 1.0
	v_rndne_f64_e32 v[41:42], v[61:62]
	v_lshlrev_b64 v[63:64], 3, v[8:9]
	v_add_nc_u32_e32 v8, s33, v8
	s_mov_b32 s36, 0x10bb4ee8
	s_mov_b32 s37, 0xbe9db60e
	v_cndmask_b32_e32 v1, 0x7ff00000, v48, vcc_lo
	v_fma_f64 v[48:49], v[35:36], v[51:52], s[22:23]
	v_fma_f64 v[52:53], v[4:5], s[2:3], v[53:54]
	;; [unrolled: 1-line block ×4, first 2 shown]
	v_mul_f64 v[57:58], v[21:22], s[14:15]
	v_cndmask_b32_e64 v62, 0, v1, s0
	v_cvt_i32_f64_e32 v1, v[45:46]
	v_fma_f64 v[29:30], v[39:40], v[29:30], s[30:31]
	s_and_b32 vcc_lo, s0, vcc_lo
	s_mov_b32 s0, 0x2cb996d4
	s_mov_b32 s2, 0xc9942ee8
	s_mov_b32 s1, 0x3dcafdc3
	s_mov_b32 s3, 0xbce806ef
	v_fma_f64 v[65:66], v[33:34], v[23:24], 1.0
	v_cndmask_b32_e32 v61, 0, v47, vcc_lo
	s_mov_b32 s34, 0x9a9876e7
	s_mov_b32 s35, 0xbe9bc9c5
	v_fma_f64 v[45:46], v[35:36], v[48:49], s[24:25]
	v_fma_f64 v[23:24], v[2:3], v[54:55], v[52:53]
	;; [unrolled: 1-line block ×3, first 2 shown]
	s_mov_b32 s0, 0xc0090e8f
	s_mov_b32 s2, 0xb400a419
	v_fma_f64 v[47:48], v[43:44], v[50:51], s[18:19]
	v_fma_f64 v[49:50], v[41:42], s[4:5], v[17:18]
	s_mov_b32 s1, 0x3dd70da9
	s_mov_b32 s3, 0xbcf3e714
	v_rndne_f64_e32 v[33:34], v[57:58]
	v_fma_f64 v[55:56], v[2:3], s[2:3], s[0:1]
	v_fma_f64 v[29:30], v[39:40], v[29:30], 1.0
	v_add_co_u32 v51, vcc_lo, s10, v63
	v_add_co_ci_u32_e64 v52, null, s11, v64, vcc_lo
	s_mov_b32 s0, 0xaa54a7cd
	s_mov_b32 s2, 0x17c1bda5
	;; [unrolled: 1-line block ×4, first 2 shown]
	global_store_dwordx2 v[14:15], v[59:60], off
	global_store_dwordx2 v[51:52], v[61:62], off
	v_fma_f64 v[45:46], v[35:36], v[45:46], s[26:27]
	v_fma_f64 v[59:60], v[6:7], s[2:3], s[0:1]
	v_mul_f64 v[57:58], v[23:24], s[14:15]
	v_fma_f64 v[53:54], v[2:3], v[53:54], s[34:35]
	s_mov_b32 s0, 0x917939a8
	s_mov_b32 s2, 0x88ce703b
	;; [unrolled: 1-line block ×3, first 2 shown]
	v_fma_f64 v[47:48], v[43:44], v[47:48], s[20:21]
	v_fma_f64 v[51:52], v[41:42], s[6:7], v[49:50]
	s_mov_b32 s1, 0x402b5009
	s_mov_b32 s3, 0x40cb55ea
	;; [unrolled: 1-line block ×3, first 2 shown]
	v_fma_f64 v[49:50], v[33:34], s[4:5], v[21:22]
	v_fma_f64 v[61:62], v[6:7], s[2:3], s[0:1]
	;; [unrolled: 1-line block ×3, first 2 shown]
	v_fma_f64 v[29:30], v[39:40], v[29:30], 1.0
	s_mov_b32 s0, 0xc2e745ca
	s_mov_b32 s2, 0x8babc438
	;; [unrolled: 1-line block ×4, first 2 shown]
	v_ldexp_f64 v[14:15], v[65:66], v1
	v_cvt_i32_f64_e32 v1, v[37:38]
	v_fma_f64 v[39:40], v[35:36], v[45:46], s[28:29]
	v_cmp_nlt_f64_e32 vcc_lo, 0x40900000, v[19:20]
	v_rndne_f64_e32 v[37:38], v[57:58]
	v_fma_f64 v[57:58], v[4:5], s[0:1], v[59:60]
	v_fma_f64 v[53:54], v[2:3], v[53:54], s[2:3]
	s_mov_b32 s0, 0x5c7fddb1
	s_mov_b32 s2, 0x35291c21
	v_fma_f64 v[45:46], v[43:44], v[47:48], s[22:23]
	v_fma_f64 v[47:48], v[51:52], s[12:13], s[8:9]
	s_mov_b32 s1, 0x3ffc2bc9
	s_mov_b32 s3, 0x3f72d773
	;; [unrolled: 1-line block ×3, first 2 shown]
	v_fma_f64 v[49:50], v[33:34], s[6:7], v[49:50]
	v_fma_f64 v[59:60], v[4:5], s[0:1], v[61:62]
	;; [unrolled: 1-line block ×3, first 2 shown]
	v_cmp_ngt_f64_e64 s0, 0xc090cc00, v[19:20]
	s_mov_b32 s2, 0x5faa9762
	s_mov_b32 s3, 0xbcd3075c
	;; [unrolled: 1-line block ×3, first 2 shown]
	v_fma_f64 v[39:40], v[35:36], v[39:40], s[30:31]
	v_cndmask_b32_e32 v63, 0x7ff00000, v15, vcc_lo
	v_ldexp_f64 v[15:16], v[29:30], v1
	v_fma_f64 v[29:30], v[2:3], v[53:54], v[57:58]
	v_fma_f64 v[53:54], v[37:38], s[4:5], v[23:24]
	;; [unrolled: 1-line block ×6, first 2 shown]
	s_and_b32 vcc_lo, s0, vcc_lo
	v_cndmask_b32_e64 v56, 0, v63, s0
	v_cndmask_b32_e32 v55, 0, v14, vcc_lo
	v_cmp_nlt_f64_e32 vcc_lo, 0x40900000, v[27:28]
	v_cmp_ngt_f64_e64 s0, 0xc090cc00, v[27:28]
	v_cvt_i32_f64_e32 v14, v[31:32]
	v_fma_f64 v[39:40], v[35:36], v[39:40], 1.0
	v_fma_f64 v[27:28], v[37:38], s[6:7], v[53:54]
	v_mul_f64 v[53:54], v[29:30], s[14:15]
	v_fma_f64 v[45:46], v[43:44], v[45:46], s[26:27]
	v_fma_f64 v[47:48], v[51:52], v[47:48], s[18:19]
	v_fma_f64 v[57:58], v[49:50], v[61:62], s[16:17]
	v_mul_f64 v[59:60], v[19:20], s[14:15]
	v_cndmask_b32_e32 v1, 0x7ff00000, v16, vcc_lo
	s_and_b32 vcc_lo, s0, vcc_lo
	v_cndmask_b32_e32 v15, 0, v15, vcc_lo
	v_fma_f64 v[39:40], v[35:36], v[39:40], 1.0
	v_lshlrev_b64 v[35:36], 3, v[8:9]
	v_add_nc_u32_e32 v8, s33, v8
	v_cndmask_b32_e64 v16, 0, v1, s0
	v_fma_f64 v[63:64], v[27:28], s[12:13], s[8:9]
	v_add_co_u32 v61, s1, s10, v35
	v_add_co_ci_u32_e64 v62, null, s11, v36, s1
	v_fma_f64 v[47:48], v[51:52], v[47:48], s[20:21]
	v_rndne_f64_e32 v[35:36], v[53:54]
	v_fma_f64 v[45:46], v[43:44], v[45:46], s[28:29]
	v_fma_f64 v[57:58], v[49:50], v[57:58], s[18:19]
	v_rndne_f64_e32 v[31:32], v[59:60]
	v_lshlrev_b64 v[53:54], 3, v[8:9]
	s_mov_b32 s0, 0xdd3f9809
	s_mov_b32 s1, 0x3dc21213
	global_store_dwordx2 v[61:62], v[55:56], off
	v_add_nc_u32_e32 v8, s33, v8
	v_add_co_u32 v53, vcc_lo, s10, v53
	v_add_co_ci_u32_e64 v54, null, s11, v54, vcc_lo
	v_ldexp_f64 v[39:40], v[39:40], v14
	v_cmp_nlt_f64_e32 vcc_lo, 0x40900000, v[12:13]
	global_store_dwordx2 v[53:54], v[15:16], off
	v_fma_f64 v[14:15], v[2:3], s[2:3], s[0:1]
	v_cmp_ngt_f64_e64 s0, 0xc090cc00, v[12:13]
	s_mov_b32 s2, 0x4816f00
	v_fma_f64 v[47:48], v[51:52], v[47:48], s[22:23]
	v_fma_f64 v[59:60], v[35:36], s[4:5], v[29:30]
	;; [unrolled: 1-line block ×6, first 2 shown]
	s_mov_b32 s3, 0x40076fc5
	v_cndmask_b32_e32 v1, 0x7ff00000, v40, vcc_lo
	v_fma_f64 v[14:15], v[2:3], v[14:15], s[36:37]
	s_and_b32 vcc_lo, s0, vcc_lo
	v_cndmask_b32_e64 v40, 0, v1, s0
	v_fma_f64 v[53:54], v[51:52], v[47:48], s[24:25]
	v_fma_f64 v[47:48], v[35:36], s[6:7], v[59:60]
	;; [unrolled: 1-line block ×3, first 2 shown]
	v_fma_f64 v[12:13], v[43:44], v[45:46], 1.0
	v_fma_f64 v[55:56], v[49:50], v[55:56], s[22:23]
	v_fma_f64 v[57:58], v[27:28], v[57:58], s[18:19]
	;; [unrolled: 1-line block ×3, first 2 shown]
	s_mov_b32 s0, 0xaa8650e7
	s_mov_b32 s2, 0x717c07fd
	;; [unrolled: 1-line block ×4, first 2 shown]
	v_cvt_i32_f64_e32 v1, v[25:26]
	v_lshlrev_b64 v[61:62], 3, v[8:9]
	v_cndmask_b32_e32 v39, 0, v39, vcc_lo
	s_mov_b32 s34, 0xf2e48e8a
	s_mov_b32 s36, 0xa8ef5fe7
	;; [unrolled: 1-line block ×4, first 2 shown]
	v_add_nc_u32_e32 v8, s33, v8
	v_fma_f64 v[14:15], v[2:3], v[14:15], s[2:3]
	s_mov_b32 s2, 0x2ab960e9
	s_mov_b32 s3, 0xbce044c2
	v_fma_f64 v[25:26], v[51:52], v[53:54], s[26:27]
	v_lshlrev_b64 v[63:64], 3, v[8:9]
	v_fma_f64 v[59:60], v[4:5], s[0:1], v[59:60]
	v_fma_f64 v[12:13], v[43:44], v[12:13], 1.0
	v_fma_f64 v[43:44], v[49:50], v[55:56], s[24:25]
	v_fma_f64 v[53:54], v[27:28], v[57:58], s[20:21]
	v_fma_f64 v[55:56], v[47:48], s[12:13], s[8:9]
	v_fma_f64 v[57:58], v[45:46], s[12:13], s[8:9]
	s_mov_b32 s0, 0x301a0c52
	s_mov_b32 s1, 0x3dc569de
	v_add_nc_u32_e32 v8, s33, v8
	v_fma_f64 v[25:26], v[51:52], v[25:26], s[28:29]
	v_fma_f64 v[14:15], v[2:3], v[14:15], v[59:60]
	v_add_co_u32 v59, vcc_lo, s10, v61
	v_fma_f64 v[43:44], v[49:50], v[43:44], s[26:27]
	v_fma_f64 v[53:54], v[27:28], v[53:54], s[22:23]
	;; [unrolled: 1-line block ×4, first 2 shown]
	v_add_co_ci_u32_e64 v60, null, s11, v62, vcc_lo
	v_fma_f64 v[61:62], v[2:3], s[2:3], s[0:1]
	s_mov_b32 s2, 0x599d553b
	s_mov_b32 s3, 0xbff3af3b
	global_store_dwordx2 v[59:60], v[39:40], off
	v_cmp_nlt_f64_e32 vcc_lo, 0x40900000, v[10:11]
	v_cmp_ngt_f64_e64 s0, 0xc090cc00, v[10:11]
	v_ldexp_f64 v[12:13], v[12:13], v1
	v_fma_f64 v[10:11], v[51:52], v[25:26], s[30:31]
	v_fma_f64 v[25:26], v[49:50], v[43:44], s[28:29]
	;; [unrolled: 1-line block ×5, first 2 shown]
	v_mul_f64 v[55:56], v[14:15], s[14:15]
	v_fma_f64 v[57:58], v[6:7], s[34:35], s[2:3]
	v_fma_f64 v[59:60], v[2:3], v[61:62], s[36:37]
	s_mov_b32 s2, 0x7ee6bae0
	s_mov_b32 s34, 0xb3f9ab1e
	;; [unrolled: 1-line block ×5, first 2 shown]
	v_cndmask_b32_e32 v1, 0x7ff00000, v13, vcc_lo
	s_and_b32 vcc_lo, s0, vcc_lo
	s_mov_b32 s37, 0xbeaa2d53
	v_fma_f64 v[10:11], v[51:52], v[10:11], 1.0
	v_fma_f64 v[25:26], v[49:50], v[25:26], s[30:31]
	v_fma_f64 v[61:62], v[27:28], v[39:40], s[26:27]
	v_fma_f64 v[43:44], v[47:48], v[43:44], s[20:21]
	v_fma_f64 v[53:54], v[45:46], v[53:54], s[20:21]
	v_rndne_f64_e32 v[39:40], v[55:56]
	v_fma_f64 v[55:56], v[4:5], s[2:3], v[57:58]
	v_fma_f64 v[57:58], v[2:3], v[59:60], s[34:35]
	v_cndmask_b32_e64 v60, 0, v1, s0
	s_mov_b32 s0, 0x72bbd7ea
	s_mov_b32 s2, 0x6e577b4c
	;; [unrolled: 1-line block ×4, first 2 shown]
	v_cndmask_b32_e32 v59, 0, v12, vcc_lo
	v_cvt_i32_f64_e32 v1, v[41:42]
	s_mov_b32 s34, 0x98334c14
	s_mov_b32 s35, 0xbe923b7c
	v_fma_f64 v[10:11], v[51:52], v[10:11], 1.0
	v_fma_f64 v[25:26], v[49:50], v[25:26], 1.0
	v_fma_f64 v[41:42], v[27:28], v[61:62], s[28:29]
	v_fma_f64 v[43:44], v[47:48], v[43:44], s[22:23]
	;; [unrolled: 1-line block ×6, first 2 shown]
	s_mov_b32 s0, 0x53747141
	s_mov_b32 s2, 0x4189375
	;; [unrolled: 1-line block ×4, first 2 shown]
	v_add_co_u32 v55, vcc_lo, s10, v63
	v_add_co_ci_u32_e64 v56, null, s11, v64, vcc_lo
	v_cmp_nlt_f64_e32 vcc_lo, 0x40900000, v[17:18]
	v_ldexp_f64 v[10:11], v[10:11], v1
	v_cvt_i32_f64_e32 v1, v[33:34]
	global_store_dwordx2 v[55:56], v[59:60], off
	v_fma_f64 v[61:62], v[49:50], v[25:26], 1.0
	v_fma_f64 v[25:26], v[27:28], v[41:42], s[30:31]
	v_fma_f64 v[41:42], v[47:48], v[43:44], s[24:25]
	;; [unrolled: 1-line block ×5, first 2 shown]
	v_mul_f64 v[51:52], v[12:13], s[14:15]
	v_fma_f64 v[57:58], v[2:3], v[57:58], s[34:35]
	s_mov_b32 s0, 0xf1e4b44a
	s_mov_b32 s2, 0x4c4c3598
	s_mov_b32 s1, 0x40111cb4
	s_mov_b32 s3, 0x3f637b52
	s_mov_b32 s34, 0xf6fd21ff
	s_mov_b32 s35, 0xc0e0e69b
	v_cndmask_b32_e32 v11, 0x7ff00000, v11, vcc_lo
	v_ldexp_f64 v[59:60], v[61:62], v1
	v_fma_f64 v[33:34], v[27:28], v[25:26], 1.0
	v_fma_f64 v[41:42], v[47:48], v[41:42], s[26:27]
	v_fma_f64 v[43:44], v[45:46], v[43:44], s[26:27]
	v_fma_f64 v[55:56], v[49:50], s[12:13], s[8:9]
	v_cvt_i32_f64_e32 v1, v[37:38]
	v_rndne_f64_e32 v[25:26], v[51:52]
	v_fma_f64 v[51:52], v[4:5], s[0:1], v[53:54]
	v_fma_f64 v[53:54], v[2:3], v[57:58], s[2:3]
	s_mov_b32 s0, 0x5a61e093
	s_mov_b32 s2, 0x4de2fce9
	;; [unrolled: 1-line block ×4, first 2 shown]
	v_lshlrev_b64 v[61:62], 3, v[8:9]
	v_fma_f64 v[57:58], v[2:3], s[2:3], s[0:1]
	s_mov_b32 s2, 0x3479da37
	v_cmp_ngt_f64_e64 s0, 0xc090cc00, v[17:18]
	s_mov_b32 s3, 0x401f2638
	v_cmp_nlt_f64_e64 s1, 0x40900000, v[21:22]
	v_add_nc_u32_e32 v8, s33, v8
	v_fma_f64 v[33:34], v[27:28], v[33:34], 1.0
	v_fma_f64 v[37:38], v[47:48], v[41:42], s[28:29]
	v_fma_f64 v[41:42], v[45:46], v[43:44], s[28:29]
	;; [unrolled: 1-line block ×6, first 2 shown]
	v_cmp_ngt_f64_e64 s2, 0xc090cc00, v[21:22]
	s_mov_b32 s34, 0x31487768
	s_mov_b32 s35, 0x40082240
	v_fma_f64 v[53:54], v[2:3], v[57:58], s[36:37]
	s_mov_b32 s36, 0xe497ede9
	s_and_b32 vcc_lo, s0, vcc_lo
	s_mov_b32 s37, 0x3f752803
	v_cndmask_b32_e64 v17, 0, v11, s0
	v_cndmask_b32_e64 v18, 0x7ff00000, v60, s1
	v_cndmask_b32_e32 v16, 0, v10, vcc_lo
	v_add_co_u32 v57, vcc_lo, s10, v61
	v_ldexp_f64 v[60:61], v[33:34], v1
	v_fma_f64 v[10:11], v[47:48], v[37:38], s[30:31]
	v_fma_f64 v[21:22], v[45:46], v[41:42], s[30:31]
	;; [unrolled: 1-line block ×3, first 2 shown]
	v_lshlrev_b64 v[43:44], 3, v[8:9]
	v_fma_f64 v[37:38], v[25:26], s[6:7], v[55:56]
	v_add_co_ci_u32_e64 v58, null, s11, v62, vcc_lo
	v_mul_f64 v[41:42], v[27:28], s[14:15]
	v_fma_f64 v[51:52], v[4:5], s[34:35], v[51:52]
	s_and_b32 vcc_lo, s2, s1
	v_cndmask_b32_e64 v56, 0, v18, s2
	s_mov_b32 s2, 0x2ac75602
	v_fma_f64 v[53:54], v[2:3], v[53:54], s[36:37]
	s_mov_b32 s34, 0x753f615
	v_cndmask_b32_e32 v55, 0, v59, vcc_lo
	v_add_co_u32 v62, vcc_lo, s10, v43
	s_mov_b32 s3, 0x3de0dc9f
	s_mov_b32 s35, 0xbcfc4e76
	v_add_co_ci_u32_e64 v63, null, s11, v44, vcc_lo
	v_cmp_nlt_f64_e32 vcc_lo, 0x40900000, v[23:24]
	v_fma_f64 v[10:11], v[47:48], v[10:11], 1.0
	v_cmp_ngt_f64_e64 s0, 0xc090cc00, v[23:24]
	v_fma_f64 v[23:24], v[45:46], v[21:22], 1.0
	v_fma_f64 v[43:44], v[49:50], v[33:34], s[20:21]
	v_fma_f64 v[64:65], v[37:38], s[12:13], s[8:9]
	s_mov_b32 s36, 0x485b62c8
	s_mov_b32 s37, 0xbeb2c3c3
	v_rndne_f64_e32 v[21:22], v[41:42]
	v_fma_f64 v[41:42], v[2:3], s[34:35], s[2:3]
	s_mov_b32 s2, 0x5d6967a3
	s_mov_b32 s34, 0xda122fad
	;; [unrolled: 1-line block ×3, first 2 shown]
	v_fma_f64 v[33:34], v[2:3], v[53:54], v[51:52]
	s_mov_b32 s35, 0xc0b34be2
	v_cvt_i32_f64_e32 v18, v[35:36]
	v_cmp_nlt_f64_e64 s1, 0x40900000, v[29:30]
	v_add_nc_u32_e32 v8, s33, v8
	global_store_dwordx2 v[57:58], v[16:17], off
	global_store_dwordx2 v[62:63], v[55:56], off
	v_cndmask_b32_e32 v1, 0x7ff00000, v61, vcc_lo
	v_fma_f64 v[10:11], v[47:48], v[10:11], 1.0
	v_fma_f64 v[47:48], v[6:7], s[34:35], s[2:3]
	v_fma_f64 v[23:24], v[45:46], v[23:24], 1.0
	v_fma_f64 v[35:36], v[49:50], v[43:44], s[22:23]
	v_fma_f64 v[43:44], v[37:38], v[64:65], s[16:17]
	s_mov_b32 s2, 0xa5d9c3d6
	s_mov_b32 s34, 0x5720731e
	v_fma_f64 v[45:46], v[21:22], s[4:5], v[27:28]
	v_fma_f64 v[41:42], v[2:3], v[41:42], s[36:37]
	s_mov_b32 s3, 0x400049f4
	s_mov_b32 s35, 0x3f7dfe6a
	s_and_b32 vcc_lo, s0, vcc_lo
	v_mul_f64 v[51:52], v[33:34], s[14:15]
	v_cndmask_b32_e64 v17, 0, v1, s0
	v_cndmask_b32_e32 v16, 0, v60, vcc_lo
	s_mov_b32 s36, 0xf12db09f
	s_mov_b32 s37, 0xbd00d91f
	v_cmp_ngt_f64_e64 s0, 0xc090cc00, v[19:20]
	v_fma_f64 v[53:54], v[49:50], v[35:36], s[24:25]
	v_fma_f64 v[64:65], v[37:38], v[43:44], s[18:19]
	;; [unrolled: 1-line block ×5, first 2 shown]
	v_cmp_ngt_f64_e64 s2, 0xc090cc00, v[29:30]
	v_lshlrev_b64 v[29:30], 3, v[8:9]
	v_rndne_f64_e32 v[35:36], v[51:52]
	v_ldexp_f64 v[51:52], v[10:11], v18
	v_cvt_i32_f64_e32 v18, v[31:32]
	v_add_nc_u32_e32 v8, s33, v8
	s_mov_b32 s34, 0xddc6e95a
	s_mov_b32 s35, 0x3de4116f
	v_fma_f64 v[60:61], v[2:3], s[36:37], s[34:35]
	v_lshlrev_b64 v[58:59], 3, v[8:9]
	s_mov_b32 s34, 0x8f5c28f6
	s_mov_b32 s36, 0x3114b5e5
	;; [unrolled: 1-line block ×4, first 2 shown]
	v_fma_f64 v[47:48], v[49:50], v[53:54], s[26:27]
	v_fma_f64 v[31:32], v[37:38], v[64:65], s[20:21]
	v_add_nc_u32_e32 v8, s33, v8
	v_fma_f64 v[53:54], v[43:44], s[12:13], s[8:9]
	v_fma_f64 v[10:11], v[2:3], v[41:42], v[45:46]
	;; [unrolled: 1-line block ×3, first 2 shown]
	v_cndmask_b32_e64 v1, 0x7ff00000, v52, s1
	v_add_co_u32 v52, vcc_lo, s10, v29
	v_ldexp_f64 v[23:24], v[23:24], v18
	v_cndmask_b32_e64 v57, 0, v1, s2
	v_fma_f64 v[60:61], v[2:3], v[60:61], s[36:37]
	s_mov_b32 s36, 0xa556e018
	s_mov_b32 s37, 0xbe91d28e
	v_fma_f64 v[45:46], v[49:50], v[47:48], s[28:29]
	v_fma_f64 v[31:32], v[37:38], v[31:32], s[22:23]
	;; [unrolled: 1-line block ×3, first 2 shown]
	v_add_co_ci_u32_e64 v53, null, s11, v30, vcc_lo
	v_mul_f64 v[54:55], v[10:11], s[14:15]
	s_and_b32 vcc_lo, s2, s1
	v_fma_f64 v[41:42], v[35:36], s[6:7], v[41:42]
	v_cndmask_b32_e32 v56, 0, v51, vcc_lo
	v_add_co_u32 v58, vcc_lo, s10, v58
	v_add_co_ci_u32_e64 v59, null, s11, v59, vcc_lo
	v_cmp_nlt_f64_e32 vcc_lo, 0x40900000, v[19:20]
	s_mov_b32 s2, 0x304618e9
	s_mov_b32 s3, 0x402aecc4
	v_cvt_i32_f64_e32 v20, v[39:40]
	global_store_dwordx2 v[52:53], v[16:17], off
	global_store_dwordx2 v[58:59], v[56:57], off
	v_lshlrev_b64 v[56:57], 3, v[8:9]
	v_add_nc_u32_e32 v8, s33, v8
	v_fma_f64 v[45:46], v[49:50], v[45:46], s[30:31]
	v_fma_f64 v[31:32], v[37:38], v[31:32], s[24:25]
	;; [unrolled: 1-line block ×4, first 2 shown]
	v_cndmask_b32_e32 v1, 0x7ff00000, v24, vcc_lo
	s_and_b32 vcc_lo, s0, vcc_lo
	v_cndmask_b32_e32 v51, 0, v23, vcc_lo
	v_cndmask_b32_e64 v52, 0, v1, s0
	s_mov_b32 s0, 0x535f22a5
	v_fma_f64 v[45:46], v[49:50], v[45:46], 1.0
	v_fma_f64 v[31:32], v[37:38], v[31:32], s[26:27]
	s_mov_b32 s1, 0x402e3b31
	v_fma_f64 v[47:48], v[43:44], v[47:48], s[20:21]
	v_fma_f64 v[18:19], v[41:42], v[29:30], s[16:17]
	v_rndne_f64_e32 v[29:30], v[54:55]
	v_fma_f64 v[54:55], v[6:7], s[34:35], s[2:3]
	s_mov_b32 s2, 0x57ef94a2
	s_mov_b32 s34, 0xdfc0f594
	;; [unrolled: 1-line block ×4, first 2 shown]
	v_fma_f64 v[45:46], v[49:50], v[45:46], 1.0
	v_fma_f64 v[31:32], v[37:38], v[31:32], s[28:29]
	v_fma_f64 v[39:40], v[43:44], v[47:48], s[22:23]
	;; [unrolled: 1-line block ×3, first 2 shown]
	s_mov_b32 s2, 0xcf6d1024
	s_mov_b32 s34, 0x2c8defc6
	;; [unrolled: 1-line block ×4, first 2 shown]
	v_fma_f64 v[49:50], v[29:30], s[4:5], v[10:11]
	v_fma_f64 v[54:55], v[4:5], s[2:3], v[54:55]
	;; [unrolled: 1-line block ×3, first 2 shown]
	s_mov_b32 s2, 0x5460aa65
	s_mov_b32 s3, 0x40c65132
	;; [unrolled: 1-line block ×3, first 2 shown]
	v_fma_f64 v[23:24], v[6:7], s[2:3], s[0:1]
	s_mov_b32 s35, 0xbebc089b
	v_fma_f64 v[18:19], v[41:42], v[18:19], s[18:19]
	s_mov_b32 s0, 0x69f52f8
	s_mov_b32 s2, 0x31182340
	;; [unrolled: 1-line block ×3, first 2 shown]
	v_ldexp_f64 v[58:59], v[45:46], v20
	v_fma_f64 v[31:32], v[37:38], v[31:32], s[30:31]
	s_mov_b32 s3, 0xbcd17b24
	v_cvt_i32_f64_e32 v20, v[25:26]
	v_fma_f64 v[39:40], v[43:44], v[39:40], s[24:25]
	v_fma_f64 v[47:48], v[2:3], v[47:48], s[34:35]
	s_mov_b32 s34, 0xc28f5c29
	s_mov_b32 s35, 0xc0d2dfcd
	v_fma_f64 v[45:46], v[29:30], s[6:7], v[49:50]
	v_add_co_u32 v49, vcc_lo, s10, v56
	v_fma_f64 v[16:17], v[2:3], v[60:61], v[54:55]
	v_add_co_ci_u32_e64 v50, null, s11, v57, vcc_lo
	v_fma_f64 v[53:54], v[2:3], s[2:3], s[0:1]
	s_mov_b32 s0, 0x373affb0
	v_cmp_nlt_f64_e32 vcc_lo, 0x40900000, v[14:15]
	s_mov_b32 s1, 0x3ff1266d
	s_mov_b32 s2, 0xb006255b
	v_fma_f64 v[23:24], v[4:5], s[0:1], v[23:24]
	v_cmp_ngt_f64_e64 s0, 0xc090cc00, v[14:15]
	v_fma_f64 v[14:15], v[37:38], v[31:32], 1.0
	s_mov_b32 s3, 0x3f8634a9
	v_fma_f64 v[18:19], v[41:42], v[18:19], s[20:21]
	v_fma_f64 v[31:32], v[43:44], v[39:40], s[26:27]
	;; [unrolled: 1-line block ×3, first 2 shown]
	s_mov_b32 s2, 0xe48a58b4
	s_mov_b32 s3, 0xc00f712b
	global_store_dwordx2 v[49:50], v[51:52], off
	v_cmp_nlt_f64_e64 s1, 0x40900000, v[27:28]
	v_fma_f64 v[39:40], v[45:46], s[12:13], s[8:9]
	v_lshlrev_b64 v[51:52], 3, v[8:9]
	v_add_nc_u32_e32 v8, s33, v8
	v_mul_f64 v[55:56], v[16:17], s[14:15]
	v_fma_f64 v[53:54], v[2:3], v[53:54], s[36:37]
	s_mov_b32 s36, 0xec5be0be
	v_cndmask_b32_e32 v1, 0x7ff00000, v59, vcc_lo
	v_fma_f64 v[59:60], v[6:7], s[34:35], s[2:3]
	s_mov_b32 s2, 0xb9561d1b
	s_mov_b32 s34, 0x25ffae6b
	;; [unrolled: 1-line block ×3, first 2 shown]
	v_fma_f64 v[61:62], v[37:38], v[14:15], 1.0
	s_mov_b32 s35, 0xbcf1e5ee
	v_fma_f64 v[18:19], v[41:42], v[18:19], s[22:23]
	v_fma_f64 v[14:15], v[43:44], v[31:32], s[28:29]
	;; [unrolled: 1-line block ×4, first 2 shown]
	s_mov_b32 s2, 0x6198a14c
	s_mov_b32 s34, 0x21f5e9bf
	;; [unrolled: 1-line block ×3, first 2 shown]
	v_fma_f64 v[31:32], v[45:46], v[39:40], s[16:17]
	s_mov_b32 s35, 0x3f60bbca
	s_mov_b32 s37, 0xbea75123
	v_rndne_f64_e32 v[25:26], v[55:56]
	s_and_b32 vcc_lo, s0, vcc_lo
	v_fma_f64 v[39:40], v[2:3], v[53:54], s[34:35]
	s_mov_b32 s34, 0x989df117
	s_mov_b32 s35, 0x40bd7f0d
	v_fma_f64 v[37:38], v[4:5], s[2:3], v[59:60]
	s_mov_b32 s2, 0x7d8ecc0b
	s_mov_b32 s3, 0x3fe43b5e
	v_fma_f64 v[53:54], v[6:7], s[34:35], s[2:3]
	s_mov_b32 s2, 0x864fbad3
	v_fma_f64 v[18:19], v[41:42], v[18:19], s[24:25]
	s_mov_b32 s3, 0x40120b91
	v_mul_f64 v[55:56], v[23:24], s[14:15]
	v_fma_f64 v[47:48], v[2:3], v[47:48], s[36:37]
	v_fma_f64 v[63:64], v[43:44], v[14:15], s[30:31]
	s_mov_b32 s34, 0x6468c0fa
	s_mov_b32 s35, 0x3f72707a
	v_fma_f64 v[59:60], v[45:46], v[31:32], s[18:19]
	v_fma_f64 v[14:15], v[2:3], v[39:40], v[37:38]
	;; [unrolled: 1-line block ×4, first 2 shown]
	v_cmp_ngt_f64_e64 s2, 0xc090cc00, v[27:28]
	v_fma_f64 v[18:19], v[41:42], v[18:19], s[26:27]
	v_rndne_f64_e32 v[31:32], v[55:56]
	v_fma_f64 v[47:48], v[2:3], v[47:48], s[34:35]
	v_fma_f64 v[55:56], v[43:44], v[63:64], 1.0
	s_mov_b32 s34, 0x6d3ace3
	s_mov_b32 s35, 0xbe9eafda
	v_fma_f64 v[53:54], v[45:46], v[59:60], s[20:21]
	v_fma_f64 v[37:38], v[25:26], s[6:7], v[37:38]
	;; [unrolled: 1-line block ×5, first 2 shown]
	v_cndmask_b32_e64 v48, 0, v1, s0
	v_cndmask_b32_e32 v47, 0, v58, vcc_lo
	v_fma_f64 v[49:50], v[45:46], v[53:54], s[22:23]
	v_ldexp_f64 v[53:54], v[61:62], v20
	v_fma_f64 v[43:44], v[43:44], v[55:56], 1.0
	v_cvt_i32_f64_e32 v1, v[21:22]
	v_mul_f64 v[57:58], v[14:15], s[14:15]
	v_add_co_u32 v51, vcc_lo, s10, v51
	v_add_co_ci_u32_e64 v52, null, s11, v52, vcc_lo
	v_cmp_nlt_f64_e32 vcc_lo, 0x40900000, v[12:13]
	v_fma_f64 v[55:56], v[37:38], s[12:13], s[8:9]
	v_cmp_ngt_f64_e64 s0, 0xc090cc00, v[12:13]
	global_store_dwordx2 v[51:52], v[47:48], off
	v_lshlrev_b64 v[51:52], 3, v[8:9]
	v_add_nc_u32_e32 v8, s33, v8
	v_fma_f64 v[20:21], v[41:42], v[59:60], s[30:31]
	v_mul_f64 v[59:60], v[18:19], s[14:15]
	v_fma_f64 v[39:40], v[31:32], s[6:7], v[39:40]
	v_fma_f64 v[49:50], v[45:46], v[49:50], s[24:25]
	v_ldexp_f64 v[43:44], v[43:44], v1
	v_cndmask_b32_e32 v1, 0x7ff00000, v54, vcc_lo
	v_fma_f64 v[55:56], v[37:38], v[55:56], s[16:17]
	s_and_b32 vcc_lo, s0, vcc_lo
	v_cndmask_b32_e32 v47, 0, v53, vcc_lo
	v_cndmask_b32_e64 v48, 0, v1, s0
	v_fma_f64 v[61:62], v[41:42], v[20:21], 1.0
	v_rndne_f64_e32 v[20:21], v[57:58]
	v_cmp_ngt_f64_e64 s0, 0xc090cc00, v[33:34]
	v_rndne_f64_e32 v[12:13], v[59:60]
	v_fma_f64 v[63:64], v[39:40], s[12:13], s[8:9]
	v_fma_f64 v[49:50], v[45:46], v[49:50], s[26:27]
	v_cndmask_b32_e64 v22, 0x7ff00000, v44, s1
	v_cvt_i32_f64_e32 v44, v[35:36]
	v_fma_f64 v[54:55], v[37:38], v[55:56], s[18:19]
	v_fma_f64 v[27:28], v[41:42], v[61:62], 1.0
	v_fma_f64 v[41:42], v[20:21], s[4:5], v[14:15]
	v_fma_f64 v[56:57], v[12:13], s[4:5], v[18:19]
	;; [unrolled: 1-line block ×3, first 2 shown]
	v_cvt_i32_f64_e32 v63, v[31:32]
	v_fma_f64 v[49:50], v[45:46], v[49:50], s[28:29]
	v_fma_f64 v[54:55], v[37:38], v[54:55], s[20:21]
	v_ldexp_f64 v[58:59], v[27:28], v44
	v_cndmask_b32_e64 v44, 0, v22, s2
	v_fma_f64 v[27:28], v[12:13], s[6:7], v[56:57]
	v_fma_f64 v[60:61], v[39:40], v[35:36], s[18:19]
	;; [unrolled: 1-line block ×3, first 2 shown]
	v_add_co_u32 v41, vcc_lo, s10, v51
	v_fma_f64 v[49:50], v[45:46], v[49:50], s[30:31]
	v_add_co_ci_u32_e64 v42, null, s11, v52, vcc_lo
	v_lshlrev_b64 v[51:52], 3, v[8:9]
	s_and_b32 vcc_lo, s2, s1
	s_mov_b32 s2, 0xc7039d46
	v_cndmask_b32_e32 v43, 0, v43, vcc_lo
	s_mov_b32 s3, 0xbcd3998d
	v_add_nc_u32_e32 v8, s33, v8
	v_add_co_u32 v51, vcc_lo, s10, v51
	v_add_co_ci_u32_e64 v52, null, s11, v52, vcc_lo
	v_cmp_nlt_f64_e32 vcc_lo, 0x40900000, v[33:34]
	v_fma_f64 v[53:54], v[37:38], v[54:55], s[22:23]
	global_store_dwordx2 v[41:42], v[47:48], off
	global_store_dwordx2 v[51:52], v[43:44], off
	v_lshlrev_b64 v[51:52], 3, v[8:9]
	v_add_nc_u32_e32 v8, s33, v8
	v_fma_f64 v[55:56], v[39:40], v[60:61], s[20:21]
	v_fma_f64 v[61:62], v[27:28], s[12:13], s[8:9]
	v_fma_f64 v[49:50], v[45:46], v[49:50], 1.0
	v_cndmask_b32_e32 v1, 0x7ff00000, v59, vcc_lo
	s_and_b32 vcc_lo, s0, vcc_lo
	v_fma_f64 v[59:60], v[35:36], s[12:13], s[8:9]
	v_cndmask_b32_e32 v33, 0, v58, vcc_lo
	v_fma_f64 v[53:54], v[37:38], v[53:54], s[24:25]
	v_cndmask_b32_e64 v34, 0, v1, s0
	s_mov_b32 s0, 0x2bd298
	s_mov_b32 s1, 0x3dc2a5b4
	v_fma_f64 v[41:42], v[39:40], v[55:56], s[22:23]
	v_fma_f64 v[45:46], v[45:46], v[49:50], 1.0
	v_fma_f64 v[49:50], v[2:3], s[2:3], s[0:1]
	s_mov_b32 s0, 0x4c898508
	s_mov_b32 s2, 0xa556825f
	;; [unrolled: 1-line block ×4, first 2 shown]
	v_cvt_i32_f64_e32 v1, v[29:30]
	v_fma_f64 v[55:56], v[2:3], s[2:3], s[0:1]
	s_mov_b32 s0, 0xa68463a7
	s_mov_b32 s2, 0x2c9081c
	v_add_co_u32 v29, vcc_lo, s10, v51
	s_mov_b32 s1, 0xc01420db
	s_mov_b32 s3, 0xc07ea526
	v_fma_f64 v[47:48], v[27:28], v[61:62], s[16:17]
	v_fma_f64 v[43:44], v[35:36], v[59:60], s[16:17]
	v_add_co_ci_u32_e64 v30, null, s11, v52, vcc_lo
	v_fma_f64 v[51:52], v[6:7], s[2:3], s[0:1]
	s_mov_b32 s0, 0x519d8186
	s_mov_b32 s2, 0xced91687
	;; [unrolled: 1-line block ×4, first 2 shown]
	v_fma_f64 v[49:50], v[2:3], v[49:50], s[34:35]
	s_mov_b32 s34, 0x5a47e1fe
	s_mov_b32 s35, 0xbea7a2a0
	v_fma_f64 v[57:58], v[6:7], s[2:3], s[0:1]
	s_mov_b32 s0, 0xb537f4ca
	s_mov_b32 s2, 0x98fc07ef
	;; [unrolled: 3-line block ×3, first 2 shown]
	v_fma_f64 v[53:54], v[37:38], v[53:54], s[26:27]
	v_fma_f64 v[59:60], v[2:3], s[2:3], s[0:1]
	s_mov_b32 s0, 0x2a0c430
	s_mov_b32 s2, 0x8147f6e1
	;; [unrolled: 1-line block ×4, first 2 shown]
	v_fma_f64 v[41:42], v[39:40], v[41:42], s[24:25]
	v_fma_f64 v[43:44], v[35:36], v[43:44], s[18:19]
	;; [unrolled: 1-line block ×4, first 2 shown]
	s_mov_b32 s0, 0x38b7d772
	s_mov_b32 s1, 0x40159dcf
	;; [unrolled: 1-line block ×3, first 2 shown]
	v_fma_f64 v[49:50], v[2:3], v[49:50], s[2:3]
	s_mov_b32 s2, 0x581cd52b
	s_mov_b32 s3, 0x3f780242
	v_fma_f64 v[57:58], v[4:5], s[0:1], v[57:58]
	s_mov_b32 s0, 0xcb295ea
	s_mov_b32 s1, 0xc0267c71
	;; [unrolled: 3-line block ×3, first 2 shown]
	s_mov_b32 s35, 0xbeafc12c
	v_fma_f64 v[61:62], v[6:7], s[2:3], s[0:1]
	v_fma_f64 v[59:60], v[2:3], v[59:60], s[34:35]
	s_mov_b32 s0, 0xa7078f7d
	s_mov_b32 s2, 0x38989306
	;; [unrolled: 1-line block ×4, first 2 shown]
	v_fma_f64 v[53:54], v[37:38], v[53:54], s[28:29]
	v_fma_f64 v[41:42], v[39:40], v[41:42], s[26:27]
	;; [unrolled: 1-line block ×4, first 2 shown]
	s_mov_b32 s34, 0x2b6f9ec6
	s_mov_b32 s35, 0xbeabae8d
	v_fma_f64 v[49:50], v[2:3], v[49:50], v[51:52]
	v_fma_f64 v[51:52], v[2:3], s[2:3], s[0:1]
	s_mov_b32 s0, 0x7da6f4cc
	s_mov_b32 s2, 0xd95a1b4c
	;; [unrolled: 1-line block ×4, first 2 shown]
	v_fma_f64 v[55:56], v[2:3], v[55:56], v[57:58]
	v_ldexp_f64 v[45:46], v[45:46], v1
	v_cmp_nlt_f64_e32 vcc_lo, 0x40900000, v[10:11]
	v_cvt_i32_f64_e32 v1, v[25:26]
	v_fma_f64 v[57:58], v[4:5], s[0:1], v[61:62]
	v_fma_f64 v[59:60], v[2:3], v[59:60], s[2:3]
	s_mov_b32 s0, 0x69446738
	s_mov_b32 s2, 0xf9724745
	;; [unrolled: 1-line block ×4, first 2 shown]
	v_fma_f64 v[53:54], v[37:38], v[53:54], s[30:31]
	v_fma_f64 v[41:42], v[39:40], v[41:42], s[28:29]
	;; [unrolled: 1-line block ×5, first 2 shown]
	s_mov_b32 s0, 0xc76d117b
	s_mov_b32 s2, 0x85e6b455
	v_fma_f64 v[51:52], v[2:3], v[51:52], s[34:35]
	s_mov_b32 s1, 0x401aedd4
	s_mov_b32 s3, 0x3f7e8843
	global_store_dwordx2 v[29:30], v[33:34], off
	v_cndmask_b32_e32 v22, 0x7ff00000, v46, vcc_lo
	v_fma_f64 v[57:58], v[2:3], v[59:60], v[57:58]
	v_mul_f64 v[59:60], v[49:50], s[14:15]
	v_fma_f64 v[53:54], v[37:38], v[53:54], 1.0
	v_fma_f64 v[41:42], v[39:40], v[41:42], s[30:31]
	v_fma_f64 v[43:44], v[35:36], v[43:44], s[24:25]
	;; [unrolled: 1-line block ×4, first 2 shown]
	v_cmp_ngt_f64_e64 s0, 0xc090cc00, v[10:11]
	v_cmp_nlt_f64_e64 s1, 0x40900000, v[23:24]
	v_fma_f64 v[51:52], v[2:3], v[51:52], s[2:3]
	v_cmp_ngt_f64_e64 s2, 0xc090cc00, v[23:24]
	v_cvt_i32_f64_e32 v24, v[20:21]
	v_rndne_f64_e32 v[59:60], v[59:60]
	v_fma_f64 v[37:38], v[37:38], v[53:54], 1.0
	v_mul_f64 v[53:54], v[55:56], s[14:15]
	v_fma_f64 v[43:44], v[35:36], v[43:44], s[26:27]
	v_fma_f64 v[41:42], v[39:40], v[41:42], 1.0
	v_fma_f64 v[47:48], v[27:28], v[47:48], s[26:27]
	s_and_b32 vcc_lo, s0, vcc_lo
	v_fma_f64 v[51:52], v[2:3], v[51:52], v[61:62]
	v_mul_f64 v[61:62], v[57:58], s[14:15]
	v_fma_f64 v[10:11], v[59:60], s[4:5], v[49:50]
	v_ldexp_f64 v[37:38], v[37:38], v1
	v_fma_f64 v[25:26], v[35:36], v[43:44], s[28:29]
	v_rndne_f64_e32 v[43:44], v[53:54]
	v_fma_f64 v[39:40], v[39:40], v[41:42], 1.0
	v_fma_f64 v[31:32], v[27:28], v[47:48], s[28:29]
	v_mul_f64 v[46:47], v[51:52], s[14:15]
	v_rndne_f64_e32 v[41:42], v[61:62]
	v_cndmask_b32_e32 v61, 0, v45, vcc_lo
	v_cndmask_b32_e64 v62, 0, v22, s0
	v_cmp_ngt_f64_e64 s0, 0xc090cc00, v[16:17]
	v_fma_f64 v[10:11], v[59:60], s[6:7], v[10:11]
	v_fma_f64 v[25:26], v[35:36], v[25:26], s[30:31]
	v_fma_f64 v[53:54], v[43:44], s[4:5], v[55:56]
	v_ldexp_f64 v[29:30], v[39:40], v63
	v_fma_f64 v[31:32], v[27:28], v[31:32], s[30:31]
	v_rndne_f64_e32 v[39:40], v[46:47]
	v_lshlrev_b64 v[46:47], 3, v[8:9]
	v_fma_f64 v[33:34], v[41:42], s[4:5], v[57:58]
	v_add_nc_u32_e32 v8, s33, v8
	v_add_co_u32 v45, vcc_lo, s10, v46
	v_add_co_ci_u32_e64 v46, null, s11, v47, vcc_lo
	v_cmp_nlt_f64_e32 vcc_lo, 0x40900000, v[16:17]
	v_fma_f64 v[22:23], v[10:11], s[12:13], s[8:9]
	v_fma_f64 v[16:17], v[35:36], v[25:26], 1.0
	v_fma_f64 v[25:26], v[43:44], s[6:7], v[53:54]
	v_cvt_i32_f64_e32 v53, v[59:60]
	v_fma_f64 v[47:48], v[39:40], s[4:5], v[51:52]
	s_mov_b32 s4, 0x225742e
	s_mov_b32 s5, 0xc02f07d5
	v_cndmask_b32_e32 v1, 0x7ff00000, v38, vcc_lo
	v_cndmask_b32_e64 v38, 0x7ff00000, v30, s1
	v_fma_f64 v[30:31], v[27:28], v[31:32], 1.0
	v_fma_f64 v[32:33], v[41:42], s[6:7], v[33:34]
	v_fma_f64 v[22:23], v[10:11], v[22:23], s[16:17]
	s_and_b32 vcc_lo, s0, vcc_lo
	v_fma_f64 v[16:17], v[35:36], v[16:17], 1.0
	v_fma_f64 v[34:35], v[25:26], s[12:13], s[8:9]
	v_cvt_i32_f64_e32 v36, v[12:13]
	s_and_b32 s1, s2, s1
	v_fma_f64 v[47:48], v[39:40], s[6:7], v[47:48]
	s_mov_b32 s6, 0x3dd97f63
	s_mov_b32 s7, 0xc0bf2839
	v_fma_f64 v[6:7], v[6:7], s[6:7], s[4:5]
	s_mov_b32 s4, 0x274b9e64
	s_mov_b32 s6, 0xd869b103
	;; [unrolled: 1-line block ×4, first 2 shown]
	v_fma_f64 v[27:28], v[27:28], v[30:31], 1.0
	v_fma_f64 v[30:31], v[32:33], s[12:13], s[8:9]
	v_fma_f64 v[20:21], v[10:11], v[22:23], s[18:19]
	v_ldexp_f64 v[16:17], v[16:17], v24
	v_fma_f64 v[34:35], v[25:26], v[34:35], s[16:17]
	v_fma_f64 v[22:23], v[47:48], s[12:13], s[8:9]
	s_mov_b32 s8, 0x29f3eae
	s_mov_b32 s9, 0xbce18091
	v_ldexp_f64 v[27:28], v[27:28], v36
	v_fma_f64 v[12:13], v[32:33], v[30:31], s[16:17]
	v_fma_f64 v[20:21], v[10:11], v[20:21], s[20:21]
	v_cndmask_b32_e64 v36, 0, v29, s1
	v_cvt_i32_f64_e32 v29, v[41:42]
	v_fma_f64 v[30:31], v[25:26], v[34:35], s[18:19]
	v_cndmask_b32_e32 v34, 0, v37, vcc_lo
	v_cndmask_b32_e64 v35, 0, v1, s0
	v_cmp_ngt_f64_e64 s0, 0xc090cc00, v[14:15]
	v_fma_f64 v[22:23], v[47:48], v[22:23], s[16:17]
	v_cndmask_b32_e64 v37, 0, v38, s2
	v_cmp_ngt_f64_e64 s2, 0xc090cc00, v[18:19]
	v_fma_f64 v[12:13], v[32:33], v[12:13], s[18:19]
	v_fma_f64 v[20:21], v[10:11], v[20:21], s[22:23]
	;; [unrolled: 1-line block ×21, first 2 shown]
	v_fma_f64 v[20:21], v[10:11], v[20:21], 1.0
	v_fma_f64 v[30:31], v[25:26], v[30:31], s[30:31]
	v_fma_f64 v[22:23], v[47:48], v[22:23], s[28:29]
	;; [unrolled: 1-line block ×3, first 2 shown]
	v_fma_f64 v[10:11], v[10:11], v[20:21], 1.0
	v_fma_f64 v[30:31], v[25:26], v[30:31], 1.0
	v_fma_f64 v[20:21], v[47:48], v[22:23], s[30:31]
	v_lshlrev_b64 v[22:23], 3, v[8:9]
	v_add_nc_u32_e32 v8, s33, v8
	v_add_co_u32 v22, vcc_lo, s10, v22
	v_add_co_ci_u32_e64 v23, null, s11, v23, vcc_lo
	v_cmp_nlt_f64_e32 vcc_lo, 0x40900000, v[14:15]
	v_fma_f64 v[12:13], v[32:33], v[12:13], 1.0
	v_ldexp_f64 v[10:11], v[10:11], v53
	v_fma_f64 v[14:15], v[25:26], v[30:31], 1.0
	v_cvt_i32_f64_e32 v26, v[43:44]
	v_lshlrev_b64 v[24:25], 3, v[8:9]
	v_add_nc_u32_e32 v8, s33, v8
	v_fma_f64 v[20:21], v[47:48], v[20:21], 1.0
	v_add_co_u32 v24, s1, s10, v24
	v_add_co_ci_u32_e64 v25, null, s11, v25, s1
	v_cmp_nlt_f64_e64 s1, 0x40900000, v[18:19]
	global_store_dwordx2 v[45:46], v[61:62], off
	global_store_dwordx2 v[22:23], v[34:35], off
	;; [unrolled: 1-line block ×3, first 2 shown]
	v_cndmask_b32_e32 v1, 0x7ff00000, v17, vcc_lo
	s_and_b32 vcc_lo, s0, vcc_lo
	v_lshlrev_b64 v[17:18], 3, v[8:9]
	v_cndmask_b32_e32 v22, 0, v16, vcc_lo
	v_cmp_nlt_f64_e32 vcc_lo, 0x40900000, v[49:50]
	v_cndmask_b32_e64 v23, 0, v1, s0
	v_cmp_ngt_f64_e64 s0, 0xc090cc00, v[49:50]
	v_fma_f64 v[12:13], v[32:33], v[12:13], 1.0
	v_ldexp_f64 v[14:15], v[14:15], v26
	v_cvt_i32_f64_e32 v26, v[39:40]
	v_add_nc_u32_e32 v8, s33, v8
	v_fma_f64 v[19:20], v[47:48], v[20:21], 1.0
	v_add_co_u32 v16, s3, s10, v17
	v_add_co_ci_u32_e64 v17, null, s11, v18, s3
	v_lshlrev_b64 v[24:25], 3, v[8:9]
	v_add_nc_u32_e32 v8, s33, v8
	v_cndmask_b32_e64 v28, 0x7ff00000, v28, s1
	s_and_b32 s1, s2, s1
	v_cndmask_b32_e64 v27, 0, v27, s1
	v_add_co_u32 v24, s1, s10, v24
	v_add_co_ci_u32_e64 v25, null, s11, v25, s1
	v_cmp_nlt_f64_e64 s1, 0x40900000, v[55:56]
	v_cndmask_b32_e64 v28, 0, v28, s2
	v_cndmask_b32_e32 v1, 0x7ff00000, v11, vcc_lo
	s_and_b32 vcc_lo, s0, vcc_lo
	v_cmp_ngt_f64_e64 s2, 0xc090cc00, v[55:56]
	v_ldexp_f64 v[11:12], v[12:13], v29
	global_store_dwordx2 v[16:17], v[22:23], off
	global_store_dwordx2 v[24:25], v[27:28], off
	v_ldexp_f64 v[17:18], v[19:20], v26
	v_cndmask_b32_e32 v20, 0, v10, vcc_lo
	v_cmp_nlt_f64_e32 vcc_lo, 0x40900000, v[57:58]
	v_cndmask_b32_e64 v21, 0, v1, s0
	v_cmp_ngt_f64_e64 s0, 0xc090cc00, v[57:58]
	v_cndmask_b32_e64 v13, 0x7ff00000, v15, s1
	v_lshlrev_b64 v[15:16], 3, v[8:9]
	v_add_nc_u32_e32 v8, s33, v8
	s_and_b32 s1, s2, s1
	v_cndmask_b32_e64 v25, 0, v13, s2
	v_cndmask_b32_e64 v24, 0, v14, s1
	v_cmp_nlt_f64_e64 s1, 0x40900000, v[51:52]
	v_cmp_ngt_f64_e64 s2, 0xc090cc00, v[51:52]
	v_cndmask_b32_e32 v1, 0x7ff00000, v12, vcc_lo
	v_lshlrev_b64 v[12:13], 3, v[8:9]
	v_add_co_u32 v22, s3, s10, v15
	v_add_co_ci_u32_e64 v23, null, s11, v16, s3
	s_and_b32 vcc_lo, s0, vcc_lo
	v_add_co_u32 v26, s3, s10, v12
	v_add_co_ci_u32_e64 v27, null, s11, v13, s3
	v_cndmask_b32_e32 v28, 0, v11, vcc_lo
	v_fma_f64 v[11:12], v[4:5], s[4:5], v[6:7]
	v_fma_f64 v[13:14], v[2:3], s[8:9], s[6:7]
	v_add_nc_u32_e32 v8, s33, v8
	v_cndmask_b32_e64 v29, 0, v1, s0
	v_mov_b32_e32 v1, s33
	v_lshlrev_b64 v[15:16], 3, v[8:9]
	v_add_nc_u32_e32 v8, s33, v8
	v_cndmask_b32_e64 v10, 0x7ff00000, v18, s1
	v_mov_b32_e32 v18, 0xbead7bb9
	v_lshlrev_b64 v[4:5], 3, v[8:9]
	v_add_co_u32 v6, vcc_lo, s10, v15
	v_add_co_ci_u32_e64 v7, null, s11, v16, vcc_lo
	s_and_b32 vcc_lo, s2, s1
	v_mov_b32_e32 v15, 0xbf2010ed
	v_cndmask_b32_e32 v8, 0, v17, vcc_lo
	v_mov_b32_e32 v16, 0x3f806a8e
	v_mov_b32_e32 v17, 0x27eb86be
	v_add_co_u32 v4, vcc_lo, s10, v4
	v_cndmask_b32_e64 v9, 0, v10, s2
	v_add_co_ci_u32_e64 v5, null, s11, v5, vcc_lo
	global_store_dwordx2 v[22:23], v[20:21], off
	global_store_dwordx2 v[26:27], v[24:25], off
	;; [unrolled: 1-line block ×4, first 2 shown]
.LBB28_4:
	s_or_b32 exec_lo, exec_lo, s58
	v_fma_f64 v[4:5], v[2:3], v[13:14], v[17:18]
	s_mov_b32 s0, 0x652b82fe
	s_mov_b32 s1, 0x3ff71547
	;; [unrolled: 1-line block ×4, first 2 shown]
	v_mad_u64_u32 v[0:1], null, v1, 30, v[0:1]
	v_mov_b32_e32 v1, 0
	v_lshlrev_b64 v[0:1], 3, v[0:1]
	v_fma_f64 v[4:5], v[2:3], v[4:5], v[15:16]
	v_fma_f64 v[2:3], v[2:3], v[4:5], v[11:12]
	v_mul_f64 v[4:5], v[2:3], s[0:1]
	s_mov_b32 s0, 0xfefa39ef
	s_mov_b32 s1, 0xbfe62e42
	v_cmp_nlt_f64_e32 vcc_lo, 0x40900000, v[2:3]
	v_rndne_f64_e32 v[4:5], v[4:5]
	v_fma_f64 v[6:7], v[4:5], s[0:1], v[2:3]
	s_mov_b32 s0, 0x3b39803f
	s_mov_b32 s1, 0xbc7abc9e
	v_cvt_i32_f64_e32 v10, v[4:5]
	v_fma_f64 v[6:7], v[4:5], s[0:1], v[6:7]
	s_mov_b32 s0, 0xfca7ab0c
	s_mov_b32 s1, 0x3e928af3
	v_fma_f64 v[8:9], v[6:7], s[2:3], s[0:1]
	s_mov_b32 s0, 0x623fde64
	s_mov_b32 s1, 0x3ec71dee
	;; [unrolled: 3-line block ×9, first 2 shown]
	v_fma_f64 v[8:9], v[6:7], v[8:9], s[0:1]
	v_cmp_ngt_f64_e64 s0, 0xc090cc00, v[2:3]
	v_fma_f64 v[8:9], v[6:7], v[8:9], 1.0
	v_fma_f64 v[4:5], v[6:7], v[8:9], 1.0
	v_ldexp_f64 v[4:5], v[4:5], v10
	v_cndmask_b32_e32 v5, 0x7ff00000, v5, vcc_lo
	s_and_b32 vcc_lo, s0, vcc_lo
	v_cndmask_b32_e32 v2, 0, v4, vcc_lo
	v_add_co_u32 v0, vcc_lo, s10, v0
	v_cndmask_b32_e64 v3, 0, v5, s0
	v_add_co_ci_u32_e64 v1, null, s11, v1, vcc_lo
	global_store_dwordx2 v[0:1], v[2:3], off
	s_endpgm
	.section	.rodata,"a",@progbits
	.p2align	6, 0x0
	.amdhsa_kernel _Z12rdsmh_kernelIdEvPKT_PS0_S0_
		.amdhsa_group_segment_fixed_size 0
		.amdhsa_private_segment_fixed_size 0
		.amdhsa_kernarg_size 280
		.amdhsa_user_sgpr_count 6
		.amdhsa_user_sgpr_private_segment_buffer 1
		.amdhsa_user_sgpr_dispatch_ptr 0
		.amdhsa_user_sgpr_queue_ptr 0
		.amdhsa_user_sgpr_kernarg_segment_ptr 1
		.amdhsa_user_sgpr_dispatch_id 0
		.amdhsa_user_sgpr_flat_scratch_init 0
		.amdhsa_user_sgpr_private_segment_size 0
		.amdhsa_wavefront_size32 1
		.amdhsa_uses_dynamic_stack 0
		.amdhsa_system_sgpr_private_segment_wavefront_offset 0
		.amdhsa_system_sgpr_workgroup_id_x 1
		.amdhsa_system_sgpr_workgroup_id_y 0
		.amdhsa_system_sgpr_workgroup_id_z 0
		.amdhsa_system_sgpr_workgroup_info 0
		.amdhsa_system_vgpr_workitem_id 0
		.amdhsa_next_free_vgpr 67
		.amdhsa_next_free_sgpr 64
		.amdhsa_reserve_vcc 1
		.amdhsa_reserve_flat_scratch 0
		.amdhsa_float_round_mode_32 0
		.amdhsa_float_round_mode_16_64 0
		.amdhsa_float_denorm_mode_32 3
		.amdhsa_float_denorm_mode_16_64 3
		.amdhsa_dx10_clamp 1
		.amdhsa_ieee_mode 1
		.amdhsa_fp16_overflow 0
		.amdhsa_workgroup_processor_mode 1
		.amdhsa_memory_ordered 1
		.amdhsa_forward_progress 1
		.amdhsa_shared_vgpr_count 0
		.amdhsa_exception_fp_ieee_invalid_op 0
		.amdhsa_exception_fp_denorm_src 0
		.amdhsa_exception_fp_ieee_div_zero 0
		.amdhsa_exception_fp_ieee_overflow 0
		.amdhsa_exception_fp_ieee_underflow 0
		.amdhsa_exception_fp_ieee_inexact 0
		.amdhsa_exception_int_div_zero 0
	.end_amdhsa_kernel
	.section	.text._Z12rdsmh_kernelIdEvPKT_PS0_S0_,"axG",@progbits,_Z12rdsmh_kernelIdEvPKT_PS0_S0_,comdat
.Lfunc_end28:
	.size	_Z12rdsmh_kernelIdEvPKT_PS0_S0_, .Lfunc_end28-_Z12rdsmh_kernelIdEvPKT_PS0_S0_
                                        ; -- End function
	.set _Z12rdsmh_kernelIdEvPKT_PS0_S0_.num_vgpr, 67
	.set _Z12rdsmh_kernelIdEvPKT_PS0_S0_.num_agpr, 0
	.set _Z12rdsmh_kernelIdEvPKT_PS0_S0_.numbered_sgpr, 64
	.set _Z12rdsmh_kernelIdEvPKT_PS0_S0_.num_named_barrier, 0
	.set _Z12rdsmh_kernelIdEvPKT_PS0_S0_.private_seg_size, 0
	.set _Z12rdsmh_kernelIdEvPKT_PS0_S0_.uses_vcc, 1
	.set _Z12rdsmh_kernelIdEvPKT_PS0_S0_.uses_flat_scratch, 0
	.set _Z12rdsmh_kernelIdEvPKT_PS0_S0_.has_dyn_sized_stack, 0
	.set _Z12rdsmh_kernelIdEvPKT_PS0_S0_.has_recursion, 0
	.set _Z12rdsmh_kernelIdEvPKT_PS0_S0_.has_indirect_call, 0
	.section	.AMDGPU.csdata,"",@progbits
; Kernel info:
; codeLenInByte = 24472
; TotalNumSgprs: 66
; NumVgprs: 67
; ScratchSize: 0
; MemoryBound: 0
; FloatMode: 240
; IeeeMode: 1
; LDSByteSize: 0 bytes/workgroup (compile time only)
; SGPRBlocks: 0
; VGPRBlocks: 8
; NumSGPRsForWavesPerEU: 66
; NumVGPRsForWavesPerEU: 67
; Occupancy: 12
; WaveLimiterHint : 0
; COMPUTE_PGM_RSRC2:SCRATCH_EN: 0
; COMPUTE_PGM_RSRC2:USER_SGPR: 6
; COMPUTE_PGM_RSRC2:TRAP_HANDLER: 0
; COMPUTE_PGM_RSRC2:TGID_X_EN: 1
; COMPUTE_PGM_RSRC2:TGID_Y_EN: 0
; COMPUTE_PGM_RSRC2:TGID_Z_EN: 0
; COMPUTE_PGM_RSRC2:TIDIG_COMP_CNT: 0
	.section	.text._Z7gr_baseIdEvPKT_S2_S2_PS0_S0_S0_,"axG",@progbits,_Z7gr_baseIdEvPKT_S2_S2_PS0_S0_S0_,comdat
	.protected	_Z7gr_baseIdEvPKT_S2_S2_PS0_S0_S0_ ; -- Begin function _Z7gr_baseIdEvPKT_S2_S2_PS0_S0_S0_
	.globl	_Z7gr_baseIdEvPKT_S2_S2_PS0_S0_S0_
	.p2align	8
	.type	_Z7gr_baseIdEvPKT_S2_S2_PS0_S0_S0_,@function
_Z7gr_baseIdEvPKT_S2_S2_PS0_S0_S0_:     ; @_Z7gr_baseIdEvPKT_S2_S2_PS0_S0_S0_
; %bb.0:
	s_clause 0x2
	s_load_dword s0, s[4:5], 0x3c
	s_load_dwordx8 s[8:15], s[4:5], 0x0
	s_load_dword s7, s[4:5], 0x30
	s_mov_b32 s18, 0xcbf5178c
	s_mov_b32 s19, 0x3fac6b93
	;; [unrolled: 1-line block ×17, first 2 shown]
	s_waitcnt lgkmcnt(0)
	s_and_b32 s16, s0, 0xffff
	s_load_dwordx4 s[0:3], s[4:5], 0x20
	v_mad_u64_u32 v[0:1], null, s6, s16, v[0:1]
	v_mov_b32_e32 v1, 0
	s_mov_b32 s4, 0xe83f553c
	s_mov_b32 s5, 0x3fdfbf39
	s_mul_i32 s33, s7, s16
	s_mov_b32 s6, 0xe8c8c59b
	s_mov_b32 s7, 0x3fefbf39
	v_lshlrev_b64 v[4:5], 3, v[0:1]
	v_add_nc_u32_e32 v0, s33, v0
	s_mov_b32 s16, 0xc7228985
	s_mov_b32 s17, 0x3fae1ac6
	;; [unrolled: 1-line block ×4, first 2 shown]
	v_add_co_u32 v2, vcc_lo, s12, v4
	v_add_co_ci_u32_e64 v3, null, s13, v5, vcc_lo
	v_lshlrev_b64 v[8:9], 3, v[0:1]
	v_add_co_u32 v10, vcc_lo, s10, v4
	global_load_dwordx2 v[2:3], v[2:3], off
	v_add_co_ci_u32_e64 v11, null, s11, v5, vcc_lo
	v_add_co_u32 v12, vcc_lo, s8, v4
	v_add_co_ci_u32_e64 v13, null, s9, v5, vcc_lo
	v_add_co_u32 v4, vcc_lo, s14, v4
	;; [unrolled: 2-line block ×3, first 2 shown]
	v_add_co_ci_u32_e64 v15, null, s13, v9, vcc_lo
	global_load_dwordx2 v[18:19], v[10:11], off
	global_load_dwordx2 v[10:11], v[12:13], off
	v_add_nc_u32_e32 v0, s33, v0
	s_mov_b32 s8, 0x506598ed
	s_mov_b32 s9, 0x3fb00027
	;; [unrolled: 1-line block ×13, first 2 shown]
	s_waitcnt vmcnt(2)
	v_mul_f64 v[6:7], v[2:3], s[4:5]
	v_fma_f64 v[2:3], v[2:3], s[4:5], 0
	s_mov_b32 s4, 0x77603fce
	s_mov_b32 s5, 0x3f98ee58
	s_waitcnt vmcnt(1) lgkmcnt(0)
	v_mul_f64 v[18:19], s[0:1], v[18:19]
	s_brev_b32 s0, 12
	s_mov_b32 s1, 0x4193d2c6
	s_waitcnt vmcnt(0)
	v_mul_f64 v[10:11], s[2:3], v[10:11]
	global_store_dwordx2 v[4:5], v[6:7], off
	global_load_dwordx2 v[24:25], v[14:15], off
	v_lshlrev_b64 v[14:15], 3, v[0:1]
	v_add_co_u32 v6, vcc_lo, s14, v8
	v_add_co_ci_u32_e64 v7, null, s15, v9, vcc_lo
	v_add_nc_u32_e32 v0, s33, v0
	v_add_co_u32 v8, vcc_lo, s12, v14
	v_add_co_ci_u32_e64 v9, null, s13, v15, vcc_lo
	v_add_co_u32 v14, vcc_lo, s14, v14
	v_add_co_ci_u32_e64 v15, null, s15, v15, vcc_lo
	s_waitcnt vmcnt(0)
	v_mul_f64 v[12:13], v[24:25], s[6:7]
	v_fma_f64 v[2:3], v[24:25], s[6:7], v[2:3]
	s_mov_b32 s6, 0x3a4aeae5
	s_mov_b32 s7, 0x3f985578
	global_store_dwordx2 v[6:7], v[12:13], off
	global_load_dwordx2 v[26:27], v[8:9], off
	v_lshlrev_b64 v[12:13], 3, v[0:1]
	v_add_nc_u32_e32 v0, s33, v0
	v_add_co_u32 v16, vcc_lo, s12, v12
	v_add_co_ci_u32_e64 v17, null, s13, v13, vcc_lo
	s_waitcnt vmcnt(0)
	v_mul_f64 v[8:9], v[26:27], s[8:9]
	v_fma_f64 v[2:3], v[26:27], s[8:9], v[2:3]
	s_mov_b32 s8, 0x609af71c
	s_mov_b32 s9, 0x3fa246e7
	global_store_dwordx2 v[14:15], v[8:9], off
	global_load_dwordx2 v[28:29], v[16:17], off
	v_lshlrev_b64 v[16:17], 3, v[0:1]
	v_add_co_u32 v8, vcc_lo, s14, v12
	v_add_co_ci_u32_e64 v9, null, s15, v13, vcc_lo
	v_add_nc_u32_e32 v0, s33, v0
	v_add_co_u32 v12, vcc_lo, s12, v16
	v_add_co_ci_u32_e64 v13, null, s13, v17, vcc_lo
	v_add_co_u32 v16, vcc_lo, s14, v16
	v_add_co_ci_u32_e64 v17, null, s15, v17, vcc_lo
	s_waitcnt vmcnt(0)
	v_mul_f64 v[14:15], v[28:29], s[10:11]
	v_fma_f64 v[2:3], v[28:29], s[10:11], v[2:3]
	global_store_dwordx2 v[8:9], v[14:15], off
	global_load_dwordx2 v[30:31], v[12:13], off
	v_lshlrev_b64 v[14:15], 3, v[0:1]
	v_add_nc_u32_e32 v0, s33, v0
	v_add_co_u32 v20, vcc_lo, s12, v14
	v_add_co_ci_u32_e64 v21, null, s13, v15, vcc_lo
	s_waitcnt vmcnt(0)
	v_mul_f64 v[12:13], v[30:31], s[16:17]
	v_fma_f64 v[2:3], v[30:31], s[16:17], v[2:3]
	global_store_dwordx2 v[16:17], v[12:13], off
	global_load_dwordx2 v[32:33], v[20:21], off
	v_lshlrev_b64 v[20:21], 3, v[0:1]
	v_add_co_u32 v12, vcc_lo, s14, v14
	v_add_co_ci_u32_e64 v13, null, s15, v15, vcc_lo
	v_add_nc_u32_e32 v0, s33, v0
	v_add_co_u32 v14, vcc_lo, s12, v20
	v_add_co_ci_u32_e64 v15, null, s13, v21, vcc_lo
	v_lshlrev_b64 v[22:23], 3, v[0:1]
	v_add_nc_u32_e32 v0, s33, v0
	v_lshlrev_b64 v[38:39], 3, v[0:1]
	v_add_nc_u32_e32 v0, s33, v0
	s_waitcnt vmcnt(0)
	v_mul_f64 v[16:17], v[32:33], s[18:19]
	v_fma_f64 v[2:3], v[32:33], s[18:19], v[2:3]
	global_store_dwordx2 v[12:13], v[16:17], off
	global_load_dwordx2 v[34:35], v[14:15], off
	v_add_co_u32 v14, vcc_lo, s14, v20
	v_add_co_ci_u32_e64 v15, null, s15, v21, vcc_lo
	v_add_co_u32 v20, vcc_lo, s12, v22
	v_add_co_ci_u32_e64 v21, null, s13, v23, vcc_lo
	s_waitcnt vmcnt(0)
	v_mul_f64 v[16:17], v[34:35], s[20:21]
	v_fma_f64 v[2:3], v[34:35], s[20:21], v[2:3]
	global_store_dwordx2 v[14:15], v[16:17], off
	global_load_dwordx2 v[36:37], v[20:21], off
	v_add_co_u32 v16, vcc_lo, s14, v22
	v_add_co_ci_u32_e64 v17, null, s15, v23, vcc_lo
	v_add_co_u32 v22, vcc_lo, s12, v38
	v_add_co_ci_u32_e64 v23, null, s13, v39, vcc_lo
	;; [unrolled: 2-line block ×3, first 2 shown]
	s_waitcnt vmcnt(0)
	v_mul_f64 v[20:21], v[36:37], s[22:23]
	v_fma_f64 v[2:3], v[36:37], s[22:23], v[2:3]
	global_store_dwordx2 v[16:17], v[20:21], off
	global_load_dwordx2 v[40:41], v[22:23], off
	v_lshlrev_b64 v[22:23], 3, v[0:1]
	v_add_nc_u32_e32 v0, s33, v0
	v_lshlrev_b64 v[44:45], 3, v[0:1]
	v_add_co_u32 v42, vcc_lo, s12, v22
	v_add_co_ci_u32_e64 v43, null, s13, v23, vcc_lo
	v_add_nc_u32_e32 v0, s33, v0
	v_lshlrev_b64 v[48:49], 3, v[0:1]
	v_add_nc_u32_e32 v0, s33, v0
	v_lshlrev_b64 v[50:51], 3, v[0:1]
	;; [unrolled: 2-line block ×7, first 2 shown]
	v_add_nc_u32_e32 v0, s33, v0
	s_waitcnt vmcnt(0)
	v_mul_f64 v[20:21], v[40:41], s[24:25]
	v_fma_f64 v[2:3], v[40:41], s[24:25], v[2:3]
	global_store_dwordx2 v[38:39], v[20:21], off
	global_load_dwordx2 v[38:39], v[42:43], off
	v_add_co_u32 v20, vcc_lo, s14, v22
	v_add_co_ci_u32_e64 v21, null, s15, v23, vcc_lo
	v_add_co_u32 v22, vcc_lo, s12, v44
	v_add_co_ci_u32_e64 v23, null, s13, v45, vcc_lo
	s_waitcnt vmcnt(0)
	v_mul_f64 v[42:43], v[38:39], s[26:27]
	v_fma_f64 v[2:3], v[38:39], s[26:27], v[2:3]
	global_store_dwordx2 v[20:21], v[42:43], off
	global_load_dwordx2 v[42:43], v[22:23], off
	v_add_co_u32 v22, vcc_lo, s14, v44
	v_add_co_ci_u32_e64 v23, null, s15, v45, vcc_lo
	v_add_co_u32 v44, vcc_lo, s12, v48
	v_add_co_ci_u32_e64 v45, null, s13, v49, vcc_lo
	;; [unrolled: 2-line block ×15, first 2 shown]
	s_waitcnt vmcnt(0)
	v_mul_f64 v[46:47], v[42:43], s[28:29]
	v_fma_f64 v[2:3], v[42:43], s[28:29], v[2:3]
	global_store_dwordx2 v[22:23], v[46:47], off
	global_load_dwordx2 v[44:45], v[44:45], off
	s_waitcnt vmcnt(0)
	v_mul_f64 v[46:47], v[44:45], s[30:31]
	v_fma_f64 v[2:3], v[44:45], s[30:31], v[2:3]
	global_store_dwordx2 v[48:49], v[46:47], off
	global_load_dwordx2 v[46:47], v[52:53], off
	s_waitcnt vmcnt(0)
	v_mul_f64 v[52:53], v[46:47], s[34:35]
	v_fma_f64 v[2:3], v[46:47], s[34:35], v[2:3]
	global_store_dwordx2 v[50:51], v[52:53], off
	global_load_dwordx2 v[52:53], v[56:57], off
	s_waitcnt vmcnt(0)
	v_mul_f64 v[56:57], v[52:53], s[36:37]
	v_fma_f64 v[2:3], v[52:53], s[36:37], v[2:3]
	global_store_dwordx2 v[54:55], v[56:57], off
	global_load_dwordx2 v[56:57], v[60:61], off
	s_waitcnt vmcnt(0)
	v_mul_f64 v[60:61], v[56:57], s[38:39]
	v_fma_f64 v[2:3], v[56:57], s[38:39], v[2:3]
	global_store_dwordx2 v[58:59], v[60:61], off
	global_load_dwordx2 v[60:61], v[64:65], off
	s_waitcnt vmcnt(0)
	v_mul_f64 v[64:65], v[60:61], s[40:41]
	v_fma_f64 v[2:3], v[60:61], s[40:41], v[2:3]
	global_store_dwordx2 v[62:63], v[64:65], off
	global_load_dwordx2 v[64:65], v[68:69], off
	s_waitcnt vmcnt(0)
	v_mul_f64 v[68:69], v[64:65], s[42:43]
	v_fma_f64 v[2:3], v[64:65], s[42:43], v[2:3]
	global_store_dwordx2 v[66:67], v[68:69], off
	global_load_dwordx2 v[66:67], v[72:73], off
	v_lshlrev_b64 v[72:73], 3, v[0:1]
	v_add_nc_u32_e32 v0, s33, v0
	v_lshlrev_b64 v[24:25], 3, v[0:1]
	v_add_co_u32 v74, vcc_lo, s12, v72
	v_add_co_ci_u32_e64 v75, null, s13, v73, vcc_lo
	v_add_co_u32 v72, vcc_lo, s14, v72
	v_add_co_ci_u32_e64 v73, null, s15, v73, vcc_lo
	v_add_nc_u32_e32 v0, s33, v0
	v_lshlrev_b64 v[28:29], 3, v[0:1]
	v_add_nc_u32_e32 v0, s33, v0
	v_lshlrev_b64 v[32:33], 3, v[0:1]
	s_waitcnt vmcnt(0)
	v_mul_f64 v[68:69], v[66:67], s[44:45]
	v_fma_f64 v[2:3], v[66:67], s[44:45], v[2:3]
	global_store_dwordx2 v[70:71], v[68:69], off
	global_load_dwordx2 v[68:69], v[74:75], off
	s_waitcnt vmcnt(0)
	v_mul_f64 v[74:75], v[68:69], s[46:47]
	v_fma_f64 v[2:3], v[68:69], s[46:47], v[2:3]
	global_store_dwordx2 v[72:73], v[74:75], off
	v_add_co_u32 v74, vcc_lo, s12, v24
	v_add_co_ci_u32_e64 v75, null, s13, v25, vcc_lo
	v_add_co_u32 v24, vcc_lo, s14, v24
	v_add_co_ci_u32_e64 v25, null, s15, v25, vcc_lo
	global_load_dwordx2 v[74:75], v[74:75], off
	s_waitcnt vmcnt(0)
	v_mul_f64 v[26:27], v[74:75], s[4:5]
	v_fma_f64 v[2:3], v[74:75], s[4:5], v[2:3]
	global_store_dwordx2 v[24:25], v[26:27], off
	v_add_co_u32 v26, vcc_lo, s12, v28
	v_add_co_ci_u32_e64 v27, null, s13, v29, vcc_lo
	v_add_co_u32 v28, vcc_lo, s14, v28
	v_add_co_ci_u32_e64 v29, null, s15, v29, vcc_lo
	;; [unrolled: 9-line block ×3, first 2 shown]
	global_load_dwordx2 v[30:31], v[30:31], off
	s_waitcnt vmcnt(0)
	v_mul_f64 v[34:35], v[30:31], s[8:9]
	v_fma_f64 v[2:3], v[30:31], s[8:9], v[2:3]
	global_store_dwordx2 v[32:33], v[34:35], off
	global_load_dwordx2 v[34:35], v[4:5], off
	v_mul_f64 v[2:3], v[18:19], v[2:3]
	v_mul_f64 v[2:3], v[2:3], s[0:1]
	v_div_scale_f64 v[18:19], null, v[2:3], v[2:3], 1.0
	v_rcp_f64_e32 v[26:27], v[18:19]
	v_fma_f64 v[30:31], -v[18:19], v[26:27], 1.0
	v_fma_f64 v[26:27], v[26:27], v[30:31], v[26:27]
	v_fma_f64 v[30:31], -v[18:19], v[26:27], 1.0
	v_fma_f64 v[26:27], v[26:27], v[30:31], v[26:27]
	v_div_scale_f64 v[30:31], vcc_lo, 1.0, v[2:3], 1.0
	v_mul_f64 v[36:37], v[30:31], v[26:27]
	v_fma_f64 v[18:19], -v[18:19], v[36:37], v[30:31]
	v_div_fmas_f64 v[18:19], v[18:19], v[26:27], v[36:37]
	v_div_fixup_f64 v[2:3], v[18:19], v[2:3], 1.0
	v_mul_f64 v[2:3], v[10:11], v[2:3]
	s_waitcnt vmcnt(0)
	v_max_f64 v[18:19], v[34:35], v[34:35]
	v_max_f64 v[10:11], 0x38100000, v[18:19]
	v_mul_f64 v[10:11], v[2:3], v[10:11]
	global_store_dwordx2 v[4:5], v[10:11], off
	global_load_dwordx2 v[4:5], v[6:7], off
	v_mad_u64_u32 v[10:11], null, 0xffffffed, s33, v[0:1]
	v_mov_b32_e32 v11, v1
	v_lshlrev_b64 v[18:19], 3, v[10:11]
	v_lshl_add_u32 v0, s33, 1, v10
	v_add_co_u32 v18, vcc_lo, s14, v18
	v_add_co_ci_u32_e64 v19, null, s15, v19, vcc_lo
	s_waitcnt vmcnt(0)
	v_max_f64 v[4:5], v[4:5], v[4:5]
	v_max_f64 v[4:5], 0x38100000, v[4:5]
	v_mul_f64 v[4:5], v[2:3], v[4:5]
	global_store_dwordx2 v[6:7], v[4:5], off
	global_load_dwordx2 v[4:5], v[18:19], off
	v_lshlrev_b64 v[6:7], 3, v[0:1]
	v_lshl_add_u32 v0, s33, 2, v0
	v_add_co_u32 v6, vcc_lo, s14, v6
	v_add_co_ci_u32_e64 v7, null, s15, v7, vcc_lo
	s_waitcnt vmcnt(0)
	v_max_f64 v[4:5], v[4:5], v[4:5]
	v_max_f64 v[4:5], 0x38100000, v[4:5]
	v_mul_f64 v[4:5], v[2:3], v[4:5]
	global_store_dwordx2 v[18:19], v[4:5], off
	global_load_dwordx2 v[4:5], v[8:9], off
	s_waitcnt vmcnt(0)
	v_max_f64 v[4:5], v[4:5], v[4:5]
	v_max_f64 v[4:5], 0x38100000, v[4:5]
	v_mul_f64 v[4:5], v[2:3], v[4:5]
	global_store_dwordx2 v[8:9], v[4:5], off
	global_load_dwordx2 v[4:5], v[6:7], off
	;; [unrolled: 6-line block ×3, first 2 shown]
	v_lshlrev_b64 v[6:7], 3, v[0:1]
	v_lshl_add_u32 v0, s33, 3, v0
	v_add_co_u32 v6, vcc_lo, s14, v6
	v_add_co_ci_u32_e64 v7, null, s15, v7, vcc_lo
	v_lshlrev_b64 v[0:1], 3, v[0:1]
	v_add_co_u32 v0, vcc_lo, s14, v0
	v_add_co_ci_u32_e64 v1, null, s15, v1, vcc_lo
	s_waitcnt vmcnt(0)
	v_max_f64 v[4:5], v[4:5], v[4:5]
	v_max_f64 v[4:5], 0x38100000, v[4:5]
	v_mul_f64 v[4:5], v[2:3], v[4:5]
	global_store_dwordx2 v[12:13], v[4:5], off
	global_load_dwordx2 v[4:5], v[14:15], off
	s_waitcnt vmcnt(0)
	v_max_f64 v[4:5], v[4:5], v[4:5]
	v_max_f64 v[4:5], 0x38100000, v[4:5]
	v_mul_f64 v[4:5], v[2:3], v[4:5]
	global_store_dwordx2 v[14:15], v[4:5], off
	global_load_dwordx2 v[4:5], v[16:17], off
	;; [unrolled: 6-line block ×16, first 2 shown]
	s_waitcnt vmcnt(0)
	v_max_f64 v[0:1], v[0:1], v[0:1]
	v_max_f64 v[0:1], 0x38100000, v[0:1]
	v_mul_f64 v[0:1], v[2:3], v[0:1]
	global_store_dwordx2 v[32:33], v[0:1], off
	s_endpgm
	.section	.rodata,"a",@progbits
	.p2align	6, 0x0
	.amdhsa_kernel _Z7gr_baseIdEvPKT_S2_S2_PS0_S0_S0_
		.amdhsa_group_segment_fixed_size 0
		.amdhsa_private_segment_fixed_size 0
		.amdhsa_kernarg_size 304
		.amdhsa_user_sgpr_count 6
		.amdhsa_user_sgpr_private_segment_buffer 1
		.amdhsa_user_sgpr_dispatch_ptr 0
		.amdhsa_user_sgpr_queue_ptr 0
		.amdhsa_user_sgpr_kernarg_segment_ptr 1
		.amdhsa_user_sgpr_dispatch_id 0
		.amdhsa_user_sgpr_flat_scratch_init 0
		.amdhsa_user_sgpr_private_segment_size 0
		.amdhsa_wavefront_size32 1
		.amdhsa_uses_dynamic_stack 0
		.amdhsa_system_sgpr_private_segment_wavefront_offset 0
		.amdhsa_system_sgpr_workgroup_id_x 1
		.amdhsa_system_sgpr_workgroup_id_y 0
		.amdhsa_system_sgpr_workgroup_id_z 0
		.amdhsa_system_sgpr_workgroup_info 0
		.amdhsa_system_vgpr_workitem_id 0
		.amdhsa_next_free_vgpr 76
		.amdhsa_next_free_sgpr 48
		.amdhsa_reserve_vcc 1
		.amdhsa_reserve_flat_scratch 0
		.amdhsa_float_round_mode_32 0
		.amdhsa_float_round_mode_16_64 0
		.amdhsa_float_denorm_mode_32 3
		.amdhsa_float_denorm_mode_16_64 3
		.amdhsa_dx10_clamp 1
		.amdhsa_ieee_mode 1
		.amdhsa_fp16_overflow 0
		.amdhsa_workgroup_processor_mode 1
		.amdhsa_memory_ordered 1
		.amdhsa_forward_progress 1
		.amdhsa_shared_vgpr_count 0
		.amdhsa_exception_fp_ieee_invalid_op 0
		.amdhsa_exception_fp_denorm_src 0
		.amdhsa_exception_fp_ieee_div_zero 0
		.amdhsa_exception_fp_ieee_overflow 0
		.amdhsa_exception_fp_ieee_underflow 0
		.amdhsa_exception_fp_ieee_inexact 0
		.amdhsa_exception_int_div_zero 0
	.end_amdhsa_kernel
	.section	.text._Z7gr_baseIdEvPKT_S2_S2_PS0_S0_S0_,"axG",@progbits,_Z7gr_baseIdEvPKT_S2_S2_PS0_S0_S0_,comdat
.Lfunc_end29:
	.size	_Z7gr_baseIdEvPKT_S2_S2_PS0_S0_S0_, .Lfunc_end29-_Z7gr_baseIdEvPKT_S2_S2_PS0_S0_S0_
                                        ; -- End function
	.set _Z7gr_baseIdEvPKT_S2_S2_PS0_S0_S0_.num_vgpr, 76
	.set _Z7gr_baseIdEvPKT_S2_S2_PS0_S0_S0_.num_agpr, 0
	.set _Z7gr_baseIdEvPKT_S2_S2_PS0_S0_S0_.numbered_sgpr, 48
	.set _Z7gr_baseIdEvPKT_S2_S2_PS0_S0_S0_.num_named_barrier, 0
	.set _Z7gr_baseIdEvPKT_S2_S2_PS0_S0_S0_.private_seg_size, 0
	.set _Z7gr_baseIdEvPKT_S2_S2_PS0_S0_S0_.uses_vcc, 1
	.set _Z7gr_baseIdEvPKT_S2_S2_PS0_S0_S0_.uses_flat_scratch, 0
	.set _Z7gr_baseIdEvPKT_S2_S2_PS0_S0_S0_.has_dyn_sized_stack, 0
	.set _Z7gr_baseIdEvPKT_S2_S2_PS0_S0_S0_.has_recursion, 0
	.set _Z7gr_baseIdEvPKT_S2_S2_PS0_S0_S0_.has_indirect_call, 0
	.section	.AMDGPU.csdata,"",@progbits
; Kernel info:
; codeLenInByte = 3560
; TotalNumSgprs: 50
; NumVgprs: 76
; ScratchSize: 0
; MemoryBound: 1
; FloatMode: 240
; IeeeMode: 1
; LDSByteSize: 0 bytes/workgroup (compile time only)
; SGPRBlocks: 0
; VGPRBlocks: 9
; NumSGPRsForWavesPerEU: 50
; NumVGPRsForWavesPerEU: 76
; Occupancy: 12
; WaveLimiterHint : 1
; COMPUTE_PGM_RSRC2:SCRATCH_EN: 0
; COMPUTE_PGM_RSRC2:USER_SGPR: 6
; COMPUTE_PGM_RSRC2:TRAP_HANDLER: 0
; COMPUTE_PGM_RSRC2:TGID_X_EN: 1
; COMPUTE_PGM_RSRC2:TGID_Y_EN: 0
; COMPUTE_PGM_RSRC2:TGID_Z_EN: 0
; COMPUTE_PGM_RSRC2:TIDIG_COMP_CNT: 0
	.section	.text._Z12ratt2_kernelIdEvPKT_S2_PS0_S2_S0_,"axG",@progbits,_Z12ratt2_kernelIdEvPKT_S2_PS0_S2_S0_,comdat
	.protected	_Z12ratt2_kernelIdEvPKT_S2_PS0_S2_S0_ ; -- Begin function _Z12ratt2_kernelIdEvPKT_S2_PS0_S2_S0_
	.globl	_Z12ratt2_kernelIdEvPKT_S2_PS0_S2_S0_
	.p2align	8
	.type	_Z12ratt2_kernelIdEvPKT_S2_PS0_S2_S0_,@function
_Z12ratt2_kernelIdEvPKT_S2_PS0_S2_S0_:  ; @_Z12ratt2_kernelIdEvPKT_S2_PS0_S2_S0_
; %bb.0:
	s_clause 0x3
	s_load_dwordx8 s[8:15], s[4:5], 0x0
	s_load_dwordx2 s[0:1], s[4:5], 0x20
	s_load_dword s2, s[4:5], 0x28
	s_load_dword s3, s[4:5], 0x34
	s_waitcnt lgkmcnt(0)
	s_and_b32 s3, s3, 0xffff
	v_mad_u64_u32 v[0:1], null, s6, s3, v[0:1]
	v_mov_b32_e32 v1, 0
	s_mul_i32 s2, s2, s3
	v_lshlrev_b64 v[2:3], 3, v[0:1]
	v_add_co_u32 v4, vcc_lo, s8, v2
	v_add_co_ci_u32_e64 v5, null, s9, v3, vcc_lo
	global_load_dwordx2 v[4:5], v[4:5], off
	s_waitcnt vmcnt(0)
	v_mul_f64 v[4:5], s[0:1], v[4:5]
	s_brev_b32 s0, 12
	s_mov_b32 s1, 0x4193d2c6
	v_mul_f64 v[4:5], v[4:5], s[0:1]
	s_lshl_b32 s0, s2, 1
	v_div_scale_f64 v[6:7], null, v[4:5], v[4:5], 1.0
	v_rcp_f64_e32 v[8:9], v[6:7]
	v_fma_f64 v[10:11], -v[6:7], v[8:9], 1.0
	v_fma_f64 v[8:9], v[8:9], v[10:11], v[8:9]
	v_fma_f64 v[10:11], -v[6:7], v[8:9], 1.0
	v_fma_f64 v[8:9], v[8:9], v[10:11], v[8:9]
	v_div_scale_f64 v[10:11], vcc_lo, 1.0, v[4:5], 1.0
	v_mul_f64 v[12:13], v[10:11], v[8:9]
	v_fma_f64 v[6:7], -v[6:7], v[12:13], v[10:11]
	v_div_fmas_f64 v[6:7], v[6:7], v[8:9], v[12:13]
	v_div_fixup_f64 v[4:5], v[6:7], v[4:5], 1.0
	v_mul_f64 v[14:15], 0x412eec04, v[4:5]
	v_add_nc_u32_e32 v4, s2, v0
	v_mov_b32_e32 v5, v1
	v_add_nc_u32_e32 v0, s0, v0
	v_lshlrev_b64 v[12:13], 3, v[4:5]
	v_add_nc_u32_e32 v4, s0, v4
	v_lshlrev_b64 v[30:31], 3, v[0:1]
	v_add_nc_u32_e32 v0, s0, v0
	s_mov_b32 s0, 0x4357691b
	s_mov_b32 s1, 0x479e17b8
	v_lshlrev_b64 v[28:29], 3, v[4:5]
	v_add_co_u32 v16, vcc_lo, s14, v12
	v_lshlrev_b64 v[32:33], 3, v[0:1]
	v_add_co_ci_u32_e64 v17, null, s15, v13, vcc_lo
	v_add_co_u32 v6, vcc_lo, s14, v28
	v_add_co_ci_u32_e64 v7, null, s15, v29, vcc_lo
	v_add_co_u32 v8, vcc_lo, s14, v30
	;; [unrolled: 2-line block ×3, first 2 shown]
	v_add_co_ci_u32_e64 v11, null, s15, v33, vcc_lo
	s_clause 0x5
	global_load_dwordx2 v[18:19], v[16:17], off
	global_load_dwordx2 v[20:21], v[6:7], off
	;; [unrolled: 1-line block ×6, first 2 shown]
	v_add_nc_u32_e32 v0, s2, v0
	s_clause 0x1
	global_load_dwordx2 v[16:17], v[16:17], off
	global_load_dwordx2 v[8:9], v[8:9], off
	s_waitcnt vmcnt(6)
	v_mul_f64 v[4:5], v[18:19], v[20:21]
	s_waitcnt vmcnt(4)
	v_mul_f64 v[22:23], v[24:25], v[26:27]
	v_div_scale_f64 v[34:35], null, v[22:23], v[22:23], 1.0
	v_rcp_f64_e32 v[36:37], v[34:35]
	v_fma_f64 v[38:39], -v[34:35], v[36:37], 1.0
	v_fma_f64 v[36:37], v[36:37], v[38:39], v[36:37]
	v_fma_f64 v[38:39], -v[34:35], v[36:37], 1.0
	v_fma_f64 v[36:37], v[36:37], v[38:39], v[36:37]
	v_div_scale_f64 v[38:39], vcc_lo, 1.0, v[22:23], 1.0
	v_mul_f64 v[40:41], v[38:39], v[36:37]
	v_fma_f64 v[34:35], -v[34:35], v[40:41], v[38:39]
	v_div_fmas_f64 v[34:35], v[34:35], v[36:37], v[40:41]
	v_mul_f64 v[36:37], v[18:19], v[26:27]
	v_div_fixup_f64 v[22:23], v[34:35], v[22:23], 1.0
	v_add_co_u32 v34, vcc_lo, s10, v2
	v_add_co_ci_u32_e64 v35, null, s11, v3, vcc_lo
	v_div_scale_f64 v[38:39], null, v[36:37], v[36:37], 1.0
	global_load_dwordx2 v[34:35], v[34:35], off
	v_mul_f64 v[22:23], v[4:5], v[22:23]
	v_rcp_f64_e32 v[40:41], v[38:39]
	v_min_f64 v[22:23], v[22:23], s[0:1]
	v_fma_f64 v[42:43], -v[38:39], v[40:41], 1.0
	v_fma_f64 v[40:41], v[40:41], v[42:43], v[40:41]
	v_fma_f64 v[42:43], -v[38:39], v[40:41], 1.0
	v_fma_f64 v[40:41], v[40:41], v[42:43], v[40:41]
	s_waitcnt vmcnt(0)
	v_mul_f64 v[22:23], v[34:35], v[22:23]
	v_add_co_u32 v34, vcc_lo, s12, v2
	v_add_co_ci_u32_e64 v35, null, s13, v3, vcc_lo
	v_add_co_u32 v2, vcc_lo, s14, v2
	v_add_co_ci_u32_e64 v3, null, s15, v3, vcc_lo
	v_div_scale_f64 v[42:43], vcc_lo, 1.0, v[36:37], 1.0
	global_store_dwordx2 v[34:35], v[22:23], off
	s_clause 0x1
	global_load_dwordx2 v[22:23], v[2:3], off
	global_load_dwordx2 v[2:3], v[2:3], off
	v_mul_f64 v[44:45], v[42:43], v[40:41]
	v_fma_f64 v[38:39], -v[38:39], v[44:45], v[42:43]
	v_div_fmas_f64 v[38:39], v[38:39], v[40:41], v[44:45]
	v_div_fixup_f64 v[38:39], v[38:39], v[36:37], 1.0
	s_waitcnt vmcnt(1)
	v_mul_f64 v[34:35], v[24:25], v[22:23]
	v_mul_f64 v[34:35], v[38:39], v[34:35]
	v_add_co_u32 v38, vcc_lo, s10, v12
	v_add_co_ci_u32_e64 v39, null, s11, v13, vcc_lo
	v_add_co_u32 v12, vcc_lo, s12, v12
	v_add_co_ci_u32_e64 v13, null, s13, v13, vcc_lo
	global_load_dwordx2 v[38:39], v[38:39], off
	v_min_f64 v[34:35], v[34:35], s[0:1]
	s_waitcnt vmcnt(0)
	v_mul_f64 v[34:35], v[38:39], v[34:35]
	v_lshlrev_b64 v[38:39], 3, v[0:1]
	v_add_nc_u32_e32 v0, s2, v0
	global_store_dwordx2 v[12:13], v[34:35], off
	v_add_co_u32 v12, vcc_lo, s14, v38
	v_add_co_ci_u32_e64 v13, null, s15, v39, vcc_lo
	v_mul_f64 v[34:35], v[26:27], v[22:23]
	global_load_dwordx2 v[40:41], v[12:13], off
	s_waitcnt vmcnt(0)
	v_mul_f64 v[42:43], v[18:19], v[40:41]
	v_div_scale_f64 v[44:45], null, v[42:43], v[42:43], 1.0
	v_rcp_f64_e32 v[46:47], v[44:45]
	v_fma_f64 v[48:49], -v[44:45], v[46:47], 1.0
	v_fma_f64 v[46:47], v[46:47], v[48:49], v[46:47]
	v_fma_f64 v[48:49], -v[44:45], v[46:47], 1.0
	v_fma_f64 v[46:47], v[46:47], v[48:49], v[46:47]
	v_div_scale_f64 v[48:49], vcc_lo, 1.0, v[42:43], 1.0
	v_mul_f64 v[50:51], v[48:49], v[46:47]
	v_fma_f64 v[44:45], -v[44:45], v[50:51], v[48:49]
	v_div_fmas_f64 v[44:45], v[44:45], v[46:47], v[50:51]
	v_div_fixup_f64 v[42:43], v[44:45], v[42:43], 1.0
	v_mul_f64 v[34:35], v[34:35], v[42:43]
	v_add_co_u32 v42, vcc_lo, s10, v30
	v_add_co_ci_u32_e64 v43, null, s11, v31, vcc_lo
	v_add_co_u32 v30, vcc_lo, s12, v30
	v_add_co_ci_u32_e64 v31, null, s13, v31, vcc_lo
	global_load_dwordx2 v[42:43], v[42:43], off
	v_min_f64 v[34:35], v[34:35], s[0:1]
	s_waitcnt vmcnt(0)
	v_mul_f64 v[34:35], v[42:43], v[34:35]
	global_store_dwordx2 v[30:31], v[34:35], off
	v_mul_f64 v[34:35], v[24:25], v[40:41]
	v_mul_f64 v[30:31], v[26:27], v[26:27]
	v_div_scale_f64 v[42:43], null, v[34:35], v[34:35], 1.0
	v_rcp_f64_e32 v[44:45], v[42:43]
	v_fma_f64 v[46:47], -v[42:43], v[44:45], 1.0
	v_fma_f64 v[44:45], v[44:45], v[46:47], v[44:45]
	v_fma_f64 v[46:47], -v[42:43], v[44:45], 1.0
	v_fma_f64 v[44:45], v[44:45], v[46:47], v[44:45]
	v_div_scale_f64 v[46:47], vcc_lo, 1.0, v[34:35], 1.0
	v_mul_f64 v[48:49], v[46:47], v[44:45]
	v_fma_f64 v[42:43], -v[42:43], v[48:49], v[46:47]
	v_div_fmas_f64 v[42:43], v[42:43], v[44:45], v[48:49]
	v_add_co_u32 v44, vcc_lo, s10, v28
	v_add_co_ci_u32_e64 v45, null, s11, v29, vcc_lo
	v_add_co_u32 v28, vcc_lo, s12, v28
	v_add_co_ci_u32_e64 v29, null, s13, v29, vcc_lo
	global_load_dwordx2 v[44:45], v[44:45], off
	v_div_fixup_f64 v[34:35], v[42:43], v[34:35], 1.0
	v_mul_f64 v[42:43], v[30:31], v[34:35]
	v_min_f64 v[42:43], v[42:43], s[0:1]
	s_waitcnt vmcnt(0)
	v_mul_f64 v[42:43], v[44:45], v[42:43]
	global_store_dwordx2 v[28:29], v[42:43], off
	v_div_scale_f64 v[42:43], null, v[22:23], v[22:23], 1.0
	v_mul_f64 v[28:29], v[18:19], v[18:19]
	v_rcp_f64_e32 v[44:45], v[42:43]
	v_mul_f64 v[28:29], v[28:29], v[14:15]
	v_fma_f64 v[46:47], -v[42:43], v[44:45], 1.0
	v_fma_f64 v[44:45], v[44:45], v[46:47], v[44:45]
	v_fma_f64 v[46:47], -v[42:43], v[44:45], 1.0
	v_fma_f64 v[44:45], v[44:45], v[46:47], v[44:45]
	v_div_scale_f64 v[46:47], vcc_lo, 1.0, v[22:23], 1.0
	v_mul_f64 v[48:49], v[46:47], v[44:45]
	v_fma_f64 v[42:43], -v[42:43], v[48:49], v[46:47]
	v_div_fmas_f64 v[42:43], v[42:43], v[44:45], v[48:49]
	v_div_fixup_f64 v[42:43], v[42:43], v[22:23], 1.0
	v_mul_f64 v[28:29], v[28:29], v[42:43]
	v_add_co_u32 v42, vcc_lo, s10, v32
	v_add_co_ci_u32_e64 v43, null, s11, v33, vcc_lo
	v_add_co_u32 v32, vcc_lo, s12, v32
	v_add_co_ci_u32_e64 v33, null, s13, v33, vcc_lo
	global_load_dwordx2 v[42:43], v[42:43], off
	v_min_f64 v[28:29], v[28:29], s[0:1]
	s_waitcnt vmcnt(0)
	v_mul_f64 v[42:43], v[28:29], v[42:43]
	global_store_dwordx2 v[32:33], v[42:43], off
	v_add_co_u32 v32, vcc_lo, s10, v38
	v_add_co_ci_u32_e64 v33, null, s11, v39, vcc_lo
	v_add_co_u32 v38, vcc_lo, s12, v38
	v_add_co_ci_u32_e64 v39, null, s13, v39, vcc_lo
	global_load_dwordx2 v[32:33], v[32:33], off
	s_waitcnt vmcnt(0)
	v_mul_f64 v[32:33], v[28:29], v[32:33]
	global_store_dwordx2 v[38:39], v[32:33], off
	v_lshlrev_b64 v[32:33], 3, v[0:1]
	v_add_nc_u32_e32 v0, s2, v0
	v_add_co_u32 v38, vcc_lo, s10, v32
	v_add_co_ci_u32_e64 v39, null, s11, v33, vcc_lo
	v_add_co_u32 v42, vcc_lo, s12, v32
	v_add_co_ci_u32_e64 v43, null, s13, v33, vcc_lo
	global_load_dwordx2 v[38:39], v[38:39], off
	s_waitcnt vmcnt(0)
	v_mul_f64 v[38:39], v[28:29], v[38:39]
	global_store_dwordx2 v[42:43], v[38:39], off
	v_lshlrev_b64 v[38:39], 3, v[0:1]
	v_add_nc_u32_e32 v0, s2, v0
	v_add_co_u32 v42, vcc_lo, s10, v38
	v_add_co_ci_u32_e64 v43, null, s11, v39, vcc_lo
	global_load_dwordx2 v[42:43], v[42:43], off
	s_waitcnt vmcnt(0)
	v_mul_f64 v[28:29], v[28:29], v[42:43]
	v_add_co_u32 v42, vcc_lo, s12, v38
	v_add_co_ci_u32_e64 v43, null, s13, v39, vcc_lo
	global_store_dwordx2 v[42:43], v[28:29], off
	v_mul_f64 v[28:29], v[14:15], v[36:37]
	v_div_scale_f64 v[36:37], null, v[40:41], v[40:41], 1.0
	v_rcp_f64_e32 v[42:43], v[36:37]
	v_fma_f64 v[44:45], -v[36:37], v[42:43], 1.0
	v_fma_f64 v[42:43], v[42:43], v[44:45], v[42:43]
	v_fma_f64 v[44:45], -v[36:37], v[42:43], 1.0
	v_fma_f64 v[42:43], v[42:43], v[44:45], v[42:43]
	v_div_scale_f64 v[44:45], vcc_lo, 1.0, v[40:41], 1.0
	v_mul_f64 v[46:47], v[44:45], v[42:43]
	v_fma_f64 v[36:37], -v[36:37], v[46:47], v[44:45]
	v_div_fmas_f64 v[36:37], v[36:37], v[42:43], v[46:47]
	v_div_fixup_f64 v[36:37], v[36:37], v[40:41], 1.0
	v_mul_f64 v[28:29], v[28:29], v[36:37]
	v_lshlrev_b64 v[36:37], 3, v[0:1]
	v_add_nc_u32_e32 v0, s2, v0
	v_add_co_u32 v40, vcc_lo, s10, v36
	v_add_co_ci_u32_e64 v41, null, s11, v37, vcc_lo
	v_add_co_u32 v36, vcc_lo, s12, v36
	v_add_co_ci_u32_e64 v37, null, s13, v37, vcc_lo
	global_load_dwordx2 v[40:41], v[40:41], off
	v_min_f64 v[28:29], v[28:29], s[0:1]
	s_waitcnt vmcnt(0)
	v_mul_f64 v[28:29], v[28:29], v[40:41]
	global_store_dwordx2 v[36:37], v[28:29], off
	v_div_scale_f64 v[36:37], null, v[26:27], v[26:27], 1.0
	v_mul_f64 v[28:29], v[18:19], v[24:25]
	v_mul_f64 v[24:25], v[24:25], v[24:25]
	v_rcp_f64_e32 v[40:41], v[36:37]
	v_mul_f64 v[28:29], v[28:29], v[14:15]
	v_mul_f64 v[24:25], v[24:25], v[14:15]
	v_fma_f64 v[42:43], -v[36:37], v[40:41], 1.0
	v_fma_f64 v[40:41], v[40:41], v[42:43], v[40:41]
	v_fma_f64 v[42:43], -v[36:37], v[40:41], 1.0
	v_fma_f64 v[40:41], v[40:41], v[42:43], v[40:41]
	v_div_scale_f64 v[42:43], vcc_lo, 1.0, v[26:27], 1.0
	v_mul_f64 v[44:45], v[42:43], v[40:41]
	v_fma_f64 v[36:37], -v[36:37], v[44:45], v[42:43]
	v_div_fmas_f64 v[36:37], v[36:37], v[40:41], v[44:45]
	v_div_fixup_f64 v[26:27], v[36:37], v[26:27], 1.0
	v_mul_f64 v[26:27], v[28:29], v[26:27]
	v_lshlrev_b64 v[28:29], 3, v[0:1]
	v_add_nc_u32_e32 v0, s2, v0
	v_add_co_u32 v36, vcc_lo, s10, v28
	v_add_co_ci_u32_e64 v37, null, s11, v29, vcc_lo
	v_add_co_u32 v28, vcc_lo, s12, v28
	v_add_co_ci_u32_e64 v29, null, s13, v29, vcc_lo
	global_load_dwordx2 v[36:37], v[36:37], off
	v_min_f64 v[26:27], v[26:27], s[0:1]
	s_waitcnt vmcnt(0)
	v_mul_f64 v[26:27], v[26:27], v[36:37]
	global_store_dwordx2 v[28:29], v[26:27], off
	v_div_scale_f64 v[26:27], null, v[20:21], v[20:21], 1.0
	v_rcp_f64_e32 v[28:29], v[26:27]
	v_fma_f64 v[36:37], -v[26:27], v[28:29], 1.0
	v_fma_f64 v[28:29], v[28:29], v[36:37], v[28:29]
	v_fma_f64 v[36:37], -v[26:27], v[28:29], 1.0
	v_fma_f64 v[28:29], v[28:29], v[36:37], v[28:29]
	v_div_scale_f64 v[36:37], vcc_lo, 1.0, v[20:21], 1.0
	v_mul_f64 v[40:41], v[36:37], v[28:29]
	v_fma_f64 v[26:27], -v[26:27], v[40:41], v[36:37]
	v_div_fmas_f64 v[26:27], v[26:27], v[28:29], v[40:41]
	v_div_fixup_f64 v[26:27], v[26:27], v[20:21], 1.0
	v_mul_f64 v[20:21], v[20:21], v[22:23]
	v_mul_f64 v[24:25], v[26:27], v[24:25]
	v_lshlrev_b64 v[26:27], 3, v[0:1]
	v_add_nc_u32_e32 v0, s2, v0
	v_div_scale_f64 v[22:23], null, v[20:21], v[20:21], 1.0
	v_add_co_u32 v28, vcc_lo, s10, v26
	v_add_co_ci_u32_e64 v29, null, s11, v27, vcc_lo
	v_add_co_u32 v26, vcc_lo, s12, v26
	v_add_co_ci_u32_e64 v27, null, s13, v27, vcc_lo
	global_load_dwordx2 v[28:29], v[28:29], off
	v_min_f64 v[24:25], v[24:25], s[0:1]
	s_waitcnt vmcnt(0)
	v_mul_f64 v[24:25], v[24:25], v[28:29]
	global_store_dwordx2 v[26:27], v[24:25], off
	v_mul_f64 v[24:25], v[4:5], v[14:15]
	v_add_co_u32 v4, vcc_lo, s14, v32
	v_add_co_ci_u32_e64 v5, null, s15, v33, vcc_lo
	global_load_dwordx2 v[4:5], v[4:5], off
	s_waitcnt vmcnt(0)
	v_div_scale_f64 v[26:27], null, v[4:5], v[4:5], 1.0
	v_mul_f64 v[18:19], v[18:19], v[4:5]
	v_mul_f64 v[8:9], v[8:9], v[4:5]
	;; [unrolled: 1-line block ×3, first 2 shown]
	v_rcp_f64_e32 v[28:29], v[26:27]
	v_fma_f64 v[32:33], -v[26:27], v[28:29], 1.0
	v_fma_f64 v[28:29], v[28:29], v[32:33], v[28:29]
	v_fma_f64 v[32:33], -v[26:27], v[28:29], 1.0
	v_fma_f64 v[28:29], v[28:29], v[32:33], v[28:29]
	v_div_scale_f64 v[32:33], vcc_lo, 1.0, v[4:5], 1.0
	v_mul_f64 v[36:37], v[32:33], v[28:29]
	v_fma_f64 v[26:27], -v[26:27], v[36:37], v[32:33]
	v_div_fmas_f64 v[26:27], v[26:27], v[28:29], v[36:37]
	v_div_fixup_f64 v[26:27], v[26:27], v[4:5], 1.0
	v_mul_f64 v[24:25], v[24:25], v[26:27]
	v_lshlrev_b64 v[26:27], 3, v[0:1]
	v_add_nc_u32_e32 v0, s2, v0
	v_add_co_u32 v28, vcc_lo, s10, v26
	v_add_co_ci_u32_e64 v29, null, s11, v27, vcc_lo
	v_add_co_u32 v26, vcc_lo, s12, v26
	v_add_co_ci_u32_e64 v27, null, s13, v27, vcc_lo
	global_load_dwordx2 v[28:29], v[28:29], off
	v_min_f64 v[24:25], v[24:25], s[0:1]
	s_waitcnt vmcnt(0)
	v_mul_f64 v[28:29], v[28:29], v[24:25]
	global_store_dwordx2 v[26:27], v[28:29], off
	v_lshlrev_b64 v[26:27], 3, v[0:1]
	v_add_nc_u32_e32 v0, s2, v0
	v_add_co_u32 v28, vcc_lo, s10, v26
	v_add_co_ci_u32_e64 v29, null, s11, v27, vcc_lo
	v_add_co_u32 v26, vcc_lo, s12, v26
	v_add_co_ci_u32_e64 v27, null, s13, v27, vcc_lo
	global_load_dwordx2 v[28:29], v[28:29], off
	s_waitcnt vmcnt(0)
	v_mul_f64 v[28:29], v[28:29], v[24:25]
	global_store_dwordx2 v[26:27], v[28:29], off
	v_lshlrev_b64 v[26:27], 3, v[0:1]
	v_add_nc_u32_e32 v0, s2, v0
	v_add_co_u32 v28, vcc_lo, s10, v26
	v_add_co_ci_u32_e64 v29, null, s11, v27, vcc_lo
	v_add_co_u32 v26, vcc_lo, s12, v26
	v_add_co_ci_u32_e64 v27, null, s13, v27, vcc_lo
	global_load_dwordx2 v[28:29], v[28:29], off
	;; [unrolled: 10-line block ×3, first 2 shown]
	s_waitcnt vmcnt(0)
	v_mul_f64 v[24:25], v[24:25], v[28:29]
	global_store_dwordx2 v[26:27], v[24:25], off
	v_mul_f64 v[24:25], v[14:15], v[30:31]
	v_add_co_u32 v14, vcc_lo, s14, v38
	v_add_co_ci_u32_e64 v15, null, s15, v39, vcc_lo
	global_load_dwordx2 v[14:15], v[14:15], off
	s_waitcnt vmcnt(0)
	v_div_scale_f64 v[26:27], null, v[14:15], v[14:15], 1.0
	v_rcp_f64_e32 v[28:29], v[26:27]
	v_fma_f64 v[30:31], -v[26:27], v[28:29], 1.0
	v_fma_f64 v[28:29], v[28:29], v[30:31], v[28:29]
	v_fma_f64 v[30:31], -v[26:27], v[28:29], 1.0
	v_fma_f64 v[28:29], v[28:29], v[30:31], v[28:29]
	v_div_scale_f64 v[30:31], vcc_lo, 1.0, v[14:15], 1.0
	v_mul_f64 v[32:33], v[30:31], v[28:29]
	v_fma_f64 v[26:27], -v[26:27], v[32:33], v[30:31]
	v_div_fmas_f64 v[26:27], v[26:27], v[28:29], v[32:33]
	v_div_fixup_f64 v[26:27], v[26:27], v[14:15], 1.0
	v_mul_f64 v[24:25], v[24:25], v[26:27]
	v_lshlrev_b64 v[26:27], 3, v[0:1]
	v_add_nc_u32_e32 v0, s2, v0
	v_add_co_u32 v28, vcc_lo, s10, v26
	v_add_co_ci_u32_e64 v29, null, s11, v27, vcc_lo
	v_add_co_u32 v26, vcc_lo, s12, v26
	v_add_co_ci_u32_e64 v27, null, s13, v27, vcc_lo
	global_load_dwordx2 v[28:29], v[28:29], off
	v_min_f64 v[24:25], v[24:25], s[0:1]
	s_waitcnt vmcnt(0)
	v_mul_f64 v[24:25], v[28:29], v[24:25]
	global_store_dwordx2 v[26:27], v[24:25], off
	v_lshlrev_b64 v[26:27], 3, v[0:1]
	v_mul_f64 v[24:25], v[34:35], v[18:19]
	v_add_nc_u32_e32 v0, s2, v0
	v_add_co_u32 v28, vcc_lo, s10, v26
	v_add_co_ci_u32_e64 v29, null, s11, v27, vcc_lo
	v_add_co_u32 v26, vcc_lo, s12, v26
	v_add_co_ci_u32_e64 v27, null, s13, v27, vcc_lo
	global_load_dwordx2 v[28:29], v[28:29], off
	v_min_f64 v[24:25], v[24:25], s[0:1]
	s_waitcnt vmcnt(0)
	v_mul_f64 v[24:25], v[24:25], v[28:29]
	global_store_dwordx2 v[26:27], v[24:25], off
	v_rcp_f64_e32 v[24:25], v[22:23]
	v_fma_f64 v[26:27], -v[22:23], v[24:25], 1.0
	v_fma_f64 v[24:25], v[24:25], v[26:27], v[24:25]
	v_fma_f64 v[26:27], -v[22:23], v[24:25], 1.0
	v_fma_f64 v[24:25], v[24:25], v[26:27], v[24:25]
	v_div_scale_f64 v[26:27], vcc_lo, 1.0, v[20:21], 1.0
	v_mul_f64 v[28:29], v[26:27], v[24:25]
	v_fma_f64 v[22:23], -v[22:23], v[28:29], v[26:27]
	v_div_fmas_f64 v[22:23], v[22:23], v[24:25], v[28:29]
	v_div_fixup_f64 v[20:21], v[22:23], v[20:21], 1.0
	v_mul_f64 v[18:19], v[20:21], v[18:19]
	v_lshlrev_b64 v[20:21], 3, v[0:1]
	v_add_nc_u32_e32 v0, s2, v0
	v_add_co_u32 v22, vcc_lo, s10, v20
	v_add_co_ci_u32_e64 v23, null, s11, v21, vcc_lo
	v_add_co_u32 v20, vcc_lo, s12, v20
	v_add_co_ci_u32_e64 v21, null, s13, v21, vcc_lo
	global_load_dwordx2 v[22:23], v[22:23], off
	v_min_f64 v[18:19], v[18:19], s[0:1]
	s_waitcnt vmcnt(0)
	v_mul_f64 v[18:19], v[18:19], v[22:23]
	global_store_dwordx2 v[20:21], v[18:19], off
	v_mul_f64 v[20:21], v[10:11], v[10:11]
	v_mul_f64 v[18:19], v[16:17], v[4:5]
	v_div_scale_f64 v[22:23], null, v[20:21], v[20:21], 1.0
	v_rcp_f64_e32 v[24:25], v[22:23]
	v_fma_f64 v[26:27], -v[22:23], v[24:25], 1.0
	v_fma_f64 v[24:25], v[24:25], v[26:27], v[24:25]
	v_fma_f64 v[26:27], -v[22:23], v[24:25], 1.0
	v_fma_f64 v[24:25], v[24:25], v[26:27], v[24:25]
	v_div_scale_f64 v[26:27], vcc_lo, 1.0, v[20:21], 1.0
	v_mul_f64 v[28:29], v[26:27], v[24:25]
	v_fma_f64 v[22:23], -v[22:23], v[28:29], v[26:27]
	v_div_fmas_f64 v[22:23], v[22:23], v[24:25], v[28:29]
	v_div_fixup_f64 v[20:21], v[22:23], v[20:21], 1.0
	v_mul_f64 v[18:19], v[18:19], v[20:21]
	v_lshlrev_b64 v[20:21], 3, v[0:1]
	v_add_nc_u32_e32 v0, s2, v0
	v_add_co_u32 v22, vcc_lo, s10, v20
	v_add_co_ci_u32_e64 v23, null, s11, v21, vcc_lo
	v_add_co_u32 v20, vcc_lo, s12, v20
	v_add_co_ci_u32_e64 v21, null, s13, v21, vcc_lo
	global_load_dwordx2 v[22:23], v[22:23], off
	v_min_f64 v[18:19], v[18:19], s[0:1]
	s_waitcnt vmcnt(0)
	v_mul_f64 v[18:19], v[22:23], v[18:19]
	global_store_dwordx2 v[20:21], v[18:19], off
	v_mul_f64 v[18:19], v[6:7], v[10:11]
	v_div_scale_f64 v[20:21], null, v[18:19], v[18:19], 1.0
	v_rcp_f64_e32 v[22:23], v[20:21]
	v_fma_f64 v[24:25], -v[20:21], v[22:23], 1.0
	v_fma_f64 v[22:23], v[22:23], v[24:25], v[22:23]
	v_fma_f64 v[24:25], -v[20:21], v[22:23], 1.0
	v_fma_f64 v[22:23], v[22:23], v[24:25], v[22:23]
	v_div_scale_f64 v[24:25], vcc_lo, 1.0, v[18:19], 1.0
	v_mul_f64 v[26:27], v[24:25], v[22:23]
	v_fma_f64 v[20:21], -v[20:21], v[26:27], v[24:25]
	v_div_fmas_f64 v[20:21], v[20:21], v[22:23], v[26:27]
	v_div_fixup_f64 v[18:19], v[20:21], v[18:19], 1.0
	v_mul_f64 v[8:9], v[8:9], v[18:19]
	v_lshlrev_b64 v[18:19], 3, v[0:1]
	v_add_nc_u32_e32 v0, s2, v0
	v_add_co_u32 v20, vcc_lo, s10, v18
	v_add_co_ci_u32_e64 v21, null, s11, v19, vcc_lo
	v_add_co_u32 v18, vcc_lo, s12, v18
	v_add_co_ci_u32_e64 v19, null, s13, v19, vcc_lo
	global_load_dwordx2 v[20:21], v[20:21], off
	v_min_f64 v[8:9], v[8:9], s[0:1]
	s_waitcnt vmcnt(0)
	v_mul_f64 v[8:9], v[20:21], v[8:9]
	global_store_dwordx2 v[18:19], v[8:9], off
	global_load_dwordx2 v[8:9], v[12:13], off
	v_mul_f64 v[18:19], v[10:11], v[4:5]
	s_waitcnt vmcnt(0)
	v_mul_f64 v[12:13], v[6:7], v[8:9]
	v_mul_f64 v[6:7], v[6:7], v[14:15]
	v_div_scale_f64 v[20:21], null, v[12:13], v[12:13], 1.0
	v_rcp_f64_e32 v[22:23], v[20:21]
	v_fma_f64 v[24:25], -v[20:21], v[22:23], 1.0
	v_fma_f64 v[22:23], v[22:23], v[24:25], v[22:23]
	v_fma_f64 v[24:25], -v[20:21], v[22:23], 1.0
	v_fma_f64 v[22:23], v[22:23], v[24:25], v[22:23]
	v_div_scale_f64 v[24:25], vcc_lo, 1.0, v[12:13], 1.0
	v_mul_f64 v[26:27], v[24:25], v[22:23]
	v_fma_f64 v[20:21], -v[20:21], v[26:27], v[24:25]
	v_div_fmas_f64 v[20:21], v[20:21], v[22:23], v[26:27]
	v_div_fixup_f64 v[12:13], v[20:21], v[12:13], 1.0
	v_mul_f64 v[12:13], v[18:19], v[12:13]
	v_lshlrev_b64 v[18:19], 3, v[0:1]
	v_add_nc_u32_e32 v0, s2, v0
	v_add_co_u32 v20, vcc_lo, s10, v18
	v_add_co_ci_u32_e64 v21, null, s11, v19, vcc_lo
	v_add_co_u32 v18, vcc_lo, s12, v18
	v_add_co_ci_u32_e64 v19, null, s13, v19, vcc_lo
	global_load_dwordx2 v[20:21], v[20:21], off
	v_min_f64 v[12:13], v[12:13], s[0:1]
	s_waitcnt vmcnt(0)
	v_mul_f64 v[12:13], v[20:21], v[12:13]
	global_store_dwordx2 v[18:19], v[12:13], off
	v_div_scale_f64 v[18:19], null, v[6:7], v[6:7], 1.0
	v_mul_f64 v[12:13], v[4:5], v[4:5]
	v_div_scale_f64 v[4:5], null, v[2:3], v[2:3], 1.0
	v_rcp_f64_e32 v[20:21], v[18:19]
	v_fma_f64 v[22:23], -v[18:19], v[20:21], 1.0
	v_fma_f64 v[20:21], v[20:21], v[22:23], v[20:21]
	v_fma_f64 v[22:23], -v[18:19], v[20:21], 1.0
	v_fma_f64 v[20:21], v[20:21], v[22:23], v[20:21]
	v_div_scale_f64 v[22:23], vcc_lo, 1.0, v[6:7], 1.0
	v_mul_f64 v[24:25], v[22:23], v[20:21]
	v_fma_f64 v[18:19], -v[18:19], v[24:25], v[22:23]
	v_div_fmas_f64 v[18:19], v[18:19], v[20:21], v[24:25]
	v_div_fixup_f64 v[6:7], v[18:19], v[6:7], 1.0
	v_mul_f64 v[6:7], v[12:13], v[6:7]
	v_lshlrev_b64 v[12:13], 3, v[0:1]
	v_add_nc_u32_e32 v0, s2, v0
	v_add_co_u32 v18, vcc_lo, s10, v12
	v_add_co_ci_u32_e64 v19, null, s11, v13, vcc_lo
	v_add_co_u32 v12, vcc_lo, s12, v12
	v_add_co_ci_u32_e64 v13, null, s13, v13, vcc_lo
	global_load_dwordx2 v[18:19], v[18:19], off
	v_min_f64 v[6:7], v[6:7], s[0:1]
	s_waitcnt vmcnt(0)
	v_mul_f64 v[18:19], v[18:19], v[6:7]
	global_store_dwordx2 v[12:13], v[18:19], off
	v_lshlrev_b64 v[12:13], 3, v[0:1]
	v_add_nc_u32_e32 v0, s2, v0
	v_add_co_u32 v18, vcc_lo, s10, v12
	v_add_co_ci_u32_e64 v19, null, s11, v13, vcc_lo
	v_add_co_u32 v12, vcc_lo, s12, v12
	v_add_co_ci_u32_e64 v13, null, s13, v13, vcc_lo
	global_load_dwordx2 v[18:19], v[18:19], off
	s_waitcnt vmcnt(0)
	v_mul_f64 v[6:7], v[18:19], v[6:7]
	global_store_dwordx2 v[12:13], v[6:7], off
	v_rcp_f64_e32 v[12:13], v[4:5]
	v_mul_f64 v[6:7], v[16:17], v[14:15]
	v_fma_f64 v[14:15], -v[4:5], v[12:13], 1.0
	v_fma_f64 v[12:13], v[12:13], v[14:15], v[12:13]
	v_fma_f64 v[14:15], -v[4:5], v[12:13], 1.0
	v_fma_f64 v[12:13], v[12:13], v[14:15], v[12:13]
	v_div_scale_f64 v[14:15], vcc_lo, 1.0, v[2:3], 1.0
	v_mul_f64 v[16:17], v[14:15], v[12:13]
	v_fma_f64 v[4:5], -v[4:5], v[16:17], v[14:15]
	v_div_fmas_f64 v[4:5], v[4:5], v[12:13], v[16:17]
	v_div_fixup_f64 v[2:3], v[4:5], v[2:3], 1.0
	v_lshlrev_b64 v[4:5], 3, v[0:1]
	v_add_nc_u32_e32 v0, s2, v0
	v_add_co_u32 v12, vcc_lo, s10, v4
	v_add_co_ci_u32_e64 v13, null, s11, v5, vcc_lo
	v_add_co_u32 v4, vcc_lo, s12, v4
	v_add_co_ci_u32_e64 v5, null, s13, v5, vcc_lo
	global_load_dwordx2 v[12:13], v[12:13], off
	v_lshlrev_b64 v[0:1], 3, v[0:1]
	v_mul_f64 v[2:3], v[6:7], v[2:3]
	v_min_f64 v[2:3], v[2:3], s[0:1]
	s_waitcnt vmcnt(0)
	v_mul_f64 v[2:3], v[12:13], v[2:3]
	global_store_dwordx2 v[4:5], v[2:3], off
	v_mul_f64 v[2:3], v[10:11], v[8:9]
	v_div_scale_f64 v[4:5], null, v[2:3], v[2:3], 1.0
	v_rcp_f64_e32 v[8:9], v[4:5]
	v_fma_f64 v[10:11], -v[4:5], v[8:9], 1.0
	v_fma_f64 v[8:9], v[8:9], v[10:11], v[8:9]
	v_fma_f64 v[10:11], -v[4:5], v[8:9], 1.0
	v_fma_f64 v[8:9], v[8:9], v[10:11], v[8:9]
	v_div_scale_f64 v[10:11], vcc_lo, 1.0, v[2:3], 1.0
	v_mul_f64 v[12:13], v[10:11], v[8:9]
	v_fma_f64 v[4:5], -v[4:5], v[12:13], v[10:11]
	v_div_fmas_f64 v[4:5], v[4:5], v[8:9], v[12:13]
	v_div_fixup_f64 v[2:3], v[4:5], v[2:3], 1.0
	v_add_co_u32 v4, vcc_lo, s10, v0
	v_add_co_ci_u32_e64 v5, null, s11, v1, vcc_lo
	v_add_co_u32 v0, vcc_lo, s12, v0
	v_add_co_ci_u32_e64 v1, null, s13, v1, vcc_lo
	global_load_dwordx2 v[4:5], v[4:5], off
	v_mul_f64 v[2:3], v[6:7], v[2:3]
	v_min_f64 v[2:3], v[2:3], s[0:1]
	s_waitcnt vmcnt(0)
	v_mul_f64 v[2:3], v[4:5], v[2:3]
	global_store_dwordx2 v[0:1], v[2:3], off
	s_endpgm
	.section	.rodata,"a",@progbits
	.p2align	6, 0x0
	.amdhsa_kernel _Z12ratt2_kernelIdEvPKT_S2_PS0_S2_S0_
		.amdhsa_group_segment_fixed_size 0
		.amdhsa_private_segment_fixed_size 0
		.amdhsa_kernarg_size 296
		.amdhsa_user_sgpr_count 6
		.amdhsa_user_sgpr_private_segment_buffer 1
		.amdhsa_user_sgpr_dispatch_ptr 0
		.amdhsa_user_sgpr_queue_ptr 0
		.amdhsa_user_sgpr_kernarg_segment_ptr 1
		.amdhsa_user_sgpr_dispatch_id 0
		.amdhsa_user_sgpr_flat_scratch_init 0
		.amdhsa_user_sgpr_private_segment_size 0
		.amdhsa_wavefront_size32 1
		.amdhsa_uses_dynamic_stack 0
		.amdhsa_system_sgpr_private_segment_wavefront_offset 0
		.amdhsa_system_sgpr_workgroup_id_x 1
		.amdhsa_system_sgpr_workgroup_id_y 0
		.amdhsa_system_sgpr_workgroup_id_z 0
		.amdhsa_system_sgpr_workgroup_info 0
		.amdhsa_system_vgpr_workitem_id 0
		.amdhsa_next_free_vgpr 52
		.amdhsa_next_free_sgpr 16
		.amdhsa_reserve_vcc 1
		.amdhsa_reserve_flat_scratch 0
		.amdhsa_float_round_mode_32 0
		.amdhsa_float_round_mode_16_64 0
		.amdhsa_float_denorm_mode_32 3
		.amdhsa_float_denorm_mode_16_64 3
		.amdhsa_dx10_clamp 1
		.amdhsa_ieee_mode 1
		.amdhsa_fp16_overflow 0
		.amdhsa_workgroup_processor_mode 1
		.amdhsa_memory_ordered 1
		.amdhsa_forward_progress 1
		.amdhsa_shared_vgpr_count 0
		.amdhsa_exception_fp_ieee_invalid_op 0
		.amdhsa_exception_fp_denorm_src 0
		.amdhsa_exception_fp_ieee_div_zero 0
		.amdhsa_exception_fp_ieee_overflow 0
		.amdhsa_exception_fp_ieee_underflow 0
		.amdhsa_exception_fp_ieee_inexact 0
		.amdhsa_exception_int_div_zero 0
	.end_amdhsa_kernel
	.section	.text._Z12ratt2_kernelIdEvPKT_S2_PS0_S2_S0_,"axG",@progbits,_Z12ratt2_kernelIdEvPKT_S2_PS0_S2_S0_,comdat
.Lfunc_end30:
	.size	_Z12ratt2_kernelIdEvPKT_S2_PS0_S2_S0_, .Lfunc_end30-_Z12ratt2_kernelIdEvPKT_S2_PS0_S2_S0_
                                        ; -- End function
	.set _Z12ratt2_kernelIdEvPKT_S2_PS0_S2_S0_.num_vgpr, 52
	.set _Z12ratt2_kernelIdEvPKT_S2_PS0_S2_S0_.num_agpr, 0
	.set _Z12ratt2_kernelIdEvPKT_S2_PS0_S2_S0_.numbered_sgpr, 16
	.set _Z12ratt2_kernelIdEvPKT_S2_PS0_S2_S0_.num_named_barrier, 0
	.set _Z12ratt2_kernelIdEvPKT_S2_PS0_S2_S0_.private_seg_size, 0
	.set _Z12ratt2_kernelIdEvPKT_S2_PS0_S2_S0_.uses_vcc, 1
	.set _Z12ratt2_kernelIdEvPKT_S2_PS0_S2_S0_.uses_flat_scratch, 0
	.set _Z12ratt2_kernelIdEvPKT_S2_PS0_S2_S0_.has_dyn_sized_stack, 0
	.set _Z12ratt2_kernelIdEvPKT_S2_PS0_S2_S0_.has_recursion, 0
	.set _Z12ratt2_kernelIdEvPKT_S2_PS0_S2_S0_.has_indirect_call, 0
	.section	.AMDGPU.csdata,"",@progbits
; Kernel info:
; codeLenInByte = 4276
; TotalNumSgprs: 18
; NumVgprs: 52
; ScratchSize: 0
; MemoryBound: 0
; FloatMode: 240
; IeeeMode: 1
; LDSByteSize: 0 bytes/workgroup (compile time only)
; SGPRBlocks: 0
; VGPRBlocks: 6
; NumSGPRsForWavesPerEU: 18
; NumVGPRsForWavesPerEU: 52
; Occupancy: 16
; WaveLimiterHint : 0
; COMPUTE_PGM_RSRC2:SCRATCH_EN: 0
; COMPUTE_PGM_RSRC2:USER_SGPR: 6
; COMPUTE_PGM_RSRC2:TRAP_HANDLER: 0
; COMPUTE_PGM_RSRC2:TGID_X_EN: 1
; COMPUTE_PGM_RSRC2:TGID_Y_EN: 0
; COMPUTE_PGM_RSRC2:TGID_Z_EN: 0
; COMPUTE_PGM_RSRC2:TIDIG_COMP_CNT: 0
	.section	.text._Z12ratt3_kernelIdEvPKT_S2_PS0_S2_S0_,"axG",@progbits,_Z12ratt3_kernelIdEvPKT_S2_PS0_S2_S0_,comdat
	.protected	_Z12ratt3_kernelIdEvPKT_S2_PS0_S2_S0_ ; -- Begin function _Z12ratt3_kernelIdEvPKT_S2_PS0_S2_S0_
	.globl	_Z12ratt3_kernelIdEvPKT_S2_PS0_S2_S0_
	.p2align	8
	.type	_Z12ratt3_kernelIdEvPKT_S2_PS0_S2_S0_,@function
_Z12ratt3_kernelIdEvPKT_S2_PS0_S2_S0_:  ; @_Z12ratt3_kernelIdEvPKT_S2_PS0_S2_S0_
; %bb.0:
	s_clause 0x3
	s_load_dwordx8 s[8:15], s[4:5], 0x0
	s_load_dwordx2 s[0:1], s[4:5], 0x20
	s_load_dword s2, s[4:5], 0x28
	s_load_dword s3, s[4:5], 0x34
	s_waitcnt lgkmcnt(0)
	s_and_b32 s3, s3, 0xffff
	v_mad_u64_u32 v[0:1], null, s6, s3, v[0:1]
	v_mov_b32_e32 v1, 0
	s_mul_i32 s2, s2, s3
	s_mul_i32 s3, s2, 19
	;; [unrolled: 1-line block ×3, first 2 shown]
	v_mov_b32_e32 v23, v1
	v_lshlrev_b64 v[12:13], 3, v[0:1]
	s_mul_i32 s6, s2, 28
	s_mul_i32 s5, s2, -13
	v_add_co_u32 v2, vcc_lo, s8, v12
	v_add_co_ci_u32_e64 v3, null, s9, v13, vcc_lo
	global_load_dwordx2 v[2:3], v[2:3], off
	s_waitcnt vmcnt(0)
	v_mul_f64 v[2:3], s[0:1], v[2:3]
	s_brev_b32 s0, 12
	s_mov_b32 s1, 0x4193d2c6
	v_mul_f64 v[2:3], v[2:3], s[0:1]
	s_lshl_b32 s0, s2, 1
	v_div_scale_f64 v[4:5], null, v[2:3], v[2:3], 1.0
	v_rcp_f64_e32 v[6:7], v[4:5]
	v_fma_f64 v[8:9], -v[4:5], v[6:7], 1.0
	v_fma_f64 v[6:7], v[6:7], v[8:9], v[6:7]
	v_fma_f64 v[8:9], -v[4:5], v[6:7], 1.0
	v_fma_f64 v[6:7], v[6:7], v[8:9], v[6:7]
	v_div_scale_f64 v[8:9], vcc_lo, 1.0, v[2:3], 1.0
	v_mul_f64 v[10:11], v[8:9], v[6:7]
	v_fma_f64 v[4:5], -v[4:5], v[10:11], v[8:9]
	v_div_fmas_f64 v[4:5], v[4:5], v[6:7], v[10:11]
	v_add_nc_u32_e32 v6, s0, v0
	v_mov_b32_e32 v7, v1
	v_add_nc_u32_e32 v0, s2, v0
	v_div_fixup_f64 v[2:3], v[4:5], v[2:3], 1.0
	v_mul_f64 v[4:5], 0x412eec04, v[2:3]
	v_lshlrev_b64 v[2:3], 3, v[6:7]
	v_mad_u64_u32 v[6:7], null, s2, 5, v[6:7]
	v_mov_b32_e32 v7, v1
	v_add_co_u32 v2, vcc_lo, s14, v2
	v_add_co_ci_u32_e64 v3, null, s15, v3, vcc_lo
	v_lshlrev_b64 v[8:9], 3, v[6:7]
	v_mad_u64_u32 v[6:7], null, s2, -3, v[6:7]
	v_mov_b32_e32 v7, v1
	global_load_dwordx2 v[16:17], v[2:3], off
	v_add_co_u32 v8, vcc_lo, s14, v8
	v_add_co_ci_u32_e64 v9, null, s15, v9, vcc_lo
	v_add_nc_u32_e32 v22, s0, v6
	s_mov_b32 s0, 0x4357691b
	s_mov_b32 s1, 0x479e17b8
	global_load_dwordx2 v[18:19], v[8:9], off
	v_lshlrev_b64 v[8:9], 3, v[6:7]
	v_lshlrev_b64 v[6:7], 3, v[22:23]
	v_add_nc_u32_e32 v22, s3, v22
	v_add_co_u32 v8, vcc_lo, s14, v8
	v_add_co_ci_u32_e64 v9, null, s15, v9, vcc_lo
	v_add_co_u32 v6, vcc_lo, s14, v6
	v_add_co_ci_u32_e64 v7, null, s15, v7, vcc_lo
	s_clause 0x1
	global_load_dwordx2 v[10:11], v[8:9], off
	global_load_dwordx2 v[14:15], v[6:7], off
	s_waitcnt vmcnt(2)
	v_mul_f64 v[20:21], v[16:17], v[18:19]
	s_waitcnt vmcnt(1)
	v_mul_f64 v[18:19], v[18:19], v[10:11]
	;; [unrolled: 2-line block ×3, first 2 shown]
	v_div_scale_f64 v[25:26], null, v[23:24], v[23:24], 1.0
	v_rcp_f64_e32 v[27:28], v[25:26]
	v_fma_f64 v[29:30], -v[25:26], v[27:28], 1.0
	v_fma_f64 v[27:28], v[27:28], v[29:30], v[27:28]
	v_fma_f64 v[29:30], -v[25:26], v[27:28], 1.0
	v_fma_f64 v[27:28], v[27:28], v[29:30], v[27:28]
	v_div_scale_f64 v[29:30], vcc_lo, 1.0, v[23:24], 1.0
	v_mul_f64 v[31:32], v[29:30], v[27:28]
	v_fma_f64 v[25:26], -v[25:26], v[31:32], v[29:30]
	v_div_fmas_f64 v[25:26], v[25:26], v[27:28], v[31:32]
	v_div_fixup_f64 v[23:24], v[25:26], v[23:24], 1.0
	v_mul_f64 v[20:21], v[20:21], v[23:24]
	v_mov_b32_e32 v23, v1
	v_lshlrev_b64 v[24:25], 3, v[22:23]
	v_mad_u64_u32 v[22:23], null, 0xffffffec, s2, v[22:23]
	v_mov_b32_e32 v23, v1
	v_add_co_u32 v26, vcc_lo, s10, v24
	v_add_co_ci_u32_e64 v27, null, s11, v25, vcc_lo
	v_add_co_u32 v24, vcc_lo, s12, v24
	v_add_co_ci_u32_e64 v25, null, s13, v25, vcc_lo
	global_load_dwordx2 v[26:27], v[26:27], off
	v_min_f64 v[20:21], v[20:21], s[0:1]
	s_waitcnt vmcnt(0)
	v_mul_f64 v[20:21], v[26:27], v[20:21]
	global_store_dwordx2 v[24:25], v[20:21], off
	v_lshlrev_b64 v[20:21], 3, v[22:23]
	v_add_co_u32 v20, vcc_lo, s14, v20
	v_add_co_ci_u32_e64 v21, null, s15, v21, vcc_lo
	global_load_dwordx2 v[30:31], v[20:21], off
	s_waitcnt vmcnt(0)
	v_mul_f64 v[23:24], v[14:15], v[30:31]
	v_div_scale_f64 v[25:26], null, v[23:24], v[23:24], 1.0
	v_rcp_f64_e32 v[27:28], v[25:26]
	v_fma_f64 v[32:33], -v[25:26], v[27:28], 1.0
	v_fma_f64 v[27:28], v[27:28], v[32:33], v[27:28]
	v_fma_f64 v[32:33], -v[25:26], v[27:28], 1.0
	v_fma_f64 v[27:28], v[27:28], v[32:33], v[27:28]
	v_div_scale_f64 v[32:33], vcc_lo, 1.0, v[23:24], 1.0
	v_mul_f64 v[34:35], v[32:33], v[27:28]
	v_fma_f64 v[25:26], -v[25:26], v[34:35], v[32:33]
	v_div_fmas_f64 v[25:26], v[25:26], v[27:28], v[34:35]
	v_div_fixup_f64 v[23:24], v[25:26], v[23:24], 1.0
	v_mul_f64 v[18:19], v[18:19], v[23:24]
	v_mad_u64_u32 v[22:23], null, s2, 21, v[22:23]
	v_mov_b32_e32 v23, v1
	v_lshlrev_b64 v[23:24], 3, v[22:23]
	v_add_nc_u32_e32 v22, s2, v22
	v_add_co_u32 v25, vcc_lo, s10, v23
	v_add_co_ci_u32_e64 v26, null, s11, v24, vcc_lo
	v_add_co_u32 v23, vcc_lo, s12, v23
	v_add_co_ci_u32_e64 v24, null, s13, v24, vcc_lo
	global_load_dwordx2 v[25:26], v[25:26], off
	v_min_f64 v[18:19], v[18:19], s[0:1]
	s_waitcnt vmcnt(0)
	v_mul_f64 v[25:26], v[25:26], v[18:19]
	global_store_dwordx2 v[23:24], v[25:26], off
	v_mov_b32_e32 v23, v1
	v_lshlrev_b64 v[24:25], 3, v[22:23]
	v_add_co_u32 v26, vcc_lo, s10, v24
	v_add_co_ci_u32_e64 v27, null, s11, v25, vcc_lo
	v_add_co_u32 v24, vcc_lo, s12, v24
	v_add_co_ci_u32_e64 v25, null, s13, v25, vcc_lo
	global_load_dwordx2 v[26:27], v[26:27], off
	s_waitcnt vmcnt(0)
	v_mul_f64 v[18:19], v[26:27], v[18:19]
	global_store_dwordx2 v[24:25], v[18:19], off
	v_mad_u64_u32 v[18:19], null, s2, -14, v[22:23]
	v_mov_b32_e32 v19, v1
	v_lshlrev_b64 v[22:23], 3, v[18:19]
	v_add_nc_u32_e32 v18, s2, v18
	v_add_co_u32 v24, vcc_lo, s14, v22
	v_add_co_ci_u32_e64 v25, null, s15, v23, vcc_lo
	global_load_dwordx2 v[28:29], v[24:25], off
	s_waitcnt vmcnt(0)
	v_mul_f64 v[22:23], v[16:17], v[28:29]
	v_mul_f64 v[14:15], v[14:15], v[28:29]
	;; [unrolled: 1-line block ×3, first 2 shown]
	v_lshlrev_b64 v[22:23], 3, v[18:19]
	v_add_nc_u32_e32 v18, s4, v18
	v_add_co_u32 v22, vcc_lo, s14, v22
	v_add_co_ci_u32_e64 v23, null, s15, v23, vcc_lo
	v_lshlrev_b64 v[18:19], 3, v[18:19]
	global_load_dwordx2 v[34:35], v[22:23], off
	s_waitcnt vmcnt(0)
	v_div_scale_f64 v[32:33], null, v[34:35], v[34:35], 1.0
	v_mul_f64 v[50:51], v[16:17], v[34:35]
	v_rcp_f64_e32 v[36:37], v[32:33]
	v_div_scale_f64 v[52:53], null, v[50:51], v[50:51], 1.0
	v_rcp_f64_e32 v[54:55], v[52:53]
	v_fma_f64 v[38:39], -v[32:33], v[36:37], 1.0
	v_fma_f64 v[36:37], v[36:37], v[38:39], v[36:37]
	v_fma_f64 v[56:57], -v[52:53], v[54:55], 1.0
	v_fma_f64 v[38:39], -v[32:33], v[36:37], 1.0
	v_fma_f64 v[54:55], v[54:55], v[56:57], v[54:55]
	v_fma_f64 v[36:37], v[36:37], v[38:39], v[36:37]
	v_div_scale_f64 v[38:39], vcc_lo, 1.0, v[34:35], 1.0
	v_fma_f64 v[56:57], -v[52:53], v[54:55], 1.0
	v_mul_f64 v[40:41], v[38:39], v[36:37]
	v_fma_f64 v[54:55], v[54:55], v[56:57], v[54:55]
	v_fma_f64 v[32:33], -v[32:33], v[40:41], v[38:39]
	v_div_fmas_f64 v[32:33], v[32:33], v[36:37], v[40:41]
	v_div_fixup_f64 v[32:33], v[32:33], v[34:35], 1.0
	v_mul_f64 v[26:27], v[26:27], v[32:33]
	v_add_co_u32 v32, vcc_lo, s10, v18
	v_add_co_ci_u32_e64 v33, null, s11, v19, vcc_lo
	v_add_co_u32 v18, vcc_lo, s12, v18
	v_add_co_ci_u32_e64 v19, null, s13, v19, vcc_lo
	global_load_dwordx2 v[32:33], v[32:33], off
	v_min_f64 v[26:27], v[26:27], s[0:1]
	s_waitcnt vmcnt(0)
	v_mul_f64 v[26:27], v[32:33], v[26:27]
	global_store_dwordx2 v[18:19], v[26:27], off
	v_lshlrev_b64 v[26:27], 3, v[0:1]
	v_mul_f64 v[18:19], v[10:11], v[28:29]
	v_add_nc_u32_e32 v0, s6, v0
	v_add_co_u32 v26, vcc_lo, s14, v26
	v_add_co_ci_u32_e64 v27, null, s15, v27, vcc_lo
	global_load_dwordx2 v[38:39], v[26:27], off
	s_waitcnt vmcnt(0)
	v_mul_f64 v[32:33], v[34:35], v[38:39]
	v_div_scale_f64 v[36:37], null, v[32:33], v[32:33], 1.0
	v_rcp_f64_e32 v[40:41], v[36:37]
	v_fma_f64 v[42:43], -v[36:37], v[40:41], 1.0
	v_fma_f64 v[40:41], v[40:41], v[42:43], v[40:41]
	v_fma_f64 v[42:43], -v[36:37], v[40:41], 1.0
	v_fma_f64 v[40:41], v[40:41], v[42:43], v[40:41]
	v_div_scale_f64 v[42:43], vcc_lo, 1.0, v[32:33], 1.0
	v_mul_f64 v[44:45], v[42:43], v[40:41]
	v_fma_f64 v[36:37], -v[36:37], v[44:45], v[42:43]
	v_div_fmas_f64 v[36:37], v[36:37], v[40:41], v[44:45]
	v_div_fixup_f64 v[32:33], v[36:37], v[32:33], 1.0
	v_mul_f64 v[18:19], v[18:19], v[32:33]
	v_lshlrev_b64 v[32:33], 3, v[0:1]
	v_add_nc_u32_e32 v0, s5, v0
	v_add_co_u32 v36, vcc_lo, s10, v32
	v_add_co_ci_u32_e64 v37, null, s11, v33, vcc_lo
	v_add_co_u32 v32, vcc_lo, s12, v32
	v_add_co_ci_u32_e64 v33, null, s13, v33, vcc_lo
	global_load_dwordx2 v[36:37], v[36:37], off
	v_add_co_u32 v12, vcc_lo, s14, v12
	v_add_co_ci_u32_e64 v13, null, s15, v13, vcc_lo
	v_min_f64 v[18:19], v[18:19], s[0:1]
	global_load_dwordx2 v[48:49], v[12:13], off
	s_waitcnt vmcnt(1)
	v_mul_f64 v[18:19], v[36:37], v[18:19]
	v_lshlrev_b64 v[36:37], 3, v[0:1]
	v_add_nc_u32_e32 v0, s4, v0
	v_add_co_u32 v36, vcc_lo, s14, v36
	v_add_co_ci_u32_e64 v37, null, s15, v37, vcc_lo
	global_load_dwordx2 v[40:41], v[36:37], off
	global_store_dwordx2 v[32:33], v[18:19], off
	s_waitcnt vmcnt(1)
	v_mul_f64 v[32:33], v[28:29], v[48:49]
	v_mul_f64 v[18:19], v[4:5], v[32:33]
	s_waitcnt vmcnt(0)
	v_div_scale_f64 v[36:37], null, v[40:41], v[40:41], 1.0
	v_rcp_f64_e32 v[42:43], v[36:37]
	v_fma_f64 v[44:45], -v[36:37], v[42:43], 1.0
	v_fma_f64 v[42:43], v[42:43], v[44:45], v[42:43]
	v_fma_f64 v[44:45], -v[36:37], v[42:43], 1.0
	v_fma_f64 v[42:43], v[42:43], v[44:45], v[42:43]
	v_div_scale_f64 v[44:45], vcc_lo, 1.0, v[40:41], 1.0
	v_mul_f64 v[46:47], v[44:45], v[42:43]
	v_fma_f64 v[36:37], -v[36:37], v[46:47], v[44:45]
	v_div_fmas_f64 v[36:37], v[36:37], v[42:43], v[46:47]
	v_lshlrev_b64 v[42:43], 3, v[0:1]
	v_add_co_u32 v44, vcc_lo, s10, v42
	v_add_co_ci_u32_e64 v45, null, s11, v43, vcc_lo
	v_add_co_u32 v42, vcc_lo, s12, v42
	v_add_co_ci_u32_e64 v43, null, s13, v43, vcc_lo
	global_load_dwordx2 v[44:45], v[44:45], off
	v_div_fixup_f64 v[36:37], v[36:37], v[40:41], 1.0
	v_mul_f64 v[18:19], v[18:19], v[36:37]
	v_min_f64 v[18:19], v[18:19], s[0:1]
	s_waitcnt vmcnt(0)
	v_mul_f64 v[18:19], v[44:45], v[18:19]
	global_store_dwordx2 v[42:43], v[18:19], off
	v_mad_u64_u32 v[42:43], null, 0xffffffe5, s2, v[0:1]
	v_mov_b32_e32 v43, v1
	v_lshlrev_b64 v[18:19], 3, v[42:43]
	v_add_nc_u32_e32 v0, s6, v42
	v_add_co_u32 v18, vcc_lo, s14, v18
	v_add_co_ci_u32_e64 v19, null, s15, v19, vcc_lo
	v_div_scale_f64 v[56:57], vcc_lo, 1.0, v[50:51], 1.0
	v_lshlrev_b64 v[42:43], 3, v[0:1]
	global_load_dwordx2 v[44:45], v[18:19], off
	v_add_nc_u32_e32 v0, s2, v0
	v_mul_f64 v[58:59], v[56:57], v[54:55]
	v_fma_f64 v[52:53], -v[52:53], v[58:59], v[56:57]
	v_div_fmas_f64 v[52:53], v[52:53], v[54:55], v[58:59]
	v_div_fixup_f64 v[50:51], v[52:53], v[50:51], 1.0
	s_waitcnt vmcnt(0)
	v_mul_f64 v[46:47], v[28:29], v[44:45]
	v_mul_f64 v[46:47], v[50:51], v[46:47]
	v_add_co_u32 v50, vcc_lo, s10, v42
	v_add_co_ci_u32_e64 v51, null, s11, v43, vcc_lo
	v_add_co_u32 v42, vcc_lo, s12, v42
	v_add_co_ci_u32_e64 v43, null, s13, v43, vcc_lo
	global_load_dwordx2 v[50:51], v[50:51], off
	v_min_f64 v[46:47], v[46:47], s[0:1]
	s_waitcnt vmcnt(0)
	v_mul_f64 v[46:47], v[50:51], v[46:47]
	global_store_dwordx2 v[42:43], v[46:47], off
	v_mul_f64 v[42:43], v[10:11], v[34:35]
	v_div_scale_f64 v[46:47], null, v[42:43], v[42:43], 1.0
	v_rcp_f64_e32 v[50:51], v[46:47]
	v_fma_f64 v[52:53], -v[46:47], v[50:51], 1.0
	v_fma_f64 v[50:51], v[50:51], v[52:53], v[50:51]
	v_fma_f64 v[52:53], -v[46:47], v[50:51], 1.0
	v_fma_f64 v[50:51], v[50:51], v[52:53], v[50:51]
	v_div_scale_f64 v[52:53], vcc_lo, 1.0, v[42:43], 1.0
	v_mul_f64 v[54:55], v[52:53], v[50:51]
	v_fma_f64 v[46:47], -v[46:47], v[54:55], v[52:53]
	v_div_fmas_f64 v[46:47], v[46:47], v[50:51], v[54:55]
	v_mul_f64 v[50:51], v[28:29], v[38:39]
	v_div_fixup_f64 v[42:43], v[46:47], v[42:43], 1.0
	v_div_scale_f64 v[52:53], null, v[50:51], v[50:51], 1.0
	v_mul_f64 v[14:15], v[14:15], v[42:43]
	v_lshlrev_b64 v[42:43], 3, v[0:1]
	v_rcp_f64_e32 v[54:55], v[52:53]
	v_add_co_u32 v46, vcc_lo, s10, v42
	v_add_co_ci_u32_e64 v47, null, s11, v43, vcc_lo
	v_add_co_u32 v42, vcc_lo, s12, v42
	v_add_co_ci_u32_e64 v43, null, s13, v43, vcc_lo
	global_load_dwordx2 v[46:47], v[46:47], off
	v_min_f64 v[14:15], v[14:15], s[0:1]
	v_fma_f64 v[56:57], -v[52:53], v[54:55], 1.0
	v_fma_f64 v[54:55], v[54:55], v[56:57], v[54:55]
	v_fma_f64 v[56:57], -v[52:53], v[54:55], 1.0
	v_fma_f64 v[54:55], v[54:55], v[56:57], v[54:55]
	s_waitcnt vmcnt(0)
	v_mul_f64 v[14:15], v[14:15], v[46:47]
	global_store_dwordx2 v[42:43], v[14:15], off
	v_mad_u64_u32 v[14:15], null, 0xffffffe8, s2, v[0:1]
	v_mov_b32_e32 v15, v1
	v_lshlrev_b64 v[42:43], 3, v[14:15]
	v_mad_u64_u32 v[14:15], null, s2, 25, v[14:15]
	v_mov_b32_e32 v15, v1
	v_add_co_u32 v42, vcc_lo, s14, v42
	v_add_co_ci_u32_e64 v43, null, s15, v43, vcc_lo
	v_div_scale_f64 v[56:57], vcc_lo, 1.0, v[50:51], 1.0
	global_load_dwordx2 v[46:47], v[42:43], off
	v_mul_f64 v[58:59], v[56:57], v[54:55]
	v_fma_f64 v[52:53], -v[52:53], v[58:59], v[56:57]
	v_div_fmas_f64 v[52:53], v[52:53], v[54:55], v[58:59]
	v_div_fixup_f64 v[50:51], v[52:53], v[50:51], 1.0
	s_waitcnt vmcnt(0)
	v_mul_f64 v[42:43], v[16:17], v[46:47]
	v_mul_f64 v[48:49], v[48:49], v[46:47]
	;; [unrolled: 1-line block ×4, first 2 shown]
	v_lshlrev_b64 v[50:51], 3, v[14:15]
	v_mad_u64_u32 v[14:15], null, 0xffffffee, s2, v[14:15]
	v_mov_b32_e32 v15, v1
	v_add_co_u32 v52, vcc_lo, s10, v50
	v_add_co_ci_u32_e64 v53, null, s11, v51, vcc_lo
	v_add_co_u32 v50, vcc_lo, s12, v50
	v_add_co_ci_u32_e64 v51, null, s13, v51, vcc_lo
	global_load_dwordx2 v[52:53], v[52:53], off
	v_add_nc_u32_e32 v0, s3, v14
	v_min_f64 v[42:43], v[42:43], s[0:1]
	s_waitcnt vmcnt(0)
	v_mul_f64 v[42:43], v[52:53], v[42:43]
	global_store_dwordx2 v[50:51], v[42:43], off
	v_mul_f64 v[50:51], v[10:11], v[46:47]
	v_lshlrev_b64 v[10:11], 3, v[14:15]
	v_lshlrev_b64 v[14:15], 3, v[0:1]
	v_add_co_u32 v10, vcc_lo, s14, v10
	v_add_co_ci_u32_e64 v11, null, s15, v11, vcc_lo
	global_load_dwordx2 v[52:53], v[10:11], off
	s_waitcnt vmcnt(0)
	v_mul_f64 v[42:43], v[38:39], v[52:53]
	v_mul_f64 v[16:17], v[16:17], v[52:53]
	v_div_scale_f64 v[54:55], null, v[42:43], v[42:43], 1.0
	v_rcp_f64_e32 v[56:57], v[54:55]
	v_fma_f64 v[58:59], -v[54:55], v[56:57], 1.0
	v_fma_f64 v[56:57], v[56:57], v[58:59], v[56:57]
	v_fma_f64 v[58:59], -v[54:55], v[56:57], 1.0
	v_fma_f64 v[56:57], v[56:57], v[58:59], v[56:57]
	v_div_scale_f64 v[58:59], vcc_lo, 1.0, v[42:43], 1.0
	v_mul_f64 v[60:61], v[58:59], v[56:57]
	v_fma_f64 v[54:55], -v[54:55], v[60:61], v[58:59]
	v_div_fmas_f64 v[54:55], v[54:55], v[56:57], v[60:61]
	v_div_fixup_f64 v[54:55], v[54:55], v[42:43], 1.0
	v_mul_f64 v[50:51], v[50:51], v[54:55]
	v_add_co_u32 v54, vcc_lo, s10, v14
	v_add_co_ci_u32_e64 v55, null, s11, v15, vcc_lo
	v_add_co_u32 v14, vcc_lo, s12, v14
	v_add_co_ci_u32_e64 v15, null, s13, v15, vcc_lo
	global_load_dwordx2 v[54:55], v[54:55], off
	v_min_f64 v[50:51], v[50:51], s[0:1]
	s_waitcnt vmcnt(0)
	v_mul_f64 v[50:51], v[54:55], v[50:51]
	global_store_dwordx2 v[14:15], v[50:51], off
	v_mad_u64_u32 v[50:51], null, 0xffffffe7, s2, v[0:1]
	v_mov_b32_e32 v51, v1
	v_lshlrev_b64 v[14:15], 3, v[50:51]
	v_mad_u64_u32 v[50:51], null, s2, 26, v[50:51]
	v_mov_b32_e32 v51, v1
	v_add_co_u32 v14, vcc_lo, s14, v14
	v_add_co_ci_u32_e64 v15, null, s15, v15, vcc_lo
	v_add_nc_u32_e32 v0, s2, v50
	global_load_dwordx2 v[54:55], v[14:15], off
	s_waitcnt vmcnt(0)
	v_mul_f64 v[54:55], v[38:39], v[54:55]
	v_mul_f64 v[38:39], v[38:39], v[40:41]
	v_div_scale_f64 v[56:57], null, v[54:55], v[54:55], 1.0
	v_div_scale_f64 v[40:41], null, v[38:39], v[38:39], 1.0
	v_rcp_f64_e32 v[58:59], v[56:57]
	v_fma_f64 v[60:61], -v[56:57], v[58:59], 1.0
	v_fma_f64 v[58:59], v[58:59], v[60:61], v[58:59]
	v_fma_f64 v[60:61], -v[56:57], v[58:59], 1.0
	v_fma_f64 v[58:59], v[58:59], v[60:61], v[58:59]
	v_div_scale_f64 v[60:61], vcc_lo, 1.0, v[54:55], 1.0
	v_mul_f64 v[62:63], v[60:61], v[58:59]
	v_fma_f64 v[56:57], -v[56:57], v[62:63], v[60:61]
	v_div_fmas_f64 v[56:57], v[56:57], v[58:59], v[62:63]
	v_div_fixup_f64 v[54:55], v[56:57], v[54:55], 1.0
	v_mul_f64 v[48:49], v[48:49], v[54:55]
	v_lshlrev_b64 v[54:55], 3, v[50:51]
	v_add_co_u32 v56, vcc_lo, s10, v54
	v_add_co_ci_u32_e64 v57, null, s11, v55, vcc_lo
	v_add_co_u32 v54, vcc_lo, s12, v54
	v_add_co_ci_u32_e64 v55, null, s13, v55, vcc_lo
	global_load_dwordx2 v[56:57], v[56:57], off
	v_min_f64 v[48:49], v[48:49], s[0:1]
	s_waitcnt vmcnt(0)
	v_mul_f64 v[48:49], v[56:57], v[48:49]
	global_store_dwordx2 v[54:55], v[48:49], off
	v_rcp_f64_e32 v[48:49], v[40:41]
	v_fma_f64 v[54:55], -v[40:41], v[48:49], 1.0
	v_fma_f64 v[48:49], v[48:49], v[54:55], v[48:49]
	v_fma_f64 v[54:55], -v[40:41], v[48:49], 1.0
	v_fma_f64 v[48:49], v[48:49], v[54:55], v[48:49]
	v_div_scale_f64 v[54:55], vcc_lo, 1.0, v[38:39], 1.0
	v_mul_f64 v[56:57], v[54:55], v[48:49]
	v_fma_f64 v[40:41], -v[40:41], v[56:57], v[54:55]
	v_div_fmas_f64 v[40:41], v[40:41], v[48:49], v[56:57]
	v_div_fixup_f64 v[38:39], v[40:41], v[38:39], 1.0
	v_mul_f64 v[30:31], v[38:39], v[30:31]
	v_lshlrev_b64 v[38:39], 3, v[0:1]
	v_add_nc_u32_e32 v0, s2, v0
	v_add_co_u32 v40, vcc_lo, s10, v38
	v_add_co_ci_u32_e64 v41, null, s11, v39, vcc_lo
	v_add_co_u32 v38, vcc_lo, s12, v38
	v_add_co_ci_u32_e64 v39, null, s13, v39, vcc_lo
	global_load_dwordx2 v[40:41], v[40:41], off
	v_min_f64 v[30:31], v[30:31], s[0:1]
	s_waitcnt vmcnt(0)
	v_mul_f64 v[30:31], v[30:31], v[40:41]
	global_store_dwordx2 v[38:39], v[30:31], off
	v_div_scale_f64 v[38:39], null, v[16:17], v[16:17], 1.0
	v_mul_f64 v[30:31], v[44:45], v[46:47]
	v_rcp_f64_e32 v[40:41], v[38:39]
	v_fma_f64 v[44:45], -v[38:39], v[40:41], 1.0
	v_fma_f64 v[40:41], v[40:41], v[44:45], v[40:41]
	v_fma_f64 v[44:45], -v[38:39], v[40:41], 1.0
	v_fma_f64 v[40:41], v[40:41], v[44:45], v[40:41]
	v_div_scale_f64 v[44:45], vcc_lo, 1.0, v[16:17], 1.0
	v_mul_f64 v[48:49], v[44:45], v[40:41]
	v_fma_f64 v[38:39], -v[38:39], v[48:49], v[44:45]
	v_div_fmas_f64 v[38:39], v[38:39], v[40:41], v[48:49]
	v_div_fixup_f64 v[16:17], v[38:39], v[16:17], 1.0
	v_mul_f64 v[16:17], v[30:31], v[16:17]
	v_lshlrev_b64 v[30:31], 3, v[0:1]
	v_add_nc_u32_e32 v0, s5, v0
	v_add_co_u32 v38, vcc_lo, s10, v30
	v_add_co_ci_u32_e64 v39, null, s11, v31, vcc_lo
	v_add_co_u32 v30, vcc_lo, s12, v30
	v_add_co_ci_u32_e64 v31, null, s13, v31, vcc_lo
	global_load_dwordx2 v[38:39], v[38:39], off
	v_min_f64 v[16:17], v[16:17], s[0:1]
	s_waitcnt vmcnt(0)
	v_mul_f64 v[16:17], v[16:17], v[38:39]
	global_store_dwordx2 v[30:31], v[16:17], off
	v_lshlrev_b64 v[30:31], 3, v[0:1]
	v_mul_f64 v[16:17], v[28:29], v[46:47]
	v_add_nc_u32_e32 v0, s4, v0
	v_mul_f64 v[28:29], v[28:29], v[52:53]
	v_add_co_u32 v30, vcc_lo, s14, v30
	v_add_co_ci_u32_e64 v31, null, s15, v31, vcc_lo
	global_load_dwordx2 v[30:31], v[30:31], off
	v_mul_f64 v[16:17], v[4:5], v[16:17]
	s_waitcnt vmcnt(0)
	v_div_scale_f64 v[38:39], null, v[30:31], v[30:31], 1.0
	v_rcp_f64_e32 v[40:41], v[38:39]
	v_fma_f64 v[44:45], -v[38:39], v[40:41], 1.0
	v_fma_f64 v[40:41], v[40:41], v[44:45], v[40:41]
	v_fma_f64 v[44:45], -v[38:39], v[40:41], 1.0
	v_fma_f64 v[40:41], v[40:41], v[44:45], v[40:41]
	v_div_scale_f64 v[44:45], vcc_lo, 1.0, v[30:31], 1.0
	v_mul_f64 v[48:49], v[44:45], v[40:41]
	v_fma_f64 v[38:39], -v[38:39], v[48:49], v[44:45]
	v_div_fmas_f64 v[38:39], v[38:39], v[40:41], v[48:49]
	v_div_fixup_f64 v[30:31], v[38:39], v[30:31], 1.0
	v_mul_f64 v[16:17], v[16:17], v[30:31]
	v_lshlrev_b64 v[30:31], 3, v[0:1]
	v_add_nc_u32_e32 v0, s2, v0
	v_add_co_u32 v38, vcc_lo, s10, v30
	v_add_co_ci_u32_e64 v39, null, s11, v31, vcc_lo
	v_add_co_u32 v30, vcc_lo, s12, v30
	v_add_co_ci_u32_e64 v31, null, s13, v31, vcc_lo
	global_load_dwordx2 v[38:39], v[38:39], off
	v_min_f64 v[16:17], v[16:17], s[0:1]
	s_waitcnt vmcnt(0)
	v_mul_f64 v[16:17], v[38:39], v[16:17]
	global_store_dwordx2 v[30:31], v[16:17], off
	v_div_scale_f64 v[30:31], null, v[28:29], v[28:29], 1.0
	v_mul_f64 v[16:17], v[34:35], v[46:47]
	v_rcp_f64_e32 v[34:35], v[30:31]
	v_fma_f64 v[38:39], -v[30:31], v[34:35], 1.0
	v_fma_f64 v[34:35], v[34:35], v[38:39], v[34:35]
	v_fma_f64 v[38:39], -v[30:31], v[34:35], 1.0
	v_fma_f64 v[34:35], v[34:35], v[38:39], v[34:35]
	v_div_scale_f64 v[38:39], vcc_lo, 1.0, v[28:29], 1.0
	v_mul_f64 v[40:41], v[38:39], v[34:35]
	v_fma_f64 v[30:31], -v[30:31], v[40:41], v[38:39]
	v_div_fmas_f64 v[30:31], v[30:31], v[34:35], v[40:41]
	v_div_fixup_f64 v[28:29], v[30:31], v[28:29], 1.0
	v_mul_f64 v[16:17], v[16:17], v[28:29]
	v_lshlrev_b64 v[28:29], 3, v[0:1]
	v_add_nc_u32_e32 v0, s2, v0
	v_add_co_u32 v30, vcc_lo, s10, v28
	v_add_co_ci_u32_e64 v31, null, s11, v29, vcc_lo
	v_add_co_u32 v28, vcc_lo, s12, v28
	v_add_co_ci_u32_e64 v29, null, s13, v29, vcc_lo
	global_load_dwordx2 v[30:31], v[30:31], off
	v_min_f64 v[16:17], v[16:17], s[0:1]
	s_waitcnt vmcnt(0)
	v_mul_f64 v[16:17], v[16:17], v[30:31]
	global_store_dwordx2 v[28:29], v[16:17], off
	v_lshlrev_b64 v[28:29], 3, v[0:1]
	v_mul_f64 v[16:17], v[4:5], v[42:43]
	v_add_nc_u32_e32 v0, s2, v0
	v_add_co_u32 v30, vcc_lo, s10, v28
	v_add_co_ci_u32_e64 v31, null, s11, v29, vcc_lo
	v_add_co_u32 v28, vcc_lo, s12, v28
	v_add_co_ci_u32_e64 v29, null, s13, v29, vcc_lo
	global_load_dwordx2 v[30:31], v[30:31], off
	v_mul_f64 v[16:17], v[36:37], v[16:17]
	v_min_f64 v[16:17], v[16:17], s[0:1]
	s_waitcnt vmcnt(0)
	v_mul_f64 v[16:17], v[16:17], v[30:31]
	global_store_dwordx2 v[28:29], v[16:17], off
	v_div_scale_f64 v[16:17], null, v[32:33], v[32:33], 1.0
	v_rcp_f64_e32 v[28:29], v[16:17]
	v_fma_f64 v[30:31], -v[16:17], v[28:29], 1.0
	v_fma_f64 v[28:29], v[28:29], v[30:31], v[28:29]
	v_fma_f64 v[30:31], -v[16:17], v[28:29], 1.0
	v_fma_f64 v[28:29], v[28:29], v[30:31], v[28:29]
	v_div_scale_f64 v[30:31], vcc_lo, 1.0, v[32:33], 1.0
	v_mul_f64 v[34:35], v[30:31], v[28:29]
	v_fma_f64 v[16:17], -v[16:17], v[34:35], v[30:31]
	v_div_fmas_f64 v[16:17], v[16:17], v[28:29], v[34:35]
	v_lshlrev_b64 v[28:29], 3, v[0:1]
	v_add_nc_u32_e32 v0, s2, v0
	v_add_co_u32 v30, vcc_lo, s10, v28
	v_add_co_ci_u32_e64 v31, null, s11, v29, vcc_lo
	v_add_co_u32 v28, vcc_lo, s12, v28
	v_add_co_ci_u32_e64 v29, null, s13, v29, vcc_lo
	global_load_dwordx2 v[30:31], v[30:31], off
	v_div_fixup_f64 v[16:17], v[16:17], v[32:33], 1.0
	v_mul_f64 v[16:17], v[16:17], v[42:43]
	v_min_f64 v[16:17], v[16:17], s[0:1]
	s_waitcnt vmcnt(0)
	v_mul_f64 v[16:17], v[16:17], v[30:31]
	global_store_dwordx2 v[28:29], v[16:17], off
	s_clause 0x1
	global_load_dwordx2 v[16:17], v[2:3], off
	global_load_dwordx2 v[28:29], v[10:11], off
	s_waitcnt vmcnt(0)
	v_mul_f64 v[30:31], v[16:17], v[28:29]
	s_clause 0x1
	global_load_dwordx2 v[32:33], v[8:9], off
	global_load_dwordx2 v[16:17], v[24:25], off
	s_waitcnt vmcnt(0)
	v_mul_f64 v[8:9], v[32:33], v[16:17]
	v_div_scale_f64 v[24:25], null, v[8:9], v[8:9], 1.0
	v_rcp_f64_e32 v[34:35], v[24:25]
	v_fma_f64 v[36:37], -v[24:25], v[34:35], 1.0
	v_fma_f64 v[34:35], v[34:35], v[36:37], v[34:35]
	v_fma_f64 v[36:37], -v[24:25], v[34:35], 1.0
	v_fma_f64 v[34:35], v[34:35], v[36:37], v[34:35]
	v_div_scale_f64 v[36:37], vcc_lo, 1.0, v[8:9], 1.0
	v_mul_f64 v[38:39], v[36:37], v[34:35]
	v_fma_f64 v[24:25], -v[24:25], v[38:39], v[36:37]
	v_div_fmas_f64 v[24:25], v[24:25], v[34:35], v[38:39]
	v_div_fixup_f64 v[8:9], v[24:25], v[8:9], 1.0
	v_lshlrev_b64 v[24:25], 3, v[0:1]
	v_add_nc_u32_e32 v0, s2, v0
	v_add_co_u32 v34, vcc_lo, s10, v24
	v_add_co_ci_u32_e64 v35, null, s11, v25, vcc_lo
	v_add_co_u32 v24, vcc_lo, s12, v24
	v_add_co_ci_u32_e64 v25, null, s13, v25, vcc_lo
	global_load_dwordx2 v[34:35], v[34:35], off
	v_mul_f64 v[8:9], v[30:31], v[8:9]
	v_min_f64 v[8:9], v[8:9], s[0:1]
	s_waitcnt vmcnt(0)
	v_mul_f64 v[8:9], v[34:35], v[8:9]
	global_store_dwordx2 v[24:25], v[8:9], off
	s_clause 0x5
	global_load_dwordx2 v[8:9], v[26:27], off
	global_load_dwordx2 v[22:23], v[22:23], off
	;; [unrolled: 1-line block ×6, first 2 shown]
	s_waitcnt vmcnt(4)
	v_mul_f64 v[22:23], v[8:9], v[22:23]
	s_waitcnt vmcnt(3)
	v_mul_f64 v[20:21], v[20:21], v[16:17]
	;; [unrolled: 2-line block ×4, first 2 shown]
	v_div_scale_f64 v[24:25], null, v[22:23], v[22:23], 1.0
	v_rcp_f64_e32 v[26:27], v[24:25]
	v_fma_f64 v[34:35], -v[24:25], v[26:27], 1.0
	v_fma_f64 v[26:27], v[26:27], v[34:35], v[26:27]
	v_fma_f64 v[34:35], -v[24:25], v[26:27], 1.0
	v_fma_f64 v[26:27], v[26:27], v[34:35], v[26:27]
	v_div_scale_f64 v[34:35], vcc_lo, 1.0, v[22:23], 1.0
	v_mul_f64 v[36:37], v[34:35], v[26:27]
	v_fma_f64 v[24:25], -v[24:25], v[36:37], v[34:35]
	v_div_fmas_f64 v[24:25], v[24:25], v[26:27], v[36:37]
	v_div_fixup_f64 v[22:23], v[24:25], v[22:23], 1.0
	v_lshlrev_b64 v[24:25], 3, v[0:1]
	v_add_nc_u32_e32 v0, s2, v0
	v_add_co_u32 v26, vcc_lo, s10, v24
	v_add_co_ci_u32_e64 v27, null, s11, v25, vcc_lo
	v_add_co_u32 v24, vcc_lo, s12, v24
	v_add_co_ci_u32_e64 v25, null, s13, v25, vcc_lo
	global_load_dwordx2 v[26:27], v[26:27], off
	v_mul_f64 v[22:23], v[30:31], v[22:23]
	v_min_f64 v[22:23], v[22:23], s[0:1]
	s_waitcnt vmcnt(0)
	v_mul_f64 v[22:23], v[26:27], v[22:23]
	global_store_dwordx2 v[24:25], v[22:23], off
	v_div_scale_f64 v[24:25], null, v[20:21], v[20:21], 1.0
	v_mul_f64 v[22:23], v[32:33], v[28:29]
	v_rcp_f64_e32 v[26:27], v[24:25]
	v_fma_f64 v[30:31], -v[24:25], v[26:27], 1.0
	v_fma_f64 v[26:27], v[26:27], v[30:31], v[26:27]
	v_fma_f64 v[30:31], -v[24:25], v[26:27], 1.0
	v_fma_f64 v[26:27], v[26:27], v[30:31], v[26:27]
	v_div_scale_f64 v[30:31], vcc_lo, 1.0, v[20:21], 1.0
	v_mul_f64 v[32:33], v[30:31], v[26:27]
	v_fma_f64 v[24:25], -v[24:25], v[32:33], v[30:31]
	v_div_fmas_f64 v[24:25], v[24:25], v[26:27], v[32:33]
	v_div_fixup_f64 v[20:21], v[24:25], v[20:21], 1.0
	v_mul_f64 v[20:21], v[22:23], v[20:21]
	v_lshlrev_b64 v[22:23], 3, v[0:1]
	v_add_nc_u32_e32 v0, s2, v0
	v_add_co_u32 v24, vcc_lo, s10, v22
	v_add_co_ci_u32_e64 v25, null, s11, v23, vcc_lo
	v_add_co_u32 v22, vcc_lo, s12, v22
	v_add_co_ci_u32_e64 v23, null, s13, v23, vcc_lo
	global_load_dwordx2 v[24:25], v[24:25], off
	v_min_f64 v[20:21], v[20:21], s[0:1]
	s_waitcnt vmcnt(0)
	v_mul_f64 v[20:21], v[24:25], v[20:21]
	global_store_dwordx2 v[22:23], v[20:21], off
	v_mul_f64 v[22:23], v[8:9], v[16:17]
	v_mul_f64 v[20:21], v[4:5], v[28:29]
	v_div_scale_f64 v[16:17], null, v[6:7], v[6:7], 1.0
	v_div_scale_f64 v[24:25], null, v[22:23], v[22:23], 1.0
	v_rcp_f64_e32 v[26:27], v[24:25]
	v_fma_f64 v[30:31], -v[24:25], v[26:27], 1.0
	v_fma_f64 v[26:27], v[26:27], v[30:31], v[26:27]
	v_fma_f64 v[30:31], -v[24:25], v[26:27], 1.0
	v_fma_f64 v[26:27], v[26:27], v[30:31], v[26:27]
	v_div_scale_f64 v[30:31], vcc_lo, 1.0, v[22:23], 1.0
	v_mul_f64 v[32:33], v[30:31], v[26:27]
	v_fma_f64 v[24:25], -v[24:25], v[32:33], v[30:31]
	v_div_fmas_f64 v[24:25], v[24:25], v[26:27], v[32:33]
	v_div_fixup_f64 v[22:23], v[24:25], v[22:23], 1.0
	v_mul_f64 v[20:21], v[20:21], v[22:23]
	v_lshlrev_b64 v[22:23], 3, v[0:1]
	v_add_nc_u32_e32 v0, s2, v0
	v_add_co_u32 v24, vcc_lo, s10, v22
	v_add_co_ci_u32_e64 v25, null, s11, v23, vcc_lo
	v_add_co_u32 v22, vcc_lo, s12, v22
	v_add_co_ci_u32_e64 v23, null, s13, v23, vcc_lo
	global_load_dwordx2 v[24:25], v[24:25], off
	v_min_f64 v[20:21], v[20:21], s[0:1]
	s_waitcnt vmcnt(0)
	v_mul_f64 v[20:21], v[24:25], v[20:21]
	global_store_dwordx2 v[22:23], v[20:21], off
	v_rcp_f64_e32 v[20:21], v[16:17]
	v_fma_f64 v[22:23], -v[16:17], v[20:21], 1.0
	v_fma_f64 v[20:21], v[20:21], v[22:23], v[20:21]
	v_fma_f64 v[22:23], -v[16:17], v[20:21], 1.0
	v_fma_f64 v[20:21], v[20:21], v[22:23], v[20:21]
	v_div_scale_f64 v[22:23], vcc_lo, 1.0, v[6:7], 1.0
	v_mul_f64 v[24:25], v[22:23], v[20:21]
	v_fma_f64 v[16:17], -v[16:17], v[24:25], v[22:23]
	v_div_fmas_f64 v[16:17], v[16:17], v[20:21], v[24:25]
	v_div_fixup_f64 v[6:7], v[16:17], v[6:7], 1.0
	v_lshlrev_b64 v[16:17], 3, v[0:1]
	v_mul_f64 v[6:7], v[18:19], v[6:7]
	v_add_co_u32 v18, vcc_lo, s10, v16
	v_add_co_ci_u32_e64 v19, null, s11, v17, vcc_lo
	v_add_co_u32 v16, vcc_lo, s12, v16
	v_add_co_ci_u32_e64 v17, null, s13, v17, vcc_lo
	global_load_dwordx2 v[18:19], v[18:19], off
	v_min_f64 v[6:7], v[6:7], s[0:1]
	s_waitcnt vmcnt(0)
	v_mul_f64 v[6:7], v[18:19], v[6:7]
	global_store_dwordx2 v[16:17], v[6:7], off
	global_load_dwordx2 v[6:7], v[14:15], off
	s_waitcnt vmcnt(0)
	v_mul_f64 v[14:15], v[8:9], v[6:7]
	v_mul_f64 v[2:3], v[2:3], v[6:7]
	;; [unrolled: 1-line block ×3, first 2 shown]
	v_mad_u64_u32 v[14:15], null, 0xffffffdd, s2, v[0:1]
	v_mov_b32_e32 v15, v1
	v_lshlrev_b64 v[15:16], 3, v[14:15]
	v_add_co_u32 v15, vcc_lo, s14, v15
	v_add_co_ci_u32_e64 v16, null, s15, v16, vcc_lo
	global_load_dwordx2 v[15:16], v[15:16], off
	s_waitcnt vmcnt(0)
	v_div_scale_f64 v[17:18], null, v[15:16], v[15:16], 1.0
	v_rcp_f64_e32 v[19:20], v[17:18]
	v_fma_f64 v[21:22], -v[17:18], v[19:20], 1.0
	v_fma_f64 v[19:20], v[19:20], v[21:22], v[19:20]
	v_fma_f64 v[21:22], -v[17:18], v[19:20], 1.0
	v_fma_f64 v[19:20], v[19:20], v[21:22], v[19:20]
	v_div_scale_f64 v[21:22], vcc_lo, 1.0, v[15:16], 1.0
	v_mul_f64 v[23:24], v[21:22], v[19:20]
	v_fma_f64 v[17:18], -v[17:18], v[23:24], v[21:22]
	v_div_fmas_f64 v[17:18], v[17:18], v[19:20], v[23:24]
	v_div_fixup_f64 v[17:18], v[17:18], v[15:16], 1.0
	v_mul_f64 v[4:5], v[4:5], v[17:18]
	v_mad_u64_u32 v[17:18], null, s2, 36, v[14:15]
	v_mov_b32_e32 v18, v1
	v_lshlrev_b64 v[18:19], 3, v[17:18]
	v_add_nc_u32_e32 v0, s2, v17
	v_add_co_u32 v20, vcc_lo, s10, v18
	v_add_co_ci_u32_e64 v21, null, s11, v19, vcc_lo
	v_add_co_u32 v18, vcc_lo, s12, v18
	v_add_co_ci_u32_e64 v19, null, s13, v19, vcc_lo
	global_load_dwordx2 v[20:21], v[20:21], off
	v_min_f64 v[4:5], v[4:5], s[0:1]
	s_waitcnt vmcnt(0)
	v_mul_f64 v[4:5], v[20:21], v[4:5]
	global_store_dwordx2 v[18:19], v[4:5], off
	global_load_dwordx2 v[4:5], v[12:13], off
	v_mul_f64 v[12:13], v[8:9], v[15:16]
	v_div_scale_f64 v[14:15], null, v[12:13], v[12:13], 1.0
	v_rcp_f64_e32 v[18:19], v[14:15]
	v_fma_f64 v[20:21], -v[14:15], v[18:19], 1.0
	v_fma_f64 v[18:19], v[18:19], v[20:21], v[18:19]
	v_fma_f64 v[20:21], -v[14:15], v[18:19], 1.0
	v_fma_f64 v[18:19], v[18:19], v[20:21], v[18:19]
	v_div_scale_f64 v[20:21], vcc_lo, 1.0, v[12:13], 1.0
	v_mul_f64 v[22:23], v[20:21], v[18:19]
	v_fma_f64 v[14:15], -v[14:15], v[22:23], v[20:21]
	v_div_fmas_f64 v[14:15], v[14:15], v[18:19], v[22:23]
	v_div_fixup_f64 v[12:13], v[14:15], v[12:13], 1.0
	s_waitcnt vmcnt(0)
	v_mul_f64 v[4:5], v[4:5], v[6:7]
	v_mul_f64 v[4:5], v[4:5], v[12:13]
	v_lshlrev_b64 v[12:13], 3, v[0:1]
	v_add_nc_u32_e32 v0, s2, v0
	v_add_co_u32 v14, vcc_lo, s10, v12
	v_add_co_ci_u32_e64 v15, null, s11, v13, vcc_lo
	v_add_co_u32 v12, vcc_lo, s12, v12
	v_add_co_ci_u32_e64 v13, null, s13, v13, vcc_lo
	global_load_dwordx2 v[14:15], v[14:15], off
	v_lshlrev_b64 v[0:1], 3, v[0:1]
	v_min_f64 v[4:5], v[4:5], s[0:1]
	s_waitcnt vmcnt(0)
	v_mul_f64 v[4:5], v[14:15], v[4:5]
	global_store_dwordx2 v[12:13], v[4:5], off
	global_load_dwordx2 v[4:5], v[10:11], off
	s_waitcnt vmcnt(0)
	v_mul_f64 v[4:5], v[8:9], v[4:5]
	v_div_scale_f64 v[6:7], null, v[4:5], v[4:5], 1.0
	v_rcp_f64_e32 v[8:9], v[6:7]
	v_fma_f64 v[10:11], -v[6:7], v[8:9], 1.0
	v_fma_f64 v[8:9], v[8:9], v[10:11], v[8:9]
	v_fma_f64 v[10:11], -v[6:7], v[8:9], 1.0
	v_fma_f64 v[8:9], v[8:9], v[10:11], v[8:9]
	v_div_scale_f64 v[10:11], vcc_lo, 1.0, v[4:5], 1.0
	v_mul_f64 v[12:13], v[10:11], v[8:9]
	v_fma_f64 v[6:7], -v[6:7], v[12:13], v[10:11]
	v_div_fmas_f64 v[6:7], v[6:7], v[8:9], v[12:13]
	v_div_fixup_f64 v[4:5], v[6:7], v[4:5], 1.0
	v_mul_f64 v[2:3], v[2:3], v[4:5]
	v_add_co_u32 v4, vcc_lo, s10, v0
	v_add_co_ci_u32_e64 v5, null, s11, v1, vcc_lo
	v_add_co_u32 v0, vcc_lo, s12, v0
	v_add_co_ci_u32_e64 v1, null, s13, v1, vcc_lo
	global_load_dwordx2 v[4:5], v[4:5], off
	v_min_f64 v[2:3], v[2:3], s[0:1]
	s_waitcnt vmcnt(0)
	v_mul_f64 v[2:3], v[4:5], v[2:3]
	global_store_dwordx2 v[0:1], v[2:3], off
	s_endpgm
	.section	.rodata,"a",@progbits
	.p2align	6, 0x0
	.amdhsa_kernel _Z12ratt3_kernelIdEvPKT_S2_PS0_S2_S0_
		.amdhsa_group_segment_fixed_size 0
		.amdhsa_private_segment_fixed_size 0
		.amdhsa_kernarg_size 296
		.amdhsa_user_sgpr_count 6
		.amdhsa_user_sgpr_private_segment_buffer 1
		.amdhsa_user_sgpr_dispatch_ptr 0
		.amdhsa_user_sgpr_queue_ptr 0
		.amdhsa_user_sgpr_kernarg_segment_ptr 1
		.amdhsa_user_sgpr_dispatch_id 0
		.amdhsa_user_sgpr_flat_scratch_init 0
		.amdhsa_user_sgpr_private_segment_size 0
		.amdhsa_wavefront_size32 1
		.amdhsa_uses_dynamic_stack 0
		.amdhsa_system_sgpr_private_segment_wavefront_offset 0
		.amdhsa_system_sgpr_workgroup_id_x 1
		.amdhsa_system_sgpr_workgroup_id_y 0
		.amdhsa_system_sgpr_workgroup_id_z 0
		.amdhsa_system_sgpr_workgroup_info 0
		.amdhsa_system_vgpr_workitem_id 0
		.amdhsa_next_free_vgpr 64
		.amdhsa_next_free_sgpr 16
		.amdhsa_reserve_vcc 1
		.amdhsa_reserve_flat_scratch 0
		.amdhsa_float_round_mode_32 0
		.amdhsa_float_round_mode_16_64 0
		.amdhsa_float_denorm_mode_32 3
		.amdhsa_float_denorm_mode_16_64 3
		.amdhsa_dx10_clamp 1
		.amdhsa_ieee_mode 1
		.amdhsa_fp16_overflow 0
		.amdhsa_workgroup_processor_mode 1
		.amdhsa_memory_ordered 1
		.amdhsa_forward_progress 1
		.amdhsa_shared_vgpr_count 0
		.amdhsa_exception_fp_ieee_invalid_op 0
		.amdhsa_exception_fp_denorm_src 0
		.amdhsa_exception_fp_ieee_div_zero 0
		.amdhsa_exception_fp_ieee_overflow 0
		.amdhsa_exception_fp_ieee_underflow 0
		.amdhsa_exception_fp_ieee_inexact 0
		.amdhsa_exception_int_div_zero 0
	.end_amdhsa_kernel
	.section	.text._Z12ratt3_kernelIdEvPKT_S2_PS0_S2_S0_,"axG",@progbits,_Z12ratt3_kernelIdEvPKT_S2_PS0_S2_S0_,comdat
.Lfunc_end31:
	.size	_Z12ratt3_kernelIdEvPKT_S2_PS0_S2_S0_, .Lfunc_end31-_Z12ratt3_kernelIdEvPKT_S2_PS0_S2_S0_
                                        ; -- End function
	.set _Z12ratt3_kernelIdEvPKT_S2_PS0_S2_S0_.num_vgpr, 64
	.set _Z12ratt3_kernelIdEvPKT_S2_PS0_S2_S0_.num_agpr, 0
	.set _Z12ratt3_kernelIdEvPKT_S2_PS0_S2_S0_.numbered_sgpr, 16
	.set _Z12ratt3_kernelIdEvPKT_S2_PS0_S2_S0_.num_named_barrier, 0
	.set _Z12ratt3_kernelIdEvPKT_S2_PS0_S2_S0_.private_seg_size, 0
	.set _Z12ratt3_kernelIdEvPKT_S2_PS0_S2_S0_.uses_vcc, 1
	.set _Z12ratt3_kernelIdEvPKT_S2_PS0_S2_S0_.uses_flat_scratch, 0
	.set _Z12ratt3_kernelIdEvPKT_S2_PS0_S2_S0_.has_dyn_sized_stack, 0
	.set _Z12ratt3_kernelIdEvPKT_S2_PS0_S2_S0_.has_recursion, 0
	.set _Z12ratt3_kernelIdEvPKT_S2_PS0_S2_S0_.has_indirect_call, 0
	.section	.AMDGPU.csdata,"",@progbits
; Kernel info:
; codeLenInByte = 5656
; TotalNumSgprs: 18
; NumVgprs: 64
; ScratchSize: 0
; MemoryBound: 0
; FloatMode: 240
; IeeeMode: 1
; LDSByteSize: 0 bytes/workgroup (compile time only)
; SGPRBlocks: 0
; VGPRBlocks: 7
; NumSGPRsForWavesPerEU: 18
; NumVGPRsForWavesPerEU: 64
; Occupancy: 16
; WaveLimiterHint : 0
; COMPUTE_PGM_RSRC2:SCRATCH_EN: 0
; COMPUTE_PGM_RSRC2:USER_SGPR: 6
; COMPUTE_PGM_RSRC2:TRAP_HANDLER: 0
; COMPUTE_PGM_RSRC2:TGID_X_EN: 1
; COMPUTE_PGM_RSRC2:TGID_Y_EN: 0
; COMPUTE_PGM_RSRC2:TGID_Z_EN: 0
; COMPUTE_PGM_RSRC2:TIDIG_COMP_CNT: 0
	.section	.text._Z12ratt4_kernelIdEvPKT_S2_PS0_S2_S0_,"axG",@progbits,_Z12ratt4_kernelIdEvPKT_S2_PS0_S2_S0_,comdat
	.protected	_Z12ratt4_kernelIdEvPKT_S2_PS0_S2_S0_ ; -- Begin function _Z12ratt4_kernelIdEvPKT_S2_PS0_S2_S0_
	.globl	_Z12ratt4_kernelIdEvPKT_S2_PS0_S2_S0_
	.p2align	8
	.type	_Z12ratt4_kernelIdEvPKT_S2_PS0_S2_S0_,@function
_Z12ratt4_kernelIdEvPKT_S2_PS0_S2_S0_:  ; @_Z12ratt4_kernelIdEvPKT_S2_PS0_S2_S0_
; %bb.0:
	s_clause 0x3
	s_load_dwordx8 s[8:15], s[4:5], 0x0
	s_load_dwordx2 s[0:1], s[4:5], 0x20
	s_load_dword s2, s[4:5], 0x28
	s_load_dword s3, s[4:5], 0x34
	s_waitcnt lgkmcnt(0)
	s_and_b32 s3, s3, 0xffff
	v_mad_u64_u32 v[0:1], null, s6, s3, v[0:1]
	v_mov_b32_e32 v1, 0
	s_mul_i32 s2, s2, s3
	s_mul_i32 s3, s2, 3
	;; [unrolled: 1-line block ×3, first 2 shown]
	v_lshlrev_b64 v[12:13], 3, v[0:1]
	v_add_co_u32 v2, vcc_lo, s8, v12
	v_add_co_ci_u32_e64 v3, null, s9, v13, vcc_lo
	global_load_dwordx2 v[2:3], v[2:3], off
	s_waitcnt vmcnt(0)
	v_mul_f64 v[2:3], s[0:1], v[2:3]
	s_brev_b32 s0, 12
	s_mov_b32 s1, 0x4193d2c6
	v_mul_f64 v[2:3], v[2:3], s[0:1]
	s_mov_b32 s0, 0x4357691b
	s_mov_b32 s1, 0x479e17b8
	v_div_scale_f64 v[4:5], null, v[2:3], v[2:3], 1.0
	v_rcp_f64_e32 v[6:7], v[4:5]
	v_fma_f64 v[8:9], -v[4:5], v[6:7], 1.0
	v_fma_f64 v[6:7], v[6:7], v[8:9], v[6:7]
	v_fma_f64 v[8:9], -v[4:5], v[6:7], 1.0
	v_fma_f64 v[6:7], v[6:7], v[8:9], v[6:7]
	v_div_scale_f64 v[8:9], vcc_lo, 1.0, v[2:3], 1.0
	v_mul_f64 v[10:11], v[8:9], v[6:7]
	v_fma_f64 v[4:5], -v[4:5], v[10:11], v[8:9]
	v_div_fmas_f64 v[4:5], v[4:5], v[6:7], v[10:11]
	v_div_fixup_f64 v[2:3], v[4:5], v[2:3], 1.0
	v_mul_f64 v[14:15], 0x412eec04, v[2:3]
	v_add_nc_u32_e32 v2, s3, v0
	v_mov_b32_e32 v3, v1
	v_add_nc_u32_e32 v0, s2, v0
	v_lshlrev_b64 v[4:5], 3, v[2:3]
	v_mad_u64_u32 v[2:3], null, s2, 6, v[2:3]
	v_mov_b32_e32 v3, v1
	v_add_co_u32 v4, vcc_lo, s14, v4
	v_add_co_ci_u32_e64 v5, null, s15, v5, vcc_lo
	v_lshlrev_b64 v[6:7], 3, v[2:3]
	v_mad_u64_u32 v[2:3], null, s2, -5, v[2:3]
	v_mov_b32_e32 v3, v1
	global_load_dwordx2 v[20:21], v[4:5], off
	v_add_co_u32 v16, vcc_lo, s14, v6
	v_add_co_ci_u32_e64 v17, null, s15, v7, vcc_lo
	v_lshlrev_b64 v[6:7], 3, v[2:3]
	v_mad_u64_u32 v[2:3], null, s2, 11, v[2:3]
	v_mov_b32_e32 v3, v1
	global_load_dwordx2 v[34:35], v[16:17], off
	v_add_co_u32 v6, vcc_lo, s14, v6
	v_add_co_ci_u32_e64 v7, null, s15, v7, vcc_lo
	v_lshlrev_b64 v[8:9], 3, v[2:3]
	v_mad_u64_u32 v[2:3], null, s2, 35, v[2:3]
	global_load_dwordx2 v[22:23], v[6:7], off
	v_mov_b32_e32 v3, v1
	v_add_co_u32 v8, vcc_lo, s14, v8
	v_add_co_ci_u32_e64 v9, null, s15, v9, vcc_lo
	v_lshlrev_b64 v[2:3], 3, v[2:3]
	s_clause 0x1
	global_load_dwordx2 v[30:31], v[8:9], off
	global_load_dwordx2 v[16:17], v[16:17], off
	s_waitcnt vmcnt(3)
	v_mul_f64 v[10:11], v[20:21], v[34:35]
	s_waitcnt vmcnt(1)
	v_mul_f64 v[18:19], v[22:23], v[30:31]
	v_div_scale_f64 v[24:25], null, v[18:19], v[18:19], 1.0
	v_rcp_f64_e32 v[26:27], v[24:25]
	v_fma_f64 v[28:29], -v[24:25], v[26:27], 1.0
	v_fma_f64 v[26:27], v[26:27], v[28:29], v[26:27]
	v_fma_f64 v[28:29], -v[24:25], v[26:27], 1.0
	v_fma_f64 v[26:27], v[26:27], v[28:29], v[26:27]
	v_div_scale_f64 v[28:29], vcc_lo, 1.0, v[18:19], 1.0
	v_mul_f64 v[32:33], v[28:29], v[26:27]
	v_fma_f64 v[24:25], -v[24:25], v[32:33], v[28:29]
	v_div_fmas_f64 v[24:25], v[24:25], v[26:27], v[32:33]
	v_mad_u64_u32 v[26:27], null, s2, 13, v[0:1]
	v_mov_b32_e32 v27, v1
	v_div_fixup_f64 v[18:19], v[24:25], v[18:19], 1.0
	v_add_co_u32 v24, vcc_lo, s10, v2
	v_add_co_ci_u32_e64 v25, null, s11, v3, vcc_lo
	v_add_co_u32 v2, vcc_lo, s12, v2
	v_add_co_ci_u32_e64 v3, null, s13, v3, vcc_lo
	global_load_dwordx2 v[24:25], v[24:25], off
	v_mul_f64 v[18:19], v[10:11], v[18:19]
	v_min_f64 v[18:19], v[18:19], s[0:1]
	s_waitcnt vmcnt(0)
	v_mul_f64 v[18:19], v[24:25], v[18:19]
	v_lshlrev_b64 v[24:25], 3, v[26:27]
	global_store_dwordx2 v[2:3], v[18:19], off
	v_lshlrev_b64 v[2:3], 3, v[0:1]
	v_add_co_u32 v18, vcc_lo, s14, v2
	v_add_co_ci_u32_e64 v19, null, s15, v3, vcc_lo
	v_add_co_u32 v24, vcc_lo, s14, v24
	v_add_co_ci_u32_e64 v25, null, s15, v25, vcc_lo
	s_clause 0x1
	global_load_dwordx2 v[28:29], v[18:19], off
	global_load_dwordx2 v[32:33], v[24:25], off
	s_waitcnt vmcnt(1)
	v_mul_f64 v[2:3], v[28:29], v[28:29]
	v_mul_f64 v[30:31], v[30:31], v[28:29]
	s_waitcnt vmcnt(0)
	v_mul_f64 v[2:3], v[2:3], v[32:33]
	v_mul_f64 v[2:3], v[14:15], v[2:3]
	v_div_scale_f64 v[32:33], null, v[2:3], v[2:3], 1.0
	v_rcp_f64_e32 v[36:37], v[32:33]
	v_fma_f64 v[38:39], -v[32:33], v[36:37], 1.0
	v_fma_f64 v[36:37], v[36:37], v[38:39], v[36:37]
	v_fma_f64 v[38:39], -v[32:33], v[36:37], 1.0
	v_fma_f64 v[36:37], v[36:37], v[38:39], v[36:37]
	v_div_scale_f64 v[38:39], vcc_lo, 1.0, v[2:3], 1.0
	v_mul_f64 v[40:41], v[38:39], v[36:37]
	v_fma_f64 v[32:33], -v[32:33], v[40:41], v[38:39]
	v_div_fmas_f64 v[32:33], v[32:33], v[36:37], v[40:41]
	v_div_fixup_f64 v[2:3], v[32:33], v[2:3], 1.0
	v_mul_f64 v[2:3], v[10:11], v[2:3]
	v_mad_u64_u32 v[10:11], null, s2, 37, v[26:27]
	v_mov_b32_e32 v11, v1
	v_lshlrev_b64 v[26:27], 3, v[10:11]
	v_mad_u64_u32 v[10:11], null, 0xffffffdd, s2, v[10:11]
	v_mov_b32_e32 v11, v1
	v_add_co_u32 v32, vcc_lo, s10, v26
	v_add_co_ci_u32_e64 v33, null, s11, v27, vcc_lo
	v_add_co_u32 v26, vcc_lo, s12, v26
	v_add_co_ci_u32_e64 v27, null, s13, v27, vcc_lo
	global_load_dwordx2 v[32:33], v[32:33], off
	v_min_f64 v[2:3], v[2:3], s[0:1]
	s_waitcnt vmcnt(0)
	v_mul_f64 v[2:3], v[32:33], v[2:3]
	global_store_dwordx2 v[26:27], v[2:3], off
	v_lshlrev_b64 v[26:27], 3, v[10:11]
	v_mad_u64_u32 v[10:11], null, s2, 36, v[10:11]
	v_mov_b32_e32 v11, v1
	v_mul_f64 v[2:3], v[34:35], v[22:23]
	v_add_co_u32 v26, vcc_lo, s14, v26
	v_add_co_ci_u32_e64 v27, null, s15, v27, vcc_lo
	v_add_nc_u32_e32 v0, s4, v10
	global_load_dwordx2 v[32:33], v[26:27], off
	s_waitcnt vmcnt(0)
	v_mul_f64 v[36:37], v[28:29], v[32:33]
	v_mul_f64 v[32:33], v[22:23], v[32:33]
	v_div_scale_f64 v[38:39], null, v[36:37], v[36:37], 1.0
	v_rcp_f64_e32 v[40:41], v[38:39]
	v_fma_f64 v[42:43], -v[38:39], v[40:41], 1.0
	v_fma_f64 v[40:41], v[40:41], v[42:43], v[40:41]
	v_fma_f64 v[42:43], -v[38:39], v[40:41], 1.0
	v_fma_f64 v[40:41], v[40:41], v[42:43], v[40:41]
	v_div_scale_f64 v[42:43], vcc_lo, 1.0, v[36:37], 1.0
	v_mul_f64 v[44:45], v[42:43], v[40:41]
	v_fma_f64 v[38:39], -v[38:39], v[44:45], v[42:43]
	v_div_fmas_f64 v[38:39], v[38:39], v[40:41], v[44:45]
	v_div_fixup_f64 v[40:41], v[38:39], v[36:37], 1.0
	v_lshlrev_b64 v[38:39], 3, v[10:11]
	v_lshlrev_b64 v[10:11], 3, v[0:1]
	v_add_nc_u32_e32 v0, s3, v0
	s_mul_i32 s3, s2, 48
	v_add_co_u32 v42, vcc_lo, s10, v38
	v_add_co_ci_u32_e64 v43, null, s11, v39, vcc_lo
	v_add_co_u32 v38, vcc_lo, s12, v38
	v_add_co_ci_u32_e64 v39, null, s13, v39, vcc_lo
	global_load_dwordx2 v[42:43], v[42:43], off
	v_add_co_u32 v10, vcc_lo, s14, v10
	v_add_co_ci_u32_e64 v11, null, s15, v11, vcc_lo
	v_mul_f64 v[36:37], v[2:3], v[40:41]
	v_min_f64 v[36:37], v[36:37], s[0:1]
	s_waitcnt vmcnt(0)
	v_mul_f64 v[36:37], v[42:43], v[36:37]
	global_store_dwordx2 v[38:39], v[36:37], off
	v_lshlrev_b64 v[38:39], 3, v[0:1]
	global_load_dwordx2 v[36:37], v[10:11], off
	v_add_co_u32 v38, vcc_lo, s14, v38
	v_add_co_ci_u32_e64 v39, null, s15, v39, vcc_lo
	global_load_dwordx2 v[48:49], v[38:39], off
	s_waitcnt vmcnt(0)
	v_mul_f64 v[38:39], v[36:37], v[48:49]
	v_div_scale_f64 v[42:43], null, v[38:39], v[38:39], 1.0
	v_rcp_f64_e32 v[44:45], v[42:43]
	v_fma_f64 v[46:47], -v[42:43], v[44:45], 1.0
	v_fma_f64 v[44:45], v[44:45], v[46:47], v[44:45]
	v_fma_f64 v[46:47], -v[42:43], v[44:45], 1.0
	v_fma_f64 v[44:45], v[44:45], v[46:47], v[44:45]
	v_div_scale_f64 v[46:47], vcc_lo, 1.0, v[38:39], 1.0
	v_mul_f64 v[50:51], v[46:47], v[44:45]
	v_fma_f64 v[42:43], -v[42:43], v[50:51], v[46:47]
	v_div_fmas_f64 v[42:43], v[42:43], v[44:45], v[50:51]
	v_div_fixup_f64 v[38:39], v[42:43], v[38:39], 1.0
	v_mul_f64 v[2:3], v[2:3], v[38:39]
	v_mad_u64_u32 v[38:39], null, s2, 45, v[0:1]
	v_mov_b32_e32 v39, v1
	v_lshlrev_b64 v[42:43], 3, v[38:39]
	v_add_nc_u32_e32 v0, s4, v38
	v_add_co_u32 v44, vcc_lo, s10, v42
	v_add_co_ci_u32_e64 v45, null, s11, v43, vcc_lo
	v_add_co_u32 v42, vcc_lo, s12, v42
	v_add_co_ci_u32_e64 v43, null, s13, v43, vcc_lo
	global_load_dwordx2 v[44:45], v[44:45], off
	v_min_f64 v[2:3], v[2:3], s[0:1]
	s_waitcnt vmcnt(0)
	v_mul_f64 v[2:3], v[44:45], v[2:3]
	global_store_dwordx2 v[42:43], v[2:3], off
	v_lshlrev_b64 v[2:3], 3, v[0:1]
	v_div_scale_f64 v[42:43], null, v[32:33], v[32:33], 1.0
	v_add_nc_u32_e32 v0, s3, v0
	v_add_co_u32 v2, vcc_lo, s14, v2
	v_add_co_ci_u32_e64 v3, null, s15, v3, vcc_lo
	global_load_dwordx2 v[38:39], v[2:3], off
	v_rcp_f64_e32 v[44:45], v[42:43]
	v_fma_f64 v[46:47], -v[42:43], v[44:45], 1.0
	v_fma_f64 v[44:45], v[44:45], v[46:47], v[44:45]
	v_fma_f64 v[46:47], -v[42:43], v[44:45], 1.0
	v_fma_f64 v[44:45], v[44:45], v[46:47], v[44:45]
	v_div_scale_f64 v[46:47], vcc_lo, 1.0, v[32:33], 1.0
	v_mul_f64 v[50:51], v[46:47], v[44:45]
	v_fma_f64 v[42:43], -v[42:43], v[50:51], v[46:47]
	v_div_fmas_f64 v[42:43], v[42:43], v[44:45], v[50:51]
	v_div_fixup_f64 v[32:33], v[42:43], v[32:33], 1.0
	s_waitcnt vmcnt(0)
	v_mul_f64 v[38:39], v[34:35], v[38:39]
	v_mul_f64 v[32:33], v[32:33], v[38:39]
	v_lshlrev_b64 v[38:39], 3, v[0:1]
	v_add_co_u32 v42, vcc_lo, s10, v38
	v_add_co_ci_u32_e64 v43, null, s11, v39, vcc_lo
	v_add_co_u32 v38, vcc_lo, s12, v38
	v_add_co_ci_u32_e64 v39, null, s13, v39, vcc_lo
	global_load_dwordx2 v[42:43], v[42:43], off
	v_min_f64 v[32:33], v[32:33], s[0:1]
	s_waitcnt vmcnt(0)
	v_mul_f64 v[32:33], v[42:43], v[32:33]
	global_store_dwordx2 v[38:39], v[32:33], off
	v_mad_u64_u32 v[32:33], null, 0xffffffd7, s2, v[0:1]
	v_mov_b32_e32 v33, v1
	v_lshlrev_b64 v[38:39], 3, v[32:33]
	v_mad_u64_u32 v[32:33], null, s2, 12, v[32:33]
	v_mov_b32_e32 v33, v1
	v_add_co_u32 v38, vcc_lo, s14, v38
	v_add_co_ci_u32_e64 v39, null, s15, v39, vcc_lo
	v_lshlrev_b64 v[46:47], 3, v[32:33]
	v_mad_u64_u32 v[32:33], null, s2, 30, v[32:33]
	global_load_dwordx2 v[42:43], v[38:39], off
	v_mov_b32_e32 v33, v1
	v_add_co_u32 v46, vcc_lo, s14, v46
	v_add_co_ci_u32_e64 v47, null, s15, v47, vcc_lo
	global_load_dwordx2 v[46:47], v[46:47], off
	s_waitcnt vmcnt(1)
	v_mul_f64 v[44:45], v[34:35], v[42:43]
	s_waitcnt vmcnt(0)
	v_div_scale_f64 v[50:51], null, v[46:47], v[46:47], 1.0
	v_mul_f64 v[44:45], v[14:15], v[44:45]
	v_rcp_f64_e32 v[52:53], v[50:51]
	v_fma_f64 v[54:55], -v[50:51], v[52:53], 1.0
	v_fma_f64 v[52:53], v[52:53], v[54:55], v[52:53]
	v_fma_f64 v[54:55], -v[50:51], v[52:53], 1.0
	v_fma_f64 v[52:53], v[52:53], v[54:55], v[52:53]
	v_div_scale_f64 v[54:55], vcc_lo, 1.0, v[46:47], 1.0
	v_mul_f64 v[56:57], v[54:55], v[52:53]
	v_fma_f64 v[50:51], -v[50:51], v[56:57], v[54:55]
	v_div_fmas_f64 v[50:51], v[50:51], v[52:53], v[56:57]
	v_div_fixup_f64 v[46:47], v[50:51], v[46:47], 1.0
	v_mul_f64 v[44:45], v[44:45], v[46:47]
	v_lshlrev_b64 v[46:47], 3, v[32:33]
	v_mad_u64_u32 v[32:33], null, 0xffffffdb, s2, v[32:33]
	v_mov_b32_e32 v33, v1
	v_add_co_u32 v50, vcc_lo, s10, v46
	v_add_co_ci_u32_e64 v51, null, s11, v47, vcc_lo
	v_add_co_u32 v46, vcc_lo, s12, v46
	v_add_co_ci_u32_e64 v47, null, s13, v47, vcc_lo
	global_load_dwordx2 v[50:51], v[50:51], off
	v_min_f64 v[44:45], v[44:45], s[0:1]
	s_waitcnt vmcnt(0)
	v_mul_f64 v[44:45], v[50:51], v[44:45]
	global_store_dwordx2 v[46:47], v[44:45], off
	v_lshlrev_b64 v[46:47], 3, v[32:33]
	v_mul_f64 v[44:45], v[34:35], v[48:49]
	v_add_co_u32 v46, vcc_lo, s14, v46
	v_add_co_ci_u32_e64 v47, null, s15, v47, vcc_lo
	global_load_dwordx2 v[46:47], v[46:47], off
	s_waitcnt vmcnt(0)
	v_mul_f64 v[50:51], v[28:29], v[46:47]
	v_div_scale_f64 v[52:53], null, v[50:51], v[50:51], 1.0
	v_rcp_f64_e32 v[54:55], v[52:53]
	v_fma_f64 v[56:57], -v[52:53], v[54:55], 1.0
	v_fma_f64 v[54:55], v[54:55], v[56:57], v[54:55]
	v_fma_f64 v[56:57], -v[52:53], v[54:55], 1.0
	v_fma_f64 v[54:55], v[54:55], v[56:57], v[54:55]
	v_div_scale_f64 v[56:57], vcc_lo, 1.0, v[50:51], 1.0
	v_mul_f64 v[58:59], v[56:57], v[54:55]
	v_fma_f64 v[52:53], -v[52:53], v[58:59], v[56:57]
	v_div_fmas_f64 v[52:53], v[52:53], v[54:55], v[58:59]
	v_div_fixup_f64 v[50:51], v[52:53], v[50:51], 1.0
	v_mul_f64 v[44:45], v[44:45], v[50:51]
	v_mad_u64_u32 v[50:51], null, s2, 38, v[32:33]
	v_mov_b32_e32 v51, v1
	v_lshlrev_b64 v[32:33], 3, v[50:51]
	v_add_nc_u32_e32 v0, s2, v50
	v_add_co_u32 v51, vcc_lo, s10, v32
	v_add_co_ci_u32_e64 v52, null, s11, v33, vcc_lo
	v_add_co_u32 v32, vcc_lo, s12, v32
	v_add_co_ci_u32_e64 v33, null, s13, v33, vcc_lo
	global_load_dwordx2 v[51:52], v[51:52], off
	v_min_f64 v[44:45], v[44:45], s[0:1]
	s_waitcnt vmcnt(0)
	v_mul_f64 v[44:45], v[51:52], v[44:45]
	global_store_dwordx2 v[32:33], v[44:45], off
	v_add_co_u32 v32, vcc_lo, s14, v12
	v_add_co_ci_u32_e64 v33, null, s15, v13, vcc_lo
	v_mul_f64 v[44:45], v[34:35], v[34:35]
	global_load_dwordx2 v[51:52], v[32:33], off
	s_waitcnt vmcnt(0)
	v_mul_f64 v[12:13], v[46:47], v[51:52]
	v_div_scale_f64 v[46:47], null, v[12:13], v[12:13], 1.0
	v_rcp_f64_e32 v[53:54], v[46:47]
	v_fma_f64 v[55:56], -v[46:47], v[53:54], 1.0
	v_fma_f64 v[53:54], v[53:54], v[55:56], v[53:54]
	v_fma_f64 v[55:56], -v[46:47], v[53:54], 1.0
	v_fma_f64 v[53:54], v[53:54], v[55:56], v[53:54]
	v_div_scale_f64 v[55:56], vcc_lo, 1.0, v[12:13], 1.0
	v_mul_f64 v[57:58], v[55:56], v[53:54]
	v_fma_f64 v[46:47], -v[46:47], v[57:58], v[55:56]
	v_div_fmas_f64 v[46:47], v[46:47], v[53:54], v[57:58]
	v_div_fixup_f64 v[12:13], v[46:47], v[12:13], 1.0
	v_mul_f64 v[12:13], v[44:45], v[12:13]
	v_lshlrev_b64 v[44:45], 3, v[0:1]
	v_add_nc_u32_e32 v0, s4, v0
	v_add_co_u32 v46, vcc_lo, s10, v44
	v_add_co_ci_u32_e64 v47, null, s11, v45, vcc_lo
	v_add_co_u32 v44, vcc_lo, s12, v44
	v_add_co_ci_u32_e64 v45, null, s13, v45, vcc_lo
	global_load_dwordx2 v[46:47], v[46:47], off
	v_min_f64 v[12:13], v[12:13], s[0:1]
	s_waitcnt vmcnt(0)
	v_mul_f64 v[12:13], v[46:47], v[12:13]
	global_store_dwordx2 v[44:45], v[12:13], off
	v_lshlrev_b64 v[12:13], 3, v[0:1]
	v_add_nc_u32_e32 v0, s3, v0
	v_add_co_u32 v44, vcc_lo, s14, v12
	v_add_co_ci_u32_e64 v45, null, s15, v13, vcc_lo
	v_div_scale_f64 v[12:13], null, v[34:35], v[34:35], 1.0
	global_load_dwordx2 v[46:47], v[44:45], off
	v_rcp_f64_e32 v[53:54], v[12:13]
	v_fma_f64 v[55:56], -v[12:13], v[53:54], 1.0
	v_fma_f64 v[53:54], v[53:54], v[55:56], v[53:54]
	v_fma_f64 v[55:56], -v[12:13], v[53:54], 1.0
	v_fma_f64 v[53:54], v[53:54], v[55:56], v[53:54]
	v_div_scale_f64 v[55:56], vcc_lo, 1.0, v[34:35], 1.0
	v_mul_f64 v[57:58], v[55:56], v[53:54]
	v_fma_f64 v[12:13], -v[12:13], v[57:58], v[55:56]
	v_div_fmas_f64 v[12:13], v[12:13], v[53:54], v[57:58]
	v_div_fixup_f64 v[12:13], v[12:13], v[34:35], 1.0
	v_lshlrev_b64 v[34:35], 3, v[0:1]
	v_add_nc_u32_e32 v0, s2, v0
	v_add_co_u32 v53, vcc_lo, s10, v34
	v_add_co_ci_u32_e64 v54, null, s11, v35, vcc_lo
	v_add_co_u32 v34, vcc_lo, s12, v34
	v_add_co_ci_u32_e64 v35, null, s13, v35, vcc_lo
	global_load_dwordx2 v[53:54], v[53:54], off
	s_waitcnt vmcnt(1)
	v_mul_f64 v[12:13], v[12:13], v[46:47]
	v_mul_f64 v[20:21], v[20:21], v[46:47]
	v_min_f64 v[12:13], v[12:13], s[0:1]
	s_waitcnt vmcnt(0)
	v_mul_f64 v[12:13], v[53:54], v[12:13]
	global_store_dwordx2 v[34:35], v[12:13], off
	v_mul_f64 v[34:35], v[48:49], v[51:52]
	v_mul_f64 v[12:13], v[28:29], v[46:47]
	v_div_scale_f64 v[48:49], null, v[34:35], v[34:35], 1.0
	v_rcp_f64_e32 v[53:54], v[48:49]
	v_fma_f64 v[55:56], -v[48:49], v[53:54], 1.0
	v_fma_f64 v[53:54], v[53:54], v[55:56], v[53:54]
	v_fma_f64 v[55:56], -v[48:49], v[53:54], 1.0
	v_fma_f64 v[53:54], v[53:54], v[55:56], v[53:54]
	v_div_scale_f64 v[55:56], vcc_lo, 1.0, v[34:35], 1.0
	v_mul_f64 v[57:58], v[55:56], v[53:54]
	v_fma_f64 v[48:49], -v[48:49], v[57:58], v[55:56]
	v_div_fmas_f64 v[48:49], v[48:49], v[53:54], v[57:58]
	v_mul_f64 v[53:54], v[42:43], v[51:52]
	v_div_fixup_f64 v[34:35], v[48:49], v[34:35], 1.0
	v_div_scale_f64 v[55:56], null, v[53:54], v[53:54], 1.0
	v_mul_f64 v[12:13], v[34:35], v[12:13]
	v_lshlrev_b64 v[34:35], 3, v[0:1]
	v_rcp_f64_e32 v[57:58], v[55:56]
	v_add_co_u32 v48, vcc_lo, s10, v34
	v_add_co_ci_u32_e64 v49, null, s11, v35, vcc_lo
	v_add_co_u32 v34, vcc_lo, s12, v34
	v_add_co_ci_u32_e64 v35, null, s13, v35, vcc_lo
	global_load_dwordx2 v[48:49], v[48:49], off
	v_min_f64 v[12:13], v[12:13], s[0:1]
	v_fma_f64 v[59:60], -v[55:56], v[57:58], 1.0
	v_fma_f64 v[57:58], v[57:58], v[59:60], v[57:58]
	v_fma_f64 v[59:60], -v[55:56], v[57:58], 1.0
	v_fma_f64 v[57:58], v[57:58], v[59:60], v[57:58]
	s_waitcnt vmcnt(0)
	v_mul_f64 v[12:13], v[48:49], v[12:13]
	global_store_dwordx2 v[34:35], v[12:13], off
	v_mad_u64_u32 v[34:35], null, 0xffffffc7, s2, v[0:1]
	v_mov_b32_e32 v35, v1
	v_lshlrev_b64 v[12:13], 3, v[34:35]
	v_mad_u64_u32 v[34:35], null, s2, 58, v[34:35]
	v_mov_b32_e32 v35, v1
	v_add_co_u32 v12, vcc_lo, s14, v12
	v_add_co_ci_u32_e64 v13, null, s15, v13, vcc_lo
	v_div_scale_f64 v[59:60], vcc_lo, 1.0, v[53:54], 1.0
	v_add_nc_u32_e32 v0, s2, v34
	global_load_dwordx2 v[48:49], v[12:13], off
	v_mul_f64 v[61:62], v[59:60], v[57:58]
	v_fma_f64 v[55:56], -v[55:56], v[61:62], v[59:60]
	v_div_fmas_f64 v[55:56], v[55:56], v[57:58], v[61:62]
	v_div_fixup_f64 v[53:54], v[55:56], v[53:54], 1.0
	v_lshlrev_b64 v[55:56], 3, v[34:35]
	v_lshlrev_b64 v[34:35], 3, v[0:1]
	v_add_nc_u32_e32 v0, s2, v0
	v_add_co_u32 v57, vcc_lo, s10, v55
	v_add_co_ci_u32_e64 v58, null, s11, v56, vcc_lo
	v_add_co_u32 v55, vcc_lo, s12, v55
	v_add_co_ci_u32_e64 v56, null, s13, v56, vcc_lo
	global_load_dwordx2 v[57:58], v[57:58], off
	s_waitcnt vmcnt(1)
	v_mul_f64 v[48:49], v[46:47], v[48:49]
	v_mul_f64 v[53:54], v[53:54], v[48:49]
	v_min_f64 v[53:54], v[53:54], s[0:1]
	s_waitcnt vmcnt(0)
	v_mul_f64 v[53:54], v[57:58], v[53:54]
	global_store_dwordx2 v[55:56], v[53:54], off
	v_div_scale_f64 v[53:54], null, v[30:31], v[30:31], 1.0
	v_rcp_f64_e32 v[55:56], v[53:54]
	v_fma_f64 v[57:58], -v[53:54], v[55:56], 1.0
	v_fma_f64 v[55:56], v[55:56], v[57:58], v[55:56]
	v_fma_f64 v[57:58], -v[53:54], v[55:56], 1.0
	v_fma_f64 v[55:56], v[55:56], v[57:58], v[55:56]
	v_div_scale_f64 v[57:58], vcc_lo, 1.0, v[30:31], 1.0
	v_mul_f64 v[59:60], v[57:58], v[55:56]
	v_fma_f64 v[53:54], -v[53:54], v[59:60], v[57:58]
	v_div_fmas_f64 v[53:54], v[53:54], v[55:56], v[59:60]
	v_div_fixup_f64 v[30:31], v[53:54], v[30:31], 1.0
	v_mul_f64 v[30:31], v[30:31], v[48:49]
	v_add_co_u32 v48, vcc_lo, s10, v34
	v_add_co_ci_u32_e64 v49, null, s11, v35, vcc_lo
	v_add_co_u32 v34, vcc_lo, s12, v34
	v_add_co_ci_u32_e64 v35, null, s13, v35, vcc_lo
	global_load_dwordx2 v[48:49], v[48:49], off
	v_min_f64 v[30:31], v[30:31], s[0:1]
	s_waitcnt vmcnt(0)
	v_mul_f64 v[30:31], v[48:49], v[30:31]
	global_store_dwordx2 v[34:35], v[30:31], off
	v_mul_f64 v[30:31], v[22:23], v[46:47]
	v_lshlrev_b64 v[34:35], 3, v[0:1]
	v_mul_f64 v[22:23], v[22:23], v[28:29]
	v_mul_f64 v[30:31], v[40:41], v[30:31]
	v_add_co_u32 v40, vcc_lo, s10, v34
	v_add_co_ci_u32_e64 v41, null, s11, v35, vcc_lo
	v_add_co_u32 v34, vcc_lo, s12, v34
	v_add_co_ci_u32_e64 v35, null, s13, v35, vcc_lo
	global_load_dwordx2 v[40:41], v[40:41], off
	v_mul_f64 v[22:23], v[22:23], v[42:43]
	v_min_f64 v[30:31], v[30:31], s[0:1]
	v_mul_f64 v[22:23], v[14:15], v[22:23]
	s_waitcnt vmcnt(0)
	v_mul_f64 v[30:31], v[30:31], v[40:41]
	global_store_dwordx2 v[34:35], v[30:31], off
	v_mad_u64_u32 v[34:35], null, 0xffffffcd, s2, v[0:1]
	v_mov_b32_e32 v35, v1
	v_mul_f64 v[30:31], v[51:52], v[46:47]
	v_lshlrev_b64 v[40:41], 3, v[34:35]
	v_mad_u64_u32 v[34:35], null, s2, 52, v[34:35]
	v_mov_b32_e32 v35, v1
	v_add_co_u32 v40, vcc_lo, s14, v40
	v_add_co_ci_u32_e64 v41, null, s15, v41, vcc_lo
	v_add_nc_u32_e32 v0, s2, v34
	global_load_dwordx2 v[40:41], v[40:41], off
	s_waitcnt vmcnt(0)
	v_mul_f64 v[40:41], v[28:29], v[40:41]
	v_div_scale_f64 v[28:29], null, v[22:23], v[22:23], 1.0
	v_div_scale_f64 v[48:49], null, v[40:41], v[40:41], 1.0
	v_rcp_f64_e32 v[50:51], v[48:49]
	v_fma_f64 v[52:53], -v[48:49], v[50:51], 1.0
	v_fma_f64 v[50:51], v[50:51], v[52:53], v[50:51]
	v_fma_f64 v[52:53], -v[48:49], v[50:51], 1.0
	v_fma_f64 v[50:51], v[50:51], v[52:53], v[50:51]
	v_div_scale_f64 v[52:53], vcc_lo, 1.0, v[40:41], 1.0
	v_mul_f64 v[54:55], v[52:53], v[50:51]
	v_fma_f64 v[48:49], -v[48:49], v[54:55], v[52:53]
	v_div_fmas_f64 v[48:49], v[48:49], v[50:51], v[54:55]
	v_div_fixup_f64 v[40:41], v[48:49], v[40:41], 1.0
	v_mul_f64 v[30:31], v[30:31], v[40:41]
	v_lshlrev_b64 v[40:41], 3, v[34:35]
	v_add_co_u32 v48, vcc_lo, s10, v40
	v_add_co_ci_u32_e64 v49, null, s11, v41, vcc_lo
	v_add_co_u32 v40, vcc_lo, s12, v40
	v_add_co_ci_u32_e64 v41, null, s13, v41, vcc_lo
	global_load_dwordx2 v[48:49], v[48:49], off
	v_min_f64 v[30:31], v[30:31], s[0:1]
	s_waitcnt vmcnt(0)
	v_mul_f64 v[30:31], v[48:49], v[30:31]
	global_store_dwordx2 v[40:41], v[30:31], off
	v_rcp_f64_e32 v[30:31], v[28:29]
	v_fma_f64 v[40:41], -v[28:29], v[30:31], 1.0
	v_fma_f64 v[30:31], v[30:31], v[40:41], v[30:31]
	v_fma_f64 v[40:41], -v[28:29], v[30:31], 1.0
	v_fma_f64 v[30:31], v[30:31], v[40:41], v[30:31]
	v_div_scale_f64 v[40:41], vcc_lo, 1.0, v[22:23], 1.0
	v_mul_f64 v[48:49], v[40:41], v[30:31]
	v_fma_f64 v[28:29], -v[28:29], v[48:49], v[40:41]
	v_div_fmas_f64 v[28:29], v[28:29], v[30:31], v[48:49]
	v_div_fixup_f64 v[22:23], v[28:29], v[22:23], 1.0
	v_lshlrev_b64 v[28:29], 3, v[0:1]
	v_add_nc_u32_e32 v0, s2, v0
	v_add_co_u32 v30, vcc_lo, s10, v28
	v_add_co_ci_u32_e64 v31, null, s11, v29, vcc_lo
	v_add_co_u32 v28, vcc_lo, s12, v28
	v_add_co_ci_u32_e64 v29, null, s13, v29, vcc_lo
	global_load_dwordx2 v[30:31], v[30:31], off
	v_mul_f64 v[22:23], v[22:23], v[20:21]
	v_min_f64 v[22:23], v[22:23], s[0:1]
	s_waitcnt vmcnt(0)
	v_mul_f64 v[22:23], v[22:23], v[30:31]
	global_store_dwordx2 v[28:29], v[22:23], off
	v_mul_f64 v[22:23], v[36:37], v[42:43]
	v_div_scale_f64 v[28:29], null, v[22:23], v[22:23], 1.0
	v_rcp_f64_e32 v[30:31], v[28:29]
	v_fma_f64 v[34:35], -v[28:29], v[30:31], 1.0
	v_fma_f64 v[30:31], v[30:31], v[34:35], v[30:31]
	v_fma_f64 v[34:35], -v[28:29], v[30:31], 1.0
	v_fma_f64 v[30:31], v[30:31], v[34:35], v[30:31]
	v_div_scale_f64 v[34:35], vcc_lo, 1.0, v[22:23], 1.0
	v_mul_f64 v[36:37], v[34:35], v[30:31]
	v_fma_f64 v[28:29], -v[28:29], v[36:37], v[34:35]
	v_div_fmas_f64 v[28:29], v[28:29], v[30:31], v[36:37]
	v_div_fixup_f64 v[22:23], v[28:29], v[22:23], 1.0
	v_mul_f64 v[20:21], v[22:23], v[20:21]
	v_lshlrev_b64 v[22:23], 3, v[0:1]
	v_add_nc_u32_e32 v0, s2, v0
	v_add_co_u32 v28, vcc_lo, s10, v22
	v_add_co_ci_u32_e64 v29, null, s11, v23, vcc_lo
	v_add_co_u32 v22, vcc_lo, s12, v22
	v_add_co_ci_u32_e64 v23, null, s13, v23, vcc_lo
	global_load_dwordx2 v[28:29], v[28:29], off
	v_min_f64 v[20:21], v[20:21], s[0:1]
	s_waitcnt vmcnt(0)
	v_mul_f64 v[20:21], v[20:21], v[28:29]
	global_store_dwordx2 v[22:23], v[20:21], off
	v_div_scale_f64 v[20:21], null, v[16:17], v[16:17], 1.0
	v_rcp_f64_e32 v[22:23], v[20:21]
	v_fma_f64 v[28:29], -v[20:21], v[22:23], 1.0
	v_fma_f64 v[22:23], v[22:23], v[28:29], v[22:23]
	v_fma_f64 v[28:29], -v[20:21], v[22:23], 1.0
	v_fma_f64 v[22:23], v[22:23], v[28:29], v[22:23]
	v_div_scale_f64 v[28:29], vcc_lo, 1.0, v[16:17], 1.0
	v_mul_f64 v[30:31], v[28:29], v[22:23]
	v_fma_f64 v[20:21], -v[20:21], v[30:31], v[28:29]
	v_div_fmas_f64 v[20:21], v[20:21], v[22:23], v[30:31]
	v_lshlrev_b64 v[22:23], 3, v[0:1]
	v_add_nc_u32_e32 v0, s2, v0
	v_add_co_u32 v28, vcc_lo, s10, v22
	v_add_co_ci_u32_e64 v29, null, s11, v23, vcc_lo
	v_add_co_u32 v22, vcc_lo, s12, v22
	v_add_co_ci_u32_e64 v23, null, s13, v23, vcc_lo
	global_load_dwordx2 v[28:29], v[28:29], off
	v_div_fixup_f64 v[16:17], v[20:21], v[16:17], 1.0
	v_mul_f64 v[20:21], v[46:47], v[16:17]
	v_min_f64 v[20:21], v[20:21], s[0:1]
	s_waitcnt vmcnt(0)
	v_mul_f64 v[20:21], v[28:29], v[20:21]
	global_store_dwordx2 v[22:23], v[20:21], off
	global_load_dwordx2 v[20:21], v[44:45], off
	v_lshlrev_b64 v[22:23], 3, v[0:1]
	v_add_nc_u32_e32 v0, s2, v0
	v_add_co_u32 v28, vcc_lo, s10, v22
	v_add_co_ci_u32_e64 v29, null, s11, v23, vcc_lo
	v_add_co_u32 v22, vcc_lo, s12, v22
	v_add_co_ci_u32_e64 v23, null, s13, v23, vcc_lo
	global_load_dwordx2 v[28:29], v[28:29], off
	s_waitcnt vmcnt(1)
	v_mul_f64 v[16:17], v[20:21], v[16:17]
	v_min_f64 v[16:17], v[16:17], s[0:1]
	s_waitcnt vmcnt(0)
	v_mul_f64 v[28:29], v[28:29], v[16:17]
	global_store_dwordx2 v[22:23], v[28:29], off
	v_lshlrev_b64 v[22:23], 3, v[0:1]
	v_add_nc_u32_e32 v0, s2, v0
	v_add_co_u32 v28, vcc_lo, s10, v22
	v_add_co_ci_u32_e64 v29, null, s11, v23, vcc_lo
	v_add_co_u32 v22, vcc_lo, s12, v22
	v_add_co_ci_u32_e64 v23, null, s13, v23, vcc_lo
	global_load_dwordx2 v[28:29], v[28:29], off
	s_waitcnt vmcnt(0)
	v_mul_f64 v[16:17], v[28:29], v[16:17]
	global_store_dwordx2 v[22:23], v[16:17], off
	global_load_dwordx2 v[16:17], v[24:25], off
	s_waitcnt vmcnt(0)
	v_mul_f64 v[20:21], v[20:21], v[16:17]
	s_clause 0x2
	global_load_dwordx2 v[22:23], v[38:39], off
	global_load_dwordx2 v[16:17], v[26:27], off
	;; [unrolled: 1-line block ×3, first 2 shown]
	s_waitcnt vmcnt(1)
	v_mul_f64 v[22:23], v[22:23], v[16:17]
	v_div_scale_f64 v[24:25], null, v[22:23], v[22:23], 1.0
	v_rcp_f64_e32 v[26:27], v[24:25]
	v_fma_f64 v[28:29], -v[24:25], v[26:27], 1.0
	v_fma_f64 v[26:27], v[26:27], v[28:29], v[26:27]
	v_fma_f64 v[28:29], -v[24:25], v[26:27], 1.0
	v_fma_f64 v[26:27], v[26:27], v[28:29], v[26:27]
	v_div_scale_f64 v[28:29], vcc_lo, 1.0, v[22:23], 1.0
	v_mul_f64 v[30:31], v[28:29], v[26:27]
	v_fma_f64 v[24:25], -v[24:25], v[30:31], v[28:29]
	v_div_fmas_f64 v[24:25], v[24:25], v[26:27], v[30:31]
	v_div_fixup_f64 v[22:23], v[24:25], v[22:23], 1.0
	v_mul_f64 v[20:21], v[20:21], v[22:23]
	v_lshlrev_b64 v[22:23], 3, v[0:1]
	v_add_co_u32 v24, vcc_lo, s10, v22
	v_add_co_ci_u32_e64 v25, null, s11, v23, vcc_lo
	v_add_co_u32 v22, vcc_lo, s12, v22
	v_add_co_ci_u32_e64 v23, null, s13, v23, vcc_lo
	global_load_dwordx2 v[24:25], v[24:25], off
	v_min_f64 v[20:21], v[20:21], s[0:1]
	s_waitcnt vmcnt(0)
	v_mul_f64 v[20:21], v[24:25], v[20:21]
	global_store_dwordx2 v[22:23], v[20:21], off
	v_mad_u64_u32 v[20:21], null, 0xffffffcc, s2, v[0:1]
	v_mov_b32_e32 v21, v1
	v_lshlrev_b64 v[21:22], 3, v[20:21]
	v_add_co_u32 v21, vcc_lo, s14, v21
	v_add_co_ci_u32_e64 v22, null, s15, v22, vcc_lo
	global_load_dwordx2 v[21:22], v[21:22], off
	v_mul_f64 v[18:19], v[18:19], v[16:17]
	v_mul_f64 v[14:15], v[14:15], v[18:19]
	s_waitcnt vmcnt(0)
	v_div_scale_f64 v[23:24], null, v[21:22], v[21:22], 1.0
	v_rcp_f64_e32 v[25:26], v[23:24]
	v_fma_f64 v[27:28], -v[23:24], v[25:26], 1.0
	v_fma_f64 v[25:26], v[25:26], v[27:28], v[25:26]
	v_fma_f64 v[27:28], -v[23:24], v[25:26], 1.0
	v_fma_f64 v[25:26], v[25:26], v[27:28], v[25:26]
	v_div_scale_f64 v[27:28], vcc_lo, 1.0, v[21:22], 1.0
	v_mul_f64 v[29:30], v[27:28], v[25:26]
	v_fma_f64 v[23:24], -v[23:24], v[29:30], v[27:28]
	v_div_fmas_f64 v[23:24], v[23:24], v[25:26], v[29:30]
	v_div_fixup_f64 v[21:22], v[23:24], v[21:22], 1.0
	v_mul_f64 v[21:22], v[14:15], v[21:22]
	v_mad_u64_u32 v[14:15], null, s2, 53, v[20:21]
	v_mov_b32_e32 v15, v1
	v_min_f64 v[20:21], v[21:22], s[0:1]
	v_lshlrev_b64 v[23:24], 3, v[14:15]
	v_add_nc_u32_e32 v0, s2, v14
	v_add_co_u32 v25, vcc_lo, s10, v23
	v_add_co_ci_u32_e64 v26, null, s11, v24, vcc_lo
	v_add_co_u32 v22, vcc_lo, s12, v23
	v_add_co_ci_u32_e64 v23, null, s13, v24, vcc_lo
	global_load_dwordx2 v[25:26], v[25:26], off
	v_lshlrev_b64 v[14:15], 3, v[0:1]
	v_add_nc_u32_e32 v0, s2, v0
	s_waitcnt vmcnt(0)
	v_mul_f64 v[20:21], v[25:26], v[20:21]
	global_store_dwordx2 v[22:23], v[20:21], off
	s_clause 0x6
	global_load_dwordx2 v[20:21], v[32:33], off
	global_load_dwordx2 v[8:9], v[8:9], off
	;; [unrolled: 1-line block ×7, first 2 shown]
	s_waitcnt vmcnt(5)
	v_mul_f64 v[20:21], v[20:21], v[8:9]
	s_waitcnt vmcnt(3)
	v_mul_f64 v[10:11], v[10:11], v[8:9]
	;; [unrolled: 2-line block ×5, first 2 shown]
	v_div_scale_f64 v[22:23], null, v[20:21], v[20:21], 1.0
	v_rcp_f64_e32 v[24:25], v[22:23]
	v_fma_f64 v[26:27], -v[22:23], v[24:25], 1.0
	v_fma_f64 v[24:25], v[24:25], v[26:27], v[24:25]
	v_fma_f64 v[26:27], -v[22:23], v[24:25], 1.0
	v_fma_f64 v[24:25], v[24:25], v[26:27], v[24:25]
	v_div_scale_f64 v[26:27], vcc_lo, 1.0, v[20:21], 1.0
	v_mul_f64 v[28:29], v[26:27], v[24:25]
	v_fma_f64 v[22:23], -v[22:23], v[28:29], v[26:27]
	v_div_fmas_f64 v[22:23], v[22:23], v[24:25], v[28:29]
	v_div_fixup_f64 v[20:21], v[22:23], v[20:21], 1.0
	v_mul_f64 v[18:19], v[18:19], v[20:21]
	v_add_co_u32 v20, vcc_lo, s10, v14
	v_add_co_ci_u32_e64 v21, null, s11, v15, vcc_lo
	v_add_co_u32 v14, vcc_lo, s12, v14
	v_add_co_ci_u32_e64 v15, null, s13, v15, vcc_lo
	global_load_dwordx2 v[20:21], v[20:21], off
	v_min_f64 v[18:19], v[18:19], s[0:1]
	s_waitcnt vmcnt(0)
	v_mul_f64 v[18:19], v[20:21], v[18:19]
	global_store_dwordx2 v[14:15], v[18:19], off
	v_mul_f64 v[14:15], v[6:7], v[8:9]
	v_mul_f64 v[6:7], v[6:7], v[16:17]
	v_div_scale_f64 v[18:19], null, v[14:15], v[14:15], 1.0
	v_rcp_f64_e32 v[20:21], v[18:19]
	v_fma_f64 v[22:23], -v[18:19], v[20:21], 1.0
	v_fma_f64 v[20:21], v[20:21], v[22:23], v[20:21]
	v_fma_f64 v[22:23], -v[18:19], v[20:21], 1.0
	v_fma_f64 v[20:21], v[20:21], v[22:23], v[20:21]
	v_div_scale_f64 v[22:23], vcc_lo, 1.0, v[14:15], 1.0
	v_mul_f64 v[24:25], v[22:23], v[20:21]
	v_fma_f64 v[18:19], -v[18:19], v[24:25], v[22:23]
	v_div_fmas_f64 v[18:19], v[18:19], v[20:21], v[24:25]
	v_div_fixup_f64 v[14:15], v[18:19], v[14:15], 1.0
	v_mul_f64 v[12:13], v[12:13], v[14:15]
	v_lshlrev_b64 v[14:15], 3, v[0:1]
	v_add_nc_u32_e32 v0, s2, v0
	v_add_co_u32 v18, vcc_lo, s10, v14
	v_add_co_ci_u32_e64 v19, null, s11, v15, vcc_lo
	v_add_co_u32 v14, vcc_lo, s12, v14
	v_add_co_ci_u32_e64 v15, null, s13, v15, vcc_lo
	global_load_dwordx2 v[18:19], v[18:19], off
	v_min_f64 v[12:13], v[12:13], s[0:1]
	s_waitcnt vmcnt(0)
	v_mul_f64 v[12:13], v[18:19], v[12:13]
	global_store_dwordx2 v[14:15], v[12:13], off
	v_div_scale_f64 v[12:13], null, v[10:11], v[10:11], 1.0
	v_rcp_f64_e32 v[14:15], v[12:13]
	v_fma_f64 v[18:19], -v[12:13], v[14:15], 1.0
	v_fma_f64 v[14:15], v[14:15], v[18:19], v[14:15]
	v_fma_f64 v[18:19], -v[12:13], v[14:15], 1.0
	v_fma_f64 v[14:15], v[14:15], v[18:19], v[14:15]
	v_div_scale_f64 v[18:19], vcc_lo, 1.0, v[10:11], 1.0
	v_mul_f64 v[20:21], v[18:19], v[14:15]
	v_fma_f64 v[12:13], -v[12:13], v[20:21], v[18:19]
	v_div_fmas_f64 v[12:13], v[12:13], v[14:15], v[20:21]
	v_div_fixup_f64 v[10:11], v[12:13], v[10:11], 1.0
	v_mul_f64 v[6:7], v[6:7], v[10:11]
	v_lshlrev_b64 v[10:11], 3, v[0:1]
	v_add_nc_u32_e32 v0, s2, v0
	v_add_co_u32 v12, vcc_lo, s10, v10
	v_add_co_ci_u32_e64 v13, null, s11, v11, vcc_lo
	v_add_co_u32 v10, vcc_lo, s12, v10
	v_add_co_ci_u32_e64 v11, null, s13, v11, vcc_lo
	global_load_dwordx2 v[12:13], v[12:13], off
	v_lshlrev_b64 v[0:1], 3, v[0:1]
	v_min_f64 v[6:7], v[6:7], s[0:1]
	s_waitcnt vmcnt(0)
	v_mul_f64 v[6:7], v[12:13], v[6:7]
	global_store_dwordx2 v[10:11], v[6:7], off
	v_div_scale_f64 v[6:7], null, v[2:3], v[2:3], 1.0
	v_rcp_f64_e32 v[8:9], v[6:7]
	v_fma_f64 v[10:11], -v[6:7], v[8:9], 1.0
	v_fma_f64 v[8:9], v[8:9], v[10:11], v[8:9]
	v_fma_f64 v[10:11], -v[6:7], v[8:9], 1.0
	v_fma_f64 v[8:9], v[8:9], v[10:11], v[8:9]
	v_div_scale_f64 v[10:11], vcc_lo, 1.0, v[2:3], 1.0
	v_mul_f64 v[12:13], v[10:11], v[8:9]
	v_fma_f64 v[6:7], -v[6:7], v[12:13], v[10:11]
	v_div_fmas_f64 v[6:7], v[6:7], v[8:9], v[12:13]
	v_div_fixup_f64 v[2:3], v[6:7], v[2:3], 1.0
	v_mul_f64 v[2:3], v[4:5], v[2:3]
	v_add_co_u32 v4, vcc_lo, s10, v0
	v_add_co_ci_u32_e64 v5, null, s11, v1, vcc_lo
	v_add_co_u32 v0, vcc_lo, s12, v0
	v_add_co_ci_u32_e64 v1, null, s13, v1, vcc_lo
	global_load_dwordx2 v[4:5], v[4:5], off
	v_min_f64 v[2:3], v[2:3], s[0:1]
	s_waitcnt vmcnt(0)
	v_mul_f64 v[2:3], v[4:5], v[2:3]
	global_store_dwordx2 v[0:1], v[2:3], off
	s_endpgm
	.section	.rodata,"a",@progbits
	.p2align	6, 0x0
	.amdhsa_kernel _Z12ratt4_kernelIdEvPKT_S2_PS0_S2_S0_
		.amdhsa_group_segment_fixed_size 0
		.amdhsa_private_segment_fixed_size 0
		.amdhsa_kernarg_size 296
		.amdhsa_user_sgpr_count 6
		.amdhsa_user_sgpr_private_segment_buffer 1
		.amdhsa_user_sgpr_dispatch_ptr 0
		.amdhsa_user_sgpr_queue_ptr 0
		.amdhsa_user_sgpr_kernarg_segment_ptr 1
		.amdhsa_user_sgpr_dispatch_id 0
		.amdhsa_user_sgpr_flat_scratch_init 0
		.amdhsa_user_sgpr_private_segment_size 0
		.amdhsa_wavefront_size32 1
		.amdhsa_uses_dynamic_stack 0
		.amdhsa_system_sgpr_private_segment_wavefront_offset 0
		.amdhsa_system_sgpr_workgroup_id_x 1
		.amdhsa_system_sgpr_workgroup_id_y 0
		.amdhsa_system_sgpr_workgroup_id_z 0
		.amdhsa_system_sgpr_workgroup_info 0
		.amdhsa_system_vgpr_workitem_id 0
		.amdhsa_next_free_vgpr 63
		.amdhsa_next_free_sgpr 16
		.amdhsa_reserve_vcc 1
		.amdhsa_reserve_flat_scratch 0
		.amdhsa_float_round_mode_32 0
		.amdhsa_float_round_mode_16_64 0
		.amdhsa_float_denorm_mode_32 3
		.amdhsa_float_denorm_mode_16_64 3
		.amdhsa_dx10_clamp 1
		.amdhsa_ieee_mode 1
		.amdhsa_fp16_overflow 0
		.amdhsa_workgroup_processor_mode 1
		.amdhsa_memory_ordered 1
		.amdhsa_forward_progress 1
		.amdhsa_shared_vgpr_count 0
		.amdhsa_exception_fp_ieee_invalid_op 0
		.amdhsa_exception_fp_denorm_src 0
		.amdhsa_exception_fp_ieee_div_zero 0
		.amdhsa_exception_fp_ieee_overflow 0
		.amdhsa_exception_fp_ieee_underflow 0
		.amdhsa_exception_fp_ieee_inexact 0
		.amdhsa_exception_int_div_zero 0
	.end_amdhsa_kernel
	.section	.text._Z12ratt4_kernelIdEvPKT_S2_PS0_S2_S0_,"axG",@progbits,_Z12ratt4_kernelIdEvPKT_S2_PS0_S2_S0_,comdat
.Lfunc_end32:
	.size	_Z12ratt4_kernelIdEvPKT_S2_PS0_S2_S0_, .Lfunc_end32-_Z12ratt4_kernelIdEvPKT_S2_PS0_S2_S0_
                                        ; -- End function
	.set _Z12ratt4_kernelIdEvPKT_S2_PS0_S2_S0_.num_vgpr, 63
	.set _Z12ratt4_kernelIdEvPKT_S2_PS0_S2_S0_.num_agpr, 0
	.set _Z12ratt4_kernelIdEvPKT_S2_PS0_S2_S0_.numbered_sgpr, 16
	.set _Z12ratt4_kernelIdEvPKT_S2_PS0_S2_S0_.num_named_barrier, 0
	.set _Z12ratt4_kernelIdEvPKT_S2_PS0_S2_S0_.private_seg_size, 0
	.set _Z12ratt4_kernelIdEvPKT_S2_PS0_S2_S0_.uses_vcc, 1
	.set _Z12ratt4_kernelIdEvPKT_S2_PS0_S2_S0_.uses_flat_scratch, 0
	.set _Z12ratt4_kernelIdEvPKT_S2_PS0_S2_S0_.has_dyn_sized_stack, 0
	.set _Z12ratt4_kernelIdEvPKT_S2_PS0_S2_S0_.has_recursion, 0
	.set _Z12ratt4_kernelIdEvPKT_S2_PS0_S2_S0_.has_indirect_call, 0
	.section	.AMDGPU.csdata,"",@progbits
; Kernel info:
; codeLenInByte = 5648
; TotalNumSgprs: 18
; NumVgprs: 63
; ScratchSize: 0
; MemoryBound: 0
; FloatMode: 240
; IeeeMode: 1
; LDSByteSize: 0 bytes/workgroup (compile time only)
; SGPRBlocks: 0
; VGPRBlocks: 7
; NumSGPRsForWavesPerEU: 18
; NumVGPRsForWavesPerEU: 63
; Occupancy: 16
; WaveLimiterHint : 0
; COMPUTE_PGM_RSRC2:SCRATCH_EN: 0
; COMPUTE_PGM_RSRC2:USER_SGPR: 6
; COMPUTE_PGM_RSRC2:TRAP_HANDLER: 0
; COMPUTE_PGM_RSRC2:TGID_X_EN: 1
; COMPUTE_PGM_RSRC2:TGID_Y_EN: 0
; COMPUTE_PGM_RSRC2:TGID_Z_EN: 0
; COMPUTE_PGM_RSRC2:TIDIG_COMP_CNT: 0
	.section	.text._Z12ratt5_kernelIdEvPKT_S2_PS0_S2_S0_,"axG",@progbits,_Z12ratt5_kernelIdEvPKT_S2_PS0_S2_S0_,comdat
	.protected	_Z12ratt5_kernelIdEvPKT_S2_PS0_S2_S0_ ; -- Begin function _Z12ratt5_kernelIdEvPKT_S2_PS0_S2_S0_
	.globl	_Z12ratt5_kernelIdEvPKT_S2_PS0_S2_S0_
	.p2align	8
	.type	_Z12ratt5_kernelIdEvPKT_S2_PS0_S2_S0_,@function
_Z12ratt5_kernelIdEvPKT_S2_PS0_S2_S0_:  ; @_Z12ratt5_kernelIdEvPKT_S2_PS0_S2_S0_
; %bb.0:
	s_clause 0x3
	s_load_dwordx8 s[8:15], s[4:5], 0x0
	s_load_dwordx2 s[0:1], s[4:5], 0x20
	s_load_dword s2, s[4:5], 0x28
	s_load_dword s3, s[4:5], 0x34
	s_waitcnt lgkmcnt(0)
	s_and_b32 s3, s3, 0xffff
	v_mad_u64_u32 v[0:1], null, s6, s3, v[0:1]
	v_mov_b32_e32 v1, 0
	s_mul_i32 s2, s2, s3
	s_mul_i32 s5, s2, 0xffffffbf
	;; [unrolled: 1-line block ×4, first 2 shown]
	v_lshlrev_b64 v[14:15], 3, v[0:1]
	s_mul_i32 s6, s2, 0x45
	v_add_co_u32 v2, vcc_lo, s8, v14
	v_add_co_ci_u32_e64 v3, null, s9, v15, vcc_lo
	global_load_dwordx2 v[2:3], v[2:3], off
	s_waitcnt vmcnt(0)
	v_mul_f64 v[2:3], s[0:1], v[2:3]
	s_brev_b32 s0, 12
	s_mov_b32 s1, 0x4193d2c6
	v_mul_f64 v[2:3], v[2:3], s[0:1]
	s_mov_b32 s0, 0x4357691b
	s_mov_b32 s1, 0x479e17b8
	v_div_scale_f64 v[4:5], null, v[2:3], v[2:3], 1.0
	v_rcp_f64_e32 v[6:7], v[4:5]
	v_fma_f64 v[8:9], -v[4:5], v[6:7], 1.0
	v_fma_f64 v[6:7], v[6:7], v[8:9], v[6:7]
	v_fma_f64 v[8:9], -v[4:5], v[6:7], 1.0
	v_fma_f64 v[6:7], v[6:7], v[8:9], v[6:7]
	v_div_scale_f64 v[8:9], vcc_lo, 1.0, v[2:3], 1.0
	v_mul_f64 v[10:11], v[8:9], v[6:7]
	v_fma_f64 v[4:5], -v[4:5], v[10:11], v[8:9]
	v_div_fmas_f64 v[4:5], v[4:5], v[6:7], v[10:11]
	v_div_fixup_f64 v[2:3], v[4:5], v[2:3], 1.0
	v_mul_f64 v[12:13], 0x412eec04, v[2:3]
	v_mad_u64_u32 v[2:3], null, s2, 6, v[0:1]
	v_mov_b32_e32 v3, v1
	v_add_nc_u32_e32 v0, s2, v0
	v_lshlrev_b64 v[4:5], 3, v[2:3]
	v_mad_u64_u32 v[2:3], null, s2, 10, v[2:3]
	v_mov_b32_e32 v3, v1
	v_add_co_u32 v4, vcc_lo, s14, v4
	v_add_co_ci_u32_e64 v5, null, s15, v5, vcc_lo
	global_load_dwordx2 v[28:29], v[4:5], off
	v_lshlrev_b64 v[4:5], 3, v[2:3]
	v_mad_u64_u32 v[2:3], null, s2, -9, v[2:3]
	v_mov_b32_e32 v3, v1
	v_add_co_u32 v4, vcc_lo, s14, v4
	v_add_co_ci_u32_e64 v5, null, s15, v5, vcc_lo
	v_lshlrev_b64 v[8:9], 3, v[2:3]
	v_lshl_add_u32 v2, s2, 3, v2
	global_load_dwordx2 v[18:19], v[4:5], off
	v_add_co_u32 v8, vcc_lo, s14, v8
	v_add_co_ci_u32_e64 v9, null, s15, v9, vcc_lo
	global_load_dwordx2 v[32:33], v[8:9], off
	v_lshlrev_b64 v[8:9], 3, v[2:3]
	v_mad_u64_u32 v[2:3], null, s2, 60, v[2:3]
	v_mov_b32_e32 v3, v1
	v_add_co_u32 v8, vcc_lo, s14, v8
	v_add_co_ci_u32_e64 v9, null, s15, v9, vcc_lo
	global_load_dwordx2 v[20:21], v[8:9], off
	s_waitcnt vmcnt(2)
	v_mul_f64 v[6:7], v[28:29], v[18:19]
	s_waitcnt vmcnt(0)
	v_mul_f64 v[8:9], v[32:33], v[20:21]
	v_div_scale_f64 v[10:11], null, v[8:9], v[8:9], 1.0
	v_rcp_f64_e32 v[16:17], v[10:11]
	v_fma_f64 v[22:23], -v[10:11], v[16:17], 1.0
	v_fma_f64 v[16:17], v[16:17], v[22:23], v[16:17]
	v_fma_f64 v[22:23], -v[10:11], v[16:17], 1.0
	v_fma_f64 v[16:17], v[16:17], v[22:23], v[16:17]
	v_div_scale_f64 v[22:23], vcc_lo, 1.0, v[8:9], 1.0
	v_mul_f64 v[24:25], v[22:23], v[16:17]
	v_fma_f64 v[10:11], -v[10:11], v[24:25], v[22:23]
	v_div_fmas_f64 v[10:11], v[10:11], v[16:17], v[24:25]
	v_div_fixup_f64 v[8:9], v[10:11], v[8:9], 1.0
	v_mul_f64 v[6:7], v[6:7], v[8:9]
	v_lshlrev_b64 v[8:9], 3, v[2:3]
	v_mad_u64_u32 v[2:3], null, 0xffffffbd, s2, v[2:3]
	v_mov_b32_e32 v3, v1
	v_add_co_u32 v10, vcc_lo, s10, v8
	v_add_co_ci_u32_e64 v11, null, s11, v9, vcc_lo
	v_add_co_u32 v8, vcc_lo, s12, v8
	v_add_co_ci_u32_e64 v9, null, s13, v9, vcc_lo
	global_load_dwordx2 v[10:11], v[10:11], off
	v_lshlrev_b64 v[2:3], 3, v[2:3]
	v_min_f64 v[6:7], v[6:7], s[0:1]
	v_add_co_u32 v2, vcc_lo, s14, v2
	v_add_co_ci_u32_e64 v3, null, s15, v3, vcc_lo
	global_load_dwordx2 v[34:35], v[2:3], off
	s_waitcnt vmcnt(1)
	v_mul_f64 v[6:7], v[10:11], v[6:7]
	global_store_dwordx2 v[8:9], v[6:7], off
	v_lshlrev_b64 v[6:7], 3, v[0:1]
	v_add_co_u32 v16, vcc_lo, s14, v6
	v_add_co_ci_u32_e64 v17, null, s15, v7, vcc_lo
	v_mad_u64_u32 v[6:7], null, s2, 24, v[0:1]
	v_mov_b32_e32 v7, v1
	global_load_dwordx2 v[22:23], v[16:17], off
	v_lshlrev_b64 v[7:8], 3, v[6:7]
	v_add_co_u32 v7, vcc_lo, s14, v7
	v_add_co_ci_u32_e64 v8, null, s15, v8, vcc_lo
	global_load_dwordx2 v[7:8], v[7:8], off
	s_waitcnt vmcnt(2)
	v_mul_f64 v[2:3], v[18:19], v[34:35]
	global_load_dwordx2 v[16:17], v[16:17], off
	s_waitcnt vmcnt(1)
	v_mul_f64 v[7:8], v[22:23], v[7:8]
	v_div_scale_f64 v[9:10], null, v[7:8], v[7:8], 1.0
	v_rcp_f64_e32 v[24:25], v[9:10]
	v_fma_f64 v[26:27], -v[9:10], v[24:25], 1.0
	v_fma_f64 v[24:25], v[24:25], v[26:27], v[24:25]
	v_fma_f64 v[26:27], -v[9:10], v[24:25], 1.0
	v_fma_f64 v[24:25], v[24:25], v[26:27], v[24:25]
	v_div_scale_f64 v[26:27], vcc_lo, 1.0, v[7:8], 1.0
	v_mul_f64 v[30:31], v[26:27], v[24:25]
	v_fma_f64 v[9:10], -v[9:10], v[30:31], v[26:27]
	v_div_fmas_f64 v[9:10], v[9:10], v[24:25], v[30:31]
	v_div_fixup_f64 v[7:8], v[9:10], v[7:8], 1.0
	v_mul_f64 v[2:3], v[2:3], v[7:8]
	v_mad_u64_u32 v[6:7], null, s2, 51, v[6:7]
	v_mov_b32_e32 v7, v1
	v_lshlrev_b64 v[7:8], 3, v[6:7]
	v_add_nc_u32_e32 v0, s5, v6
	v_add_co_u32 v9, vcc_lo, s10, v7
	v_add_co_ci_u32_e64 v10, null, s11, v8, vcc_lo
	v_add_co_u32 v7, vcc_lo, s12, v7
	v_add_co_ci_u32_e64 v8, null, s13, v8, vcc_lo
	global_load_dwordx2 v[9:10], v[9:10], off
	v_min_f64 v[2:3], v[2:3], s[0:1]
	s_waitcnt vmcnt(0)
	v_mul_f64 v[2:3], v[9:10], v[2:3]
	global_store_dwordx2 v[7:8], v[2:3], off
	v_lshlrev_b64 v[2:3], 3, v[0:1]
	v_add_nc_u32_e32 v0, s2, v0
	v_lshlrev_b64 v[6:7], 3, v[0:1]
	v_add_co_u32 v24, vcc_lo, s14, v2
	v_add_co_ci_u32_e64 v25, null, s15, v3, vcc_lo
	v_add_co_u32 v6, vcc_lo, s14, v6
	v_add_co_ci_u32_e64 v7, null, s15, v7, vcc_lo
	s_clause 0x1
	global_load_dwordx2 v[26:27], v[24:25], off
	global_load_dwordx2 v[36:37], v[6:7], off
	s_waitcnt vmcnt(1)
	v_mul_f64 v[2:3], v[22:23], v[26:27]
	v_mul_f64 v[32:33], v[32:33], v[26:27]
	s_waitcnt vmcnt(0)
	v_div_scale_f64 v[6:7], null, v[36:37], v[36:37], 1.0
	v_mul_f64 v[2:3], v[12:13], v[2:3]
	v_rcp_f64_e32 v[8:9], v[6:7]
	v_fma_f64 v[10:11], -v[6:7], v[8:9], 1.0
	v_fma_f64 v[8:9], v[8:9], v[10:11], v[8:9]
	v_fma_f64 v[10:11], -v[6:7], v[8:9], 1.0
	v_fma_f64 v[8:9], v[8:9], v[10:11], v[8:9]
	v_div_scale_f64 v[10:11], vcc_lo, 1.0, v[36:37], 1.0
	v_mul_f64 v[30:31], v[10:11], v[8:9]
	v_fma_f64 v[6:7], -v[6:7], v[30:31], v[10:11]
	v_div_fmas_f64 v[6:7], v[6:7], v[8:9], v[30:31]
	v_div_fixup_f64 v[6:7], v[6:7], v[36:37], 1.0
	v_mul_f64 v[2:3], v[2:3], v[6:7]
	v_mad_u64_u32 v[6:7], null, 0x41, s2, v[0:1]
	v_mov_b32_e32 v7, v1
	v_lshlrev_b64 v[8:9], 3, v[6:7]
	v_mad_u64_u32 v[6:7], null, 0xffffffb5, s2, v[6:7]
	v_mov_b32_e32 v7, v1
	v_add_co_u32 v10, vcc_lo, s10, v8
	v_add_co_ci_u32_e64 v11, null, s11, v9, vcc_lo
	v_add_co_u32 v8, vcc_lo, s12, v8
	v_add_co_ci_u32_e64 v9, null, s13, v9, vcc_lo
	global_load_dwordx2 v[10:11], v[10:11], off
	v_min_f64 v[2:3], v[2:3], s[0:1]
	s_waitcnt vmcnt(0)
	v_mul_f64 v[2:3], v[10:11], v[2:3]
	v_mul_f64 v[10:11], v[18:19], v[22:23]
	global_store_dwordx2 v[8:9], v[2:3], off
	v_lshlrev_b64 v[2:3], 3, v[6:7]
	v_div_scale_f64 v[30:31], null, v[10:11], v[10:11], 1.0
	v_mad_u64_u32 v[6:7], null, 0x4c, s2, v[6:7]
	v_mov_b32_e32 v7, v1
	v_add_co_u32 v2, vcc_lo, s14, v2
	v_add_co_ci_u32_e64 v3, null, s15, v3, vcc_lo
	global_load_dwordx2 v[42:43], v[2:3], off
	v_rcp_f64_e32 v[38:39], v[30:31]
	v_fma_f64 v[40:41], -v[30:31], v[38:39], 1.0
	v_fma_f64 v[38:39], v[38:39], v[40:41], v[38:39]
	v_fma_f64 v[40:41], -v[30:31], v[38:39], 1.0
	v_fma_f64 v[38:39], v[38:39], v[40:41], v[38:39]
	v_div_scale_f64 v[40:41], vcc_lo, 1.0, v[10:11], 1.0
	v_mul_f64 v[44:45], v[40:41], v[38:39]
	v_fma_f64 v[30:31], -v[30:31], v[44:45], v[40:41]
	v_div_fmas_f64 v[30:31], v[30:31], v[38:39], v[44:45]
	v_div_fixup_f64 v[10:11], v[30:31], v[10:11], 1.0
	s_waitcnt vmcnt(0)
	v_mul_f64 v[8:9], v[26:27], v[42:43]
	v_mul_f64 v[8:9], v[10:11], v[8:9]
	v_lshlrev_b64 v[10:11], 3, v[6:7]
	v_mad_u64_u32 v[6:7], null, 0xffffffb6, s2, v[6:7]
	v_mov_b32_e32 v7, v1
	v_add_co_u32 v30, vcc_lo, s10, v10
	v_add_co_ci_u32_e64 v31, null, s11, v11, vcc_lo
	v_add_co_u32 v10, vcc_lo, s12, v10
	v_add_co_ci_u32_e64 v11, null, s13, v11, vcc_lo
	global_load_dwordx2 v[30:31], v[30:31], off
	v_add_nc_u32_e32 v0, s2, v6
	v_min_f64 v[8:9], v[8:9], s[0:1]
	s_waitcnt vmcnt(0)
	v_mul_f64 v[8:9], v[30:31], v[8:9]
	global_store_dwordx2 v[10:11], v[8:9], off
	v_lshlrev_b64 v[7:8], 3, v[6:7]
	v_add_co_u32 v10, vcc_lo, s14, v7
	v_lshlrev_b64 v[6:7], 3, v[0:1]
	v_lshl_add_u32 v0, s2, 2, v0
	v_add_co_ci_u32_e64 v11, null, s15, v8, vcc_lo
	v_lshlrev_b64 v[8:9], 3, v[0:1]
	v_add_co_u32 v6, vcc_lo, s14, v6
	v_add_co_ci_u32_e64 v7, null, s15, v7, vcc_lo
	global_load_dwordx2 v[44:45], v[10:11], off
	v_add_co_u32 v8, vcc_lo, s14, v8
	v_add_co_ci_u32_e64 v9, null, s15, v9, vcc_lo
	global_load_dwordx2 v[46:47], v[6:7], off
	v_add_nc_u32_e32 v0, s3, v0
	global_load_dwordx2 v[40:41], v[8:9], off
	s_waitcnt vmcnt(2)
	v_mul_f64 v[30:31], v[26:27], v[44:45]
	s_waitcnt vmcnt(0)
	v_mul_f64 v[8:9], v[46:47], v[40:41]
	v_div_scale_f64 v[38:39], null, v[8:9], v[8:9], 1.0
	v_rcp_f64_e32 v[48:49], v[38:39]
	v_fma_f64 v[50:51], -v[38:39], v[48:49], 1.0
	v_fma_f64 v[48:49], v[48:49], v[50:51], v[48:49]
	v_fma_f64 v[50:51], -v[38:39], v[48:49], 1.0
	v_fma_f64 v[48:49], v[48:49], v[50:51], v[48:49]
	v_div_scale_f64 v[50:51], vcc_lo, 1.0, v[8:9], 1.0
	v_mul_f64 v[52:53], v[50:51], v[48:49]
	v_fma_f64 v[38:39], -v[38:39], v[52:53], v[50:51]
	v_div_fmas_f64 v[38:39], v[38:39], v[48:49], v[52:53]
	v_div_fixup_f64 v[8:9], v[38:39], v[8:9], 1.0
	v_lshlrev_b64 v[38:39], 3, v[0:1]
	v_add_nc_u32_e32 v0, s4, v0
	v_add_co_u32 v48, vcc_lo, s10, v38
	v_add_co_ci_u32_e64 v49, null, s11, v39, vcc_lo
	v_add_co_u32 v38, vcc_lo, s12, v38
	v_add_co_ci_u32_e64 v39, null, s13, v39, vcc_lo
	global_load_dwordx2 v[48:49], v[48:49], off
	v_mul_f64 v[8:9], v[30:31], v[8:9]
	v_min_f64 v[8:9], v[8:9], s[0:1]
	s_waitcnt vmcnt(0)
	v_mul_f64 v[8:9], v[48:49], v[8:9]
	global_store_dwordx2 v[38:39], v[8:9], off
	v_lshlrev_b64 v[8:9], 3, v[0:1]
	v_add_nc_u32_e32 v0, s3, v0
	v_add_co_u32 v8, vcc_lo, s14, v8
	v_add_co_ci_u32_e64 v9, null, s15, v9, vcc_lo
	global_load_dwordx2 v[38:39], v[8:9], off
	s_waitcnt vmcnt(0)
	v_mul_f64 v[46:47], v[46:47], v[38:39]
	v_div_scale_f64 v[48:49], null, v[46:47], v[46:47], 1.0
	v_rcp_f64_e32 v[50:51], v[48:49]
	v_fma_f64 v[52:53], -v[48:49], v[50:51], 1.0
	v_fma_f64 v[50:51], v[50:51], v[52:53], v[50:51]
	v_fma_f64 v[52:53], -v[48:49], v[50:51], 1.0
	v_fma_f64 v[50:51], v[50:51], v[52:53], v[50:51]
	v_div_scale_f64 v[52:53], vcc_lo, 1.0, v[46:47], 1.0
	v_mul_f64 v[54:55], v[52:53], v[50:51]
	v_fma_f64 v[48:49], -v[48:49], v[54:55], v[52:53]
	v_div_fmas_f64 v[48:49], v[48:49], v[50:51], v[54:55]
	v_div_fixup_f64 v[46:47], v[48:49], v[46:47], 1.0
	v_mul_f64 v[30:31], v[30:31], v[46:47]
	v_lshlrev_b64 v[46:47], 3, v[0:1]
	v_add_co_u32 v48, vcc_lo, s10, v46
	v_add_co_ci_u32_e64 v49, null, s11, v47, vcc_lo
	v_add_co_u32 v46, vcc_lo, s12, v46
	v_add_co_ci_u32_e64 v47, null, s13, v47, vcc_lo
	global_load_dwordx2 v[48:49], v[48:49], off
	v_min_f64 v[30:31], v[30:31], s[0:1]
	s_waitcnt vmcnt(0)
	v_mul_f64 v[30:31], v[48:49], v[30:31]
	global_store_dwordx2 v[46:47], v[30:31], off
	v_mad_u64_u32 v[30:31], null, 0xffffffb3, s2, v[0:1]
	v_mov_b32_e32 v31, v1
	v_mad_u64_u32 v[50:51], null, s2, 14, v[30:31]
	v_mov_b32_e32 v51, v1
	v_lshlrev_b64 v[46:47], 3, v[30:31]
	v_lshlrev_b64 v[30:31], 3, v[50:51]
	v_add_co_u32 v46, vcc_lo, s14, v46
	v_add_co_ci_u32_e64 v47, null, s15, v47, vcc_lo
	v_lshl_add_u32 v0, s2, 6, v50
	v_add_co_u32 v30, vcc_lo, s14, v30
	v_add_co_ci_u32_e64 v31, null, s15, v31, vcc_lo
	s_clause 0x1
	global_load_dwordx2 v[46:47], v[46:47], off
	global_load_dwordx2 v[51:52], v[30:31], off
	s_waitcnt vmcnt(1)
	v_mul_f64 v[48:49], v[26:27], v[46:47]
	v_mul_f64 v[46:47], v[36:37], v[46:47]
	s_waitcnt vmcnt(0)
	v_mul_f64 v[42:43], v[42:43], v[51:52]
	v_div_scale_f64 v[53:54], null, v[42:43], v[42:43], 1.0
	v_rcp_f64_e32 v[55:56], v[53:54]
	v_fma_f64 v[57:58], -v[53:54], v[55:56], 1.0
	v_fma_f64 v[55:56], v[55:56], v[57:58], v[55:56]
	v_fma_f64 v[57:58], -v[53:54], v[55:56], 1.0
	v_fma_f64 v[55:56], v[55:56], v[57:58], v[55:56]
	v_div_scale_f64 v[57:58], vcc_lo, 1.0, v[42:43], 1.0
	v_mul_f64 v[59:60], v[57:58], v[55:56]
	v_fma_f64 v[53:54], -v[53:54], v[59:60], v[57:58]
	v_div_fmas_f64 v[53:54], v[53:54], v[55:56], v[59:60]
	v_div_fixup_f64 v[42:43], v[53:54], v[42:43], 1.0
	v_lshlrev_b64 v[53:54], 3, v[0:1]
	v_add_nc_u32_e32 v0, s2, v0
	v_add_co_u32 v55, vcc_lo, s10, v53
	v_add_co_ci_u32_e64 v56, null, s11, v54, vcc_lo
	v_add_co_u32 v53, vcc_lo, s12, v53
	v_add_co_ci_u32_e64 v54, null, s13, v54, vcc_lo
	global_load_dwordx2 v[55:56], v[55:56], off
	v_mul_f64 v[42:43], v[48:49], v[42:43]
	v_min_f64 v[42:43], v[42:43], s[0:1]
	s_waitcnt vmcnt(0)
	v_mul_f64 v[42:43], v[55:56], v[42:43]
	global_store_dwordx2 v[53:54], v[42:43], off
	v_mul_f64 v[42:43], v[18:19], v[44:45]
	v_mul_f64 v[44:45], v[44:45], v[51:52]
	;; [unrolled: 1-line block ×3, first 2 shown]
	v_div_scale_f64 v[53:54], null, v[42:43], v[42:43], 1.0
	v_rcp_f64_e32 v[55:56], v[53:54]
	v_fma_f64 v[57:58], -v[53:54], v[55:56], 1.0
	v_fma_f64 v[55:56], v[55:56], v[57:58], v[55:56]
	v_fma_f64 v[57:58], -v[53:54], v[55:56], 1.0
	v_fma_f64 v[55:56], v[55:56], v[57:58], v[55:56]
	v_div_scale_f64 v[57:58], vcc_lo, 1.0, v[42:43], 1.0
	v_mul_f64 v[59:60], v[57:58], v[55:56]
	v_fma_f64 v[53:54], -v[53:54], v[59:60], v[57:58]
	v_div_fmas_f64 v[53:54], v[53:54], v[55:56], v[59:60]
	v_div_fixup_f64 v[42:43], v[53:54], v[42:43], 1.0
	v_mul_f64 v[42:43], v[42:43], v[48:49]
	v_lshlrev_b64 v[48:49], 3, v[0:1]
	v_add_nc_u32_e32 v0, s2, v0
	v_add_co_u32 v53, vcc_lo, s10, v48
	v_add_co_ci_u32_e64 v54, null, s11, v49, vcc_lo
	v_add_co_u32 v48, vcc_lo, s12, v48
	v_add_co_ci_u32_e64 v49, null, s13, v49, vcc_lo
	global_load_dwordx2 v[53:54], v[53:54], off
	v_min_f64 v[42:43], v[42:43], s[0:1]
	s_waitcnt vmcnt(0)
	v_mul_f64 v[42:43], v[42:43], v[53:54]
	global_store_dwordx2 v[48:49], v[42:43], off
	v_div_scale_f64 v[48:49], null, v[46:47], v[46:47], 1.0
	v_mul_f64 v[42:43], v[28:29], v[26:27]
	v_mul_f64 v[28:29], v[28:29], v[36:37]
	v_rcp_f64_e32 v[53:54], v[48:49]
	v_fma_f64 v[55:56], -v[48:49], v[53:54], 1.0
	v_fma_f64 v[53:54], v[53:54], v[55:56], v[53:54]
	v_fma_f64 v[55:56], -v[48:49], v[53:54], 1.0
	v_fma_f64 v[53:54], v[53:54], v[55:56], v[53:54]
	v_div_scale_f64 v[55:56], vcc_lo, 1.0, v[46:47], 1.0
	v_mul_f64 v[57:58], v[55:56], v[53:54]
	v_fma_f64 v[48:49], -v[48:49], v[57:58], v[55:56]
	v_div_fmas_f64 v[48:49], v[48:49], v[53:54], v[57:58]
	v_div_fixup_f64 v[46:47], v[48:49], v[46:47], 1.0
	v_lshlrev_b64 v[48:49], 3, v[0:1]
	v_add_nc_u32_e32 v0, s2, v0
	v_add_co_u32 v53, vcc_lo, s10, v48
	v_add_co_ci_u32_e64 v54, null, s11, v49, vcc_lo
	v_add_co_u32 v48, vcc_lo, s12, v48
	v_add_co_ci_u32_e64 v49, null, s13, v49, vcc_lo
	global_load_dwordx2 v[53:54], v[53:54], off
	v_mul_f64 v[46:47], v[42:43], v[46:47]
	v_min_f64 v[46:47], v[46:47], s[0:1]
	s_waitcnt vmcnt(0)
	v_mul_f64 v[46:47], v[46:47], v[53:54]
	global_store_dwordx2 v[48:49], v[46:47], off
	v_div_scale_f64 v[46:47], null, v[44:45], v[44:45], 1.0
	v_rcp_f64_e32 v[48:49], v[46:47]
	v_fma_f64 v[50:51], -v[46:47], v[48:49], 1.0
	v_fma_f64 v[48:49], v[48:49], v[50:51], v[48:49]
	v_fma_f64 v[50:51], -v[46:47], v[48:49], 1.0
	v_fma_f64 v[48:49], v[48:49], v[50:51], v[48:49]
	v_div_scale_f64 v[50:51], vcc_lo, 1.0, v[44:45], 1.0
	v_mul_f64 v[52:53], v[50:51], v[48:49]
	v_fma_f64 v[46:47], -v[46:47], v[52:53], v[50:51]
	v_div_fmas_f64 v[46:47], v[46:47], v[48:49], v[52:53]
	v_div_fixup_f64 v[44:45], v[46:47], v[44:45], 1.0
	v_mul_f64 v[42:43], v[42:43], v[44:45]
	v_lshlrev_b64 v[44:45], 3, v[0:1]
	v_add_nc_u32_e32 v0, s2, v0
	v_add_co_u32 v46, vcc_lo, s10, v44
	v_add_co_ci_u32_e64 v47, null, s11, v45, vcc_lo
	v_add_co_u32 v44, vcc_lo, s12, v44
	v_add_co_ci_u32_e64 v45, null, s13, v45, vcc_lo
	global_load_dwordx2 v[46:47], v[46:47], off
	v_min_f64 v[42:43], v[42:43], s[0:1]
	s_waitcnt vmcnt(0)
	v_mul_f64 v[42:43], v[42:43], v[46:47]
	global_store_dwordx2 v[44:45], v[42:43], off
	v_div_scale_f64 v[42:43], null, v[28:29], v[28:29], 1.0
	v_rcp_f64_e32 v[44:45], v[42:43]
	v_fma_f64 v[46:47], -v[42:43], v[44:45], 1.0
	v_fma_f64 v[44:45], v[44:45], v[46:47], v[44:45]
	v_fma_f64 v[46:47], -v[42:43], v[44:45], 1.0
	v_fma_f64 v[44:45], v[44:45], v[46:47], v[44:45]
	v_div_scale_f64 v[46:47], vcc_lo, 1.0, v[28:29], 1.0
	v_mul_f64 v[48:49], v[46:47], v[44:45]
	v_fma_f64 v[42:43], -v[42:43], v[48:49], v[46:47]
	v_div_fmas_f64 v[42:43], v[42:43], v[44:45], v[48:49]
	v_div_fixup_f64 v[28:29], v[42:43], v[28:29], 1.0
	v_mul_f64 v[28:29], v[32:33], v[28:29]
	v_lshlrev_b64 v[32:33], 3, v[0:1]
	v_add_nc_u32_e32 v0, s5, v0
	s_mul_i32 s5, s2, 0xffffffbc
	v_add_co_u32 v42, vcc_lo, s10, v32
	v_add_co_ci_u32_e64 v43, null, s11, v33, vcc_lo
	v_add_co_u32 v32, vcc_lo, s12, v32
	v_add_co_ci_u32_e64 v33, null, s13, v33, vcc_lo
	global_load_dwordx2 v[42:43], v[42:43], off
	v_min_f64 v[28:29], v[28:29], s[0:1]
	s_waitcnt vmcnt(0)
	v_mul_f64 v[28:29], v[28:29], v[42:43]
	global_store_dwordx2 v[32:33], v[28:29], off
	v_lshlrev_b64 v[32:33], 3, v[0:1]
	v_mul_f64 v[28:29], v[34:35], v[26:27]
	v_add_co_u32 v32, vcc_lo, s14, v32
	v_add_co_ci_u32_e64 v33, null, s15, v33, vcc_lo
	global_load_dwordx2 v[32:33], v[32:33], off
	s_waitcnt vmcnt(0)
	v_mul_f64 v[32:33], v[22:23], v[32:33]
	v_div_scale_f64 v[34:35], null, v[32:33], v[32:33], 1.0
	v_rcp_f64_e32 v[42:43], v[34:35]
	v_fma_f64 v[44:45], -v[34:35], v[42:43], 1.0
	v_fma_f64 v[42:43], v[42:43], v[44:45], v[42:43]
	v_fma_f64 v[44:45], -v[34:35], v[42:43], 1.0
	v_fma_f64 v[42:43], v[42:43], v[44:45], v[42:43]
	v_div_scale_f64 v[44:45], vcc_lo, 1.0, v[32:33], 1.0
	v_mul_f64 v[46:47], v[44:45], v[42:43]
	v_fma_f64 v[34:35], -v[34:35], v[46:47], v[44:45]
	v_div_fmas_f64 v[34:35], v[34:35], v[42:43], v[46:47]
	v_div_fixup_f64 v[32:33], v[34:35], v[32:33], 1.0
	v_mul_f64 v[28:29], v[28:29], v[32:33]
	v_mad_u64_u32 v[32:33], null, 0x42, s2, v[0:1]
	v_mov_b32_e32 v33, v1
	v_lshlrev_b64 v[34:35], 3, v[32:33]
	v_mad_u64_u32 v[32:33], null, 0xffffffb7, s2, v[32:33]
	v_mov_b32_e32 v33, v1
	v_add_co_u32 v42, vcc_lo, s10, v34
	v_add_co_ci_u32_e64 v43, null, s11, v35, vcc_lo
	v_add_co_u32 v34, vcc_lo, s12, v34
	v_add_co_ci_u32_e64 v35, null, s13, v35, vcc_lo
	global_load_dwordx2 v[42:43], v[42:43], off
	v_min_f64 v[28:29], v[28:29], s[0:1]
	s_waitcnt vmcnt(0)
	v_mul_f64 v[28:29], v[42:43], v[28:29]
	global_store_dwordx2 v[34:35], v[28:29], off
	v_lshlrev_b64 v[28:29], 3, v[32:33]
	v_mad_u64_u32 v[32:33], null, 0x4a, s2, v[32:33]
	v_mov_b32_e32 v33, v1
	v_mul_f64 v[34:35], v[20:21], v[26:27]
	v_mul_f64 v[20:21], v[20:21], v[36:37]
	v_add_co_u32 v28, vcc_lo, s14, v28
	v_add_co_ci_u32_e64 v29, null, s15, v29, vcc_lo
	global_load_dwordx2 v[42:43], v[28:29], off
	s_waitcnt vmcnt(0)
	v_mul_f64 v[42:43], v[36:37], v[42:43]
	v_div_scale_f64 v[44:45], null, v[42:43], v[42:43], 1.0
	v_rcp_f64_e32 v[46:47], v[44:45]
	v_fma_f64 v[48:49], -v[44:45], v[46:47], 1.0
	v_fma_f64 v[46:47], v[46:47], v[48:49], v[46:47]
	v_fma_f64 v[48:49], -v[44:45], v[46:47], 1.0
	v_fma_f64 v[46:47], v[46:47], v[48:49], v[46:47]
	v_div_scale_f64 v[48:49], vcc_lo, 1.0, v[42:43], 1.0
	v_mul_f64 v[50:51], v[48:49], v[46:47]
	v_fma_f64 v[44:45], -v[44:45], v[50:51], v[48:49]
	v_div_fmas_f64 v[44:45], v[44:45], v[46:47], v[50:51]
	v_div_fixup_f64 v[42:43], v[44:45], v[42:43], 1.0
	v_lshlrev_b64 v[44:45], 3, v[32:33]
	v_mad_u64_u32 v[32:33], null, 0xffffffc4, s2, v[32:33]
	v_mov_b32_e32 v33, v1
	v_add_co_u32 v46, vcc_lo, s10, v44
	v_add_co_ci_u32_e64 v47, null, s11, v45, vcc_lo
	v_add_co_u32 v44, vcc_lo, s12, v44
	v_add_co_ci_u32_e64 v45, null, s13, v45, vcc_lo
	global_load_dwordx2 v[46:47], v[46:47], off
	v_mul_f64 v[42:43], v[34:35], v[42:43]
	v_mul_f64 v[34:35], v[12:13], v[34:35]
	v_min_f64 v[42:43], v[42:43], s[0:1]
	s_waitcnt vmcnt(0)
	v_mul_f64 v[42:43], v[46:47], v[42:43]
	global_store_dwordx2 v[44:45], v[42:43], off
	v_lshlrev_b64 v[42:43], 3, v[32:33]
	v_add_co_u32 v42, vcc_lo, s14, v42
	v_add_co_ci_u32_e64 v43, null, s15, v43, vcc_lo
	global_load_dwordx2 v[42:43], v[42:43], off
	s_waitcnt vmcnt(0)
	v_div_scale_f64 v[44:45], null, v[42:43], v[42:43], 1.0
	v_rcp_f64_e32 v[46:47], v[44:45]
	v_fma_f64 v[48:49], -v[44:45], v[46:47], 1.0
	v_fma_f64 v[46:47], v[46:47], v[48:49], v[46:47]
	v_fma_f64 v[48:49], -v[44:45], v[46:47], 1.0
	v_fma_f64 v[46:47], v[46:47], v[48:49], v[46:47]
	v_div_scale_f64 v[48:49], vcc_lo, 1.0, v[42:43], 1.0
	v_mul_f64 v[50:51], v[48:49], v[46:47]
	v_fma_f64 v[44:45], -v[44:45], v[50:51], v[48:49]
	v_div_fmas_f64 v[44:45], v[44:45], v[46:47], v[50:51]
	v_div_fixup_f64 v[42:43], v[44:45], v[42:43], 1.0
	v_mul_f64 v[33:34], v[34:35], v[42:43]
	v_mad_u64_u32 v[42:43], null, s2, 61, v[32:33]
	v_mov_b32_e32 v43, v1
	v_min_f64 v[32:33], v[33:34], s[0:1]
	v_lshlrev_b64 v[43:44], 3, v[42:43]
	v_add_nc_u32_e32 v0, s2, v42
	v_add_co_u32 v45, vcc_lo, s10, v43
	v_add_co_ci_u32_e64 v46, null, s11, v44, vcc_lo
	v_add_co_u32 v34, vcc_lo, s12, v43
	v_add_co_ci_u32_e64 v35, null, s13, v44, vcc_lo
	global_load_dwordx2 v[45:46], v[45:46], off
	s_waitcnt vmcnt(0)
	v_mul_f64 v[32:33], v[45:46], v[32:33]
	global_store_dwordx2 v[34:35], v[32:33], off
	v_div_scale_f64 v[32:33], null, v[20:21], v[20:21], 1.0
	v_rcp_f64_e32 v[34:35], v[32:33]
	v_fma_f64 v[36:37], -v[32:33], v[34:35], 1.0
	v_fma_f64 v[34:35], v[34:35], v[36:37], v[34:35]
	v_fma_f64 v[36:37], -v[32:33], v[34:35], 1.0
	v_fma_f64 v[34:35], v[34:35], v[36:37], v[34:35]
	v_div_scale_f64 v[36:37], vcc_lo, 1.0, v[20:21], 1.0
	v_mul_f64 v[43:44], v[36:37], v[34:35]
	v_fma_f64 v[32:33], -v[32:33], v[43:44], v[36:37]
	v_div_fmas_f64 v[32:33], v[32:33], v[34:35], v[43:44]
	v_div_fixup_f64 v[20:21], v[32:33], v[20:21], 1.0
	v_mul_f64 v[18:19], v[18:19], v[20:21]
	v_lshlrev_b64 v[20:21], 3, v[0:1]
	v_add_nc_u32_e32 v0, s5, v0
	v_add_co_u32 v32, vcc_lo, s10, v20
	v_add_co_ci_u32_e64 v33, null, s11, v21, vcc_lo
	v_add_co_u32 v20, vcc_lo, s12, v20
	v_add_co_ci_u32_e64 v21, null, s13, v21, vcc_lo
	global_load_dwordx2 v[32:33], v[32:33], off
	v_min_f64 v[18:19], v[18:19], s[0:1]
	s_waitcnt vmcnt(0)
	v_mul_f64 v[18:19], v[18:19], v[32:33]
	global_store_dwordx2 v[20:21], v[18:19], off
	v_lshlrev_b64 v[20:21], 3, v[0:1]
	v_mul_f64 v[18:19], v[26:27], v[40:41]
	v_add_nc_u32_e32 v0, s6, v0
	v_add_co_u32 v20, vcc_lo, s14, v20
	v_add_co_ci_u32_e64 v21, null, s15, v21, vcc_lo
	global_load_dwordx2 v[20:21], v[20:21], off
	s_waitcnt vmcnt(0)
	v_mul_f64 v[22:23], v[22:23], v[20:21]
	v_div_scale_f64 v[32:33], null, v[22:23], v[22:23], 1.0
	v_rcp_f64_e32 v[34:35], v[32:33]
	v_fma_f64 v[36:37], -v[32:33], v[34:35], 1.0
	v_fma_f64 v[34:35], v[34:35], v[36:37], v[34:35]
	v_fma_f64 v[36:37], -v[32:33], v[34:35], 1.0
	v_fma_f64 v[34:35], v[34:35], v[36:37], v[34:35]
	v_div_scale_f64 v[36:37], vcc_lo, 1.0, v[22:23], 1.0
	v_mul_f64 v[40:41], v[36:37], v[34:35]
	v_fma_f64 v[32:33], -v[32:33], v[40:41], v[36:37]
	v_div_fmas_f64 v[32:33], v[32:33], v[34:35], v[40:41]
	v_div_fixup_f64 v[22:23], v[32:33], v[22:23], 1.0
	v_lshlrev_b64 v[32:33], 3, v[0:1]
	v_add_nc_u32_e32 v0, s2, v0
	v_add_co_u32 v34, vcc_lo, s10, v32
	v_add_co_ci_u32_e64 v35, null, s11, v33, vcc_lo
	v_add_co_u32 v32, vcc_lo, s12, v32
	v_add_co_ci_u32_e64 v33, null, s13, v33, vcc_lo
	global_load_dwordx2 v[34:35], v[34:35], off
	v_mul_f64 v[18:19], v[18:19], v[22:23]
	v_min_f64 v[18:19], v[18:19], s[0:1]
	s_waitcnt vmcnt(0)
	v_mul_f64 v[18:19], v[34:35], v[18:19]
	global_store_dwordx2 v[32:33], v[18:19], off
	v_mul_f64 v[18:19], v[26:27], v[38:39]
	v_mul_f64 v[18:19], v[18:19], v[22:23]
	v_lshlrev_b64 v[22:23], 3, v[0:1]
	v_add_nc_u32_e32 v0, s5, v0
	v_add_co_u32 v26, vcc_lo, s10, v22
	v_add_co_ci_u32_e64 v27, null, s11, v23, vcc_lo
	v_add_co_u32 v22, vcc_lo, s12, v22
	v_add_co_ci_u32_e64 v23, null, s13, v23, vcc_lo
	global_load_dwordx2 v[26:27], v[26:27], off
	v_min_f64 v[18:19], v[18:19], s[0:1]
	s_waitcnt vmcnt(0)
	v_mul_f64 v[18:19], v[26:27], v[18:19]
	global_store_dwordx2 v[22:23], v[18:19], off
	global_load_dwordx2 v[18:19], v[24:25], off
	v_lshlrev_b64 v[24:25], 3, v[0:1]
	v_add_nc_u32_e32 v0, s6, v0
	v_add_co_u32 v24, vcc_lo, s14, v24
	v_add_co_ci_u32_e64 v25, null, s15, v25, vcc_lo
	global_load_dwordx2 v[24:25], v[24:25], off
	s_waitcnt vmcnt(1)
	v_mul_f64 v[22:23], v[18:19], v[18:19]
	s_waitcnt vmcnt(0)
	v_div_scale_f64 v[26:27], null, v[24:25], v[24:25], 1.0
	v_mul_f64 v[12:13], v[12:13], v[22:23]
	v_rcp_f64_e32 v[32:33], v[26:27]
	v_fma_f64 v[34:35], -v[26:27], v[32:33], 1.0
	v_fma_f64 v[32:33], v[32:33], v[34:35], v[32:33]
	v_fma_f64 v[34:35], -v[26:27], v[32:33], 1.0
	v_fma_f64 v[32:33], v[32:33], v[34:35], v[32:33]
	v_div_scale_f64 v[34:35], vcc_lo, 1.0, v[24:25], 1.0
	v_mul_f64 v[36:37], v[34:35], v[32:33]
	v_fma_f64 v[26:27], -v[26:27], v[36:37], v[34:35]
	v_div_fmas_f64 v[26:27], v[26:27], v[32:33], v[36:37]
	v_div_fixup_f64 v[24:25], v[26:27], v[24:25], 1.0
	v_mul_f64 v[12:13], v[12:13], v[24:25]
	v_lshlrev_b64 v[24:25], 3, v[0:1]
	v_add_co_u32 v26, vcc_lo, s10, v24
	v_add_co_ci_u32_e64 v27, null, s11, v25, vcc_lo
	v_add_co_u32 v24, vcc_lo, s12, v24
	v_add_co_ci_u32_e64 v25, null, s13, v25, vcc_lo
	global_load_dwordx2 v[26:27], v[26:27], off
	v_min_f64 v[12:13], v[12:13], s[0:1]
	s_waitcnt vmcnt(0)
	v_mul_f64 v[12:13], v[26:27], v[12:13]
	global_store_dwordx2 v[24:25], v[12:13], off
	v_mad_u64_u32 v[12:13], null, 0xffffffba, s2, v[0:1]
	v_mov_b32_e32 v13, v1
	v_lshlrev_b64 v[24:25], 3, v[12:13]
	v_mad_u64_u32 v[12:13], null, 0x47, s2, v[12:13]
	v_mov_b32_e32 v13, v1
	v_add_co_u32 v24, vcc_lo, s14, v24
	v_add_co_ci_u32_e64 v25, null, s15, v25, vcc_lo
	v_add_nc_u32_e32 v0, s4, v12
	global_load_dwordx2 v[24:25], v[24:25], off
	s_waitcnt vmcnt(0)
	v_mul_f64 v[24:25], v[16:17], v[24:25]
	v_div_scale_f64 v[26:27], null, v[24:25], v[24:25], 1.0
	v_rcp_f64_e32 v[32:33], v[26:27]
	v_fma_f64 v[34:35], -v[26:27], v[32:33], 1.0
	v_fma_f64 v[32:33], v[32:33], v[34:35], v[32:33]
	v_fma_f64 v[34:35], -v[26:27], v[32:33], 1.0
	v_fma_f64 v[32:33], v[32:33], v[34:35], v[32:33]
	v_div_scale_f64 v[34:35], vcc_lo, 1.0, v[24:25], 1.0
	v_mul_f64 v[36:37], v[34:35], v[32:33]
	v_fma_f64 v[26:27], -v[26:27], v[36:37], v[34:35]
	v_div_fmas_f64 v[26:27], v[26:27], v[32:33], v[36:37]
	v_div_fixup_f64 v[24:25], v[26:27], v[24:25], 1.0
	v_mul_f64 v[22:23], v[22:23], v[24:25]
	v_lshlrev_b64 v[24:25], 3, v[12:13]
	v_lshlrev_b64 v[12:13], 3, v[0:1]
	v_add_nc_u32_e32 v0, s3, v0
	v_add_co_u32 v26, vcc_lo, s10, v24
	v_add_co_ci_u32_e64 v27, null, s11, v25, vcc_lo
	v_add_co_u32 v24, vcc_lo, s12, v24
	v_add_co_ci_u32_e64 v25, null, s13, v25, vcc_lo
	global_load_dwordx2 v[26:27], v[26:27], off
	v_add_co_u32 v12, vcc_lo, s14, v12
	v_add_co_ci_u32_e64 v13, null, s15, v13, vcc_lo
	v_min_f64 v[22:23], v[22:23], s[0:1]
	global_load_dwordx2 v[12:13], v[12:13], off
	s_waitcnt vmcnt(1)
	v_mul_f64 v[22:23], v[26:27], v[22:23]
	s_waitcnt vmcnt(0)
	v_mul_f64 v[12:13], v[18:19], v[12:13]
	global_store_dwordx2 v[24:25], v[22:23], off
	global_load_dwordx2 v[22:23], v[28:29], off
	s_waitcnt vmcnt(0)
	v_mul_f64 v[20:21], v[22:23], v[20:21]
	v_div_scale_f64 v[22:23], null, v[20:21], v[20:21], 1.0
	v_rcp_f64_e32 v[24:25], v[22:23]
	v_fma_f64 v[26:27], -v[22:23], v[24:25], 1.0
	v_fma_f64 v[24:25], v[24:25], v[26:27], v[24:25]
	v_fma_f64 v[26:27], -v[22:23], v[24:25], 1.0
	v_fma_f64 v[24:25], v[24:25], v[26:27], v[24:25]
	v_div_scale_f64 v[26:27], vcc_lo, 1.0, v[20:21], 1.0
	v_mul_f64 v[28:29], v[26:27], v[24:25]
	v_fma_f64 v[22:23], -v[22:23], v[28:29], v[26:27]
	v_div_fmas_f64 v[22:23], v[22:23], v[24:25], v[28:29]
	v_div_fixup_f64 v[20:21], v[22:23], v[20:21], 1.0
	v_mul_f64 v[12:13], v[12:13], v[20:21]
	v_lshlrev_b64 v[20:21], 3, v[0:1]
	v_add_nc_u32_e32 v0, s2, v0
	v_add_co_u32 v22, vcc_lo, s10, v20
	v_add_co_ci_u32_e64 v23, null, s11, v21, vcc_lo
	v_add_co_u32 v20, vcc_lo, s12, v20
	v_add_co_ci_u32_e64 v21, null, s13, v21, vcc_lo
	global_load_dwordx2 v[22:23], v[22:23], off
	v_add_co_u32 v14, vcc_lo, s14, v14
	v_add_co_ci_u32_e64 v15, null, s15, v15, vcc_lo
	v_min_f64 v[12:13], v[12:13], s[0:1]
	s_waitcnt vmcnt(0)
	v_mul_f64 v[12:13], v[22:23], v[12:13]
	global_store_dwordx2 v[20:21], v[12:13], off
	s_clause 0x3
	global_load_dwordx2 v[12:13], v[30:31], off
	global_load_dwordx2 v[14:15], v[14:15], off
	;; [unrolled: 1-line block ×4, first 2 shown]
	s_waitcnt vmcnt(3)
	v_mul_f64 v[16:17], v[16:17], v[12:13]
	s_waitcnt vmcnt(1)
	v_mul_f64 v[14:15], v[14:15], v[4:5]
	v_div_scale_f64 v[20:21], null, v[14:15], v[14:15], 1.0
	v_rcp_f64_e32 v[22:23], v[20:21]
	v_fma_f64 v[24:25], -v[20:21], v[22:23], 1.0
	v_fma_f64 v[22:23], v[22:23], v[24:25], v[22:23]
	v_fma_f64 v[24:25], -v[20:21], v[22:23], 1.0
	v_fma_f64 v[22:23], v[22:23], v[24:25], v[22:23]
	v_div_scale_f64 v[24:25], vcc_lo, 1.0, v[14:15], 1.0
	v_mul_f64 v[26:27], v[24:25], v[22:23]
	v_fma_f64 v[20:21], -v[20:21], v[26:27], v[24:25]
	v_div_fmas_f64 v[20:21], v[20:21], v[22:23], v[26:27]
	v_div_fixup_f64 v[14:15], v[20:21], v[14:15], 1.0
	v_lshlrev_b64 v[20:21], 3, v[0:1]
	v_add_nc_u32_e32 v0, s2, v0
	v_add_co_u32 v22, vcc_lo, s10, v20
	v_add_co_ci_u32_e64 v23, null, s11, v21, vcc_lo
	v_add_co_u32 v20, vcc_lo, s12, v20
	v_add_co_ci_u32_e64 v21, null, s13, v21, vcc_lo
	global_load_dwordx2 v[22:23], v[22:23], off
	v_mul_f64 v[14:15], v[16:17], v[14:15]
	v_min_f64 v[14:15], v[14:15], s[0:1]
	s_waitcnt vmcnt(0)
	v_mul_f64 v[14:15], v[22:23], v[14:15]
	global_store_dwordx2 v[20:21], v[14:15], off
	v_mul_f64 v[14:15], v[10:11], v[18:19]
	v_div_scale_f64 v[18:19], null, v[14:15], v[14:15], 1.0
	v_rcp_f64_e32 v[20:21], v[18:19]
	v_fma_f64 v[22:23], -v[18:19], v[20:21], 1.0
	v_fma_f64 v[20:21], v[20:21], v[22:23], v[20:21]
	v_fma_f64 v[22:23], -v[18:19], v[20:21], 1.0
	v_fma_f64 v[20:21], v[20:21], v[22:23], v[20:21]
	v_div_scale_f64 v[22:23], vcc_lo, 1.0, v[14:15], 1.0
	v_mul_f64 v[24:25], v[22:23], v[20:21]
	v_fma_f64 v[18:19], -v[18:19], v[24:25], v[22:23]
	v_div_fmas_f64 v[18:19], v[18:19], v[20:21], v[24:25]
	v_div_fixup_f64 v[14:15], v[18:19], v[14:15], 1.0
	v_lshlrev_b64 v[18:19], 3, v[0:1]
	v_add_nc_u32_e32 v0, s2, v0
	v_add_co_u32 v20, vcc_lo, s10, v18
	v_add_co_ci_u32_e64 v21, null, s11, v19, vcc_lo
	v_add_co_u32 v18, vcc_lo, s12, v18
	v_add_co_ci_u32_e64 v19, null, s13, v19, vcc_lo
	global_load_dwordx2 v[20:21], v[20:21], off
	v_mul_f64 v[14:15], v[16:17], v[14:15]
	v_min_f64 v[14:15], v[14:15], s[0:1]
	s_waitcnt vmcnt(0)
	v_mul_f64 v[14:15], v[20:21], v[14:15]
	global_store_dwordx2 v[18:19], v[14:15], off
	s_clause 0x2
	global_load_dwordx2 v[6:7], v[6:7], off
	global_load_dwordx2 v[8:9], v[8:9], off
	;; [unrolled: 1-line block ×3, first 2 shown]
	s_waitcnt vmcnt(1)
	v_mul_f64 v[8:9], v[6:7], v[8:9]
	s_waitcnt vmcnt(0)
	v_mul_f64 v[2:3], v[2:3], v[12:13]
	v_div_scale_f64 v[14:15], null, v[8:9], v[8:9], 1.0
	v_rcp_f64_e32 v[18:19], v[14:15]
	v_fma_f64 v[20:21], -v[14:15], v[18:19], 1.0
	v_fma_f64 v[18:19], v[18:19], v[20:21], v[18:19]
	v_fma_f64 v[20:21], -v[14:15], v[18:19], 1.0
	v_fma_f64 v[18:19], v[18:19], v[20:21], v[18:19]
	v_div_scale_f64 v[20:21], vcc_lo, 1.0, v[8:9], 1.0
	v_mul_f64 v[22:23], v[20:21], v[18:19]
	v_fma_f64 v[14:15], -v[14:15], v[22:23], v[20:21]
	v_div_fmas_f64 v[14:15], v[14:15], v[18:19], v[22:23]
	v_div_fixup_f64 v[8:9], v[14:15], v[8:9], 1.0
	v_lshlrev_b64 v[14:15], 3, v[0:1]
	v_add_nc_u32_e32 v0, s2, v0
	v_mul_f64 v[8:9], v[16:17], v[8:9]
	v_add_co_u32 v16, vcc_lo, s10, v14
	v_add_co_ci_u32_e64 v17, null, s11, v15, vcc_lo
	v_add_co_u32 v14, vcc_lo, s12, v14
	v_add_co_ci_u32_e64 v15, null, s13, v15, vcc_lo
	global_load_dwordx2 v[16:17], v[16:17], off
	v_min_f64 v[8:9], v[8:9], s[0:1]
	s_waitcnt vmcnt(0)
	v_mul_f64 v[8:9], v[16:17], v[8:9]
	global_store_dwordx2 v[14:15], v[8:9], off
	v_mul_f64 v[8:9], v[10:11], v[4:5]
	v_mul_f64 v[4:5], v[6:7], v[4:5]
	v_div_scale_f64 v[14:15], null, v[8:9], v[8:9], 1.0
	v_div_scale_f64 v[6:7], null, v[4:5], v[4:5], 1.0
	v_rcp_f64_e32 v[16:17], v[14:15]
	v_fma_f64 v[18:19], -v[14:15], v[16:17], 1.0
	v_fma_f64 v[16:17], v[16:17], v[18:19], v[16:17]
	v_fma_f64 v[18:19], -v[14:15], v[16:17], 1.0
	v_fma_f64 v[16:17], v[16:17], v[18:19], v[16:17]
	v_div_scale_f64 v[18:19], vcc_lo, 1.0, v[8:9], 1.0
	v_mul_f64 v[20:21], v[18:19], v[16:17]
	v_fma_f64 v[14:15], -v[14:15], v[20:21], v[18:19]
	v_div_fmas_f64 v[14:15], v[14:15], v[16:17], v[20:21]
	v_div_fixup_f64 v[8:9], v[14:15], v[8:9], 1.0
	v_mul_f64 v[2:3], v[2:3], v[8:9]
	v_lshlrev_b64 v[8:9], 3, v[0:1]
	v_add_nc_u32_e32 v0, s2, v0
	v_add_co_u32 v14, vcc_lo, s10, v8
	v_add_co_ci_u32_e64 v15, null, s11, v9, vcc_lo
	v_add_co_u32 v8, vcc_lo, s12, v8
	v_add_co_ci_u32_e64 v9, null, s13, v9, vcc_lo
	global_load_dwordx2 v[14:15], v[14:15], off
	v_lshlrev_b64 v[0:1], 3, v[0:1]
	v_min_f64 v[2:3], v[2:3], s[0:1]
	s_waitcnt vmcnt(0)
	v_mul_f64 v[2:3], v[14:15], v[2:3]
	global_store_dwordx2 v[8:9], v[2:3], off
	v_rcp_f64_e32 v[8:9], v[6:7]
	v_mul_f64 v[2:3], v[10:11], v[12:13]
	v_fma_f64 v[10:11], -v[6:7], v[8:9], 1.0
	v_fma_f64 v[8:9], v[8:9], v[10:11], v[8:9]
	v_fma_f64 v[10:11], -v[6:7], v[8:9], 1.0
	v_fma_f64 v[8:9], v[8:9], v[10:11], v[8:9]
	v_div_scale_f64 v[10:11], vcc_lo, 1.0, v[4:5], 1.0
	v_mul_f64 v[12:13], v[10:11], v[8:9]
	v_fma_f64 v[6:7], -v[6:7], v[12:13], v[10:11]
	v_div_fmas_f64 v[6:7], v[6:7], v[8:9], v[12:13]
	v_div_fixup_f64 v[4:5], v[6:7], v[4:5], 1.0
	v_mul_f64 v[2:3], v[2:3], v[4:5]
	v_add_co_u32 v4, vcc_lo, s10, v0
	v_add_co_ci_u32_e64 v5, null, s11, v1, vcc_lo
	v_add_co_u32 v0, vcc_lo, s12, v0
	v_add_co_ci_u32_e64 v1, null, s13, v1, vcc_lo
	global_load_dwordx2 v[4:5], v[4:5], off
	v_min_f64 v[2:3], v[2:3], s[0:1]
	s_waitcnt vmcnt(0)
	v_mul_f64 v[2:3], v[4:5], v[2:3]
	global_store_dwordx2 v[0:1], v[2:3], off
	s_endpgm
	.section	.rodata,"a",@progbits
	.p2align	6, 0x0
	.amdhsa_kernel _Z12ratt5_kernelIdEvPKT_S2_PS0_S2_S0_
		.amdhsa_group_segment_fixed_size 0
		.amdhsa_private_segment_fixed_size 0
		.amdhsa_kernarg_size 296
		.amdhsa_user_sgpr_count 6
		.amdhsa_user_sgpr_private_segment_buffer 1
		.amdhsa_user_sgpr_dispatch_ptr 0
		.amdhsa_user_sgpr_queue_ptr 0
		.amdhsa_user_sgpr_kernarg_segment_ptr 1
		.amdhsa_user_sgpr_dispatch_id 0
		.amdhsa_user_sgpr_flat_scratch_init 0
		.amdhsa_user_sgpr_private_segment_size 0
		.amdhsa_wavefront_size32 1
		.amdhsa_uses_dynamic_stack 0
		.amdhsa_system_sgpr_private_segment_wavefront_offset 0
		.amdhsa_system_sgpr_workgroup_id_x 1
		.amdhsa_system_sgpr_workgroup_id_y 0
		.amdhsa_system_sgpr_workgroup_id_z 0
		.amdhsa_system_sgpr_workgroup_info 0
		.amdhsa_system_vgpr_workitem_id 0
		.amdhsa_next_free_vgpr 61
		.amdhsa_next_free_sgpr 16
		.amdhsa_reserve_vcc 1
		.amdhsa_reserve_flat_scratch 0
		.amdhsa_float_round_mode_32 0
		.amdhsa_float_round_mode_16_64 0
		.amdhsa_float_denorm_mode_32 3
		.amdhsa_float_denorm_mode_16_64 3
		.amdhsa_dx10_clamp 1
		.amdhsa_ieee_mode 1
		.amdhsa_fp16_overflow 0
		.amdhsa_workgroup_processor_mode 1
		.amdhsa_memory_ordered 1
		.amdhsa_forward_progress 1
		.amdhsa_shared_vgpr_count 0
		.amdhsa_exception_fp_ieee_invalid_op 0
		.amdhsa_exception_fp_denorm_src 0
		.amdhsa_exception_fp_ieee_div_zero 0
		.amdhsa_exception_fp_ieee_overflow 0
		.amdhsa_exception_fp_ieee_underflow 0
		.amdhsa_exception_fp_ieee_inexact 0
		.amdhsa_exception_int_div_zero 0
	.end_amdhsa_kernel
	.section	.text._Z12ratt5_kernelIdEvPKT_S2_PS0_S2_S0_,"axG",@progbits,_Z12ratt5_kernelIdEvPKT_S2_PS0_S2_S0_,comdat
.Lfunc_end33:
	.size	_Z12ratt5_kernelIdEvPKT_S2_PS0_S2_S0_, .Lfunc_end33-_Z12ratt5_kernelIdEvPKT_S2_PS0_S2_S0_
                                        ; -- End function
	.set _Z12ratt5_kernelIdEvPKT_S2_PS0_S2_S0_.num_vgpr, 61
	.set _Z12ratt5_kernelIdEvPKT_S2_PS0_S2_S0_.num_agpr, 0
	.set _Z12ratt5_kernelIdEvPKT_S2_PS0_S2_S0_.numbered_sgpr, 16
	.set _Z12ratt5_kernelIdEvPKT_S2_PS0_S2_S0_.num_named_barrier, 0
	.set _Z12ratt5_kernelIdEvPKT_S2_PS0_S2_S0_.private_seg_size, 0
	.set _Z12ratt5_kernelIdEvPKT_S2_PS0_S2_S0_.uses_vcc, 1
	.set _Z12ratt5_kernelIdEvPKT_S2_PS0_S2_S0_.uses_flat_scratch, 0
	.set _Z12ratt5_kernelIdEvPKT_S2_PS0_S2_S0_.has_dyn_sized_stack, 0
	.set _Z12ratt5_kernelIdEvPKT_S2_PS0_S2_S0_.has_recursion, 0
	.set _Z12ratt5_kernelIdEvPKT_S2_PS0_S2_S0_.has_indirect_call, 0
	.section	.AMDGPU.csdata,"",@progbits
; Kernel info:
; codeLenInByte = 6096
; TotalNumSgprs: 18
; NumVgprs: 61
; ScratchSize: 0
; MemoryBound: 0
; FloatMode: 240
; IeeeMode: 1
; LDSByteSize: 0 bytes/workgroup (compile time only)
; SGPRBlocks: 0
; VGPRBlocks: 7
; NumSGPRsForWavesPerEU: 18
; NumVGPRsForWavesPerEU: 61
; Occupancy: 16
; WaveLimiterHint : 0
; COMPUTE_PGM_RSRC2:SCRATCH_EN: 0
; COMPUTE_PGM_RSRC2:USER_SGPR: 6
; COMPUTE_PGM_RSRC2:TRAP_HANDLER: 0
; COMPUTE_PGM_RSRC2:TGID_X_EN: 1
; COMPUTE_PGM_RSRC2:TGID_Y_EN: 0
; COMPUTE_PGM_RSRC2:TGID_Z_EN: 0
; COMPUTE_PGM_RSRC2:TIDIG_COMP_CNT: 0
	.section	.text._Z12ratt6_kernelIdEvPKT_S2_PS0_S2_S0_,"axG",@progbits,_Z12ratt6_kernelIdEvPKT_S2_PS0_S2_S0_,comdat
	.protected	_Z12ratt6_kernelIdEvPKT_S2_PS0_S2_S0_ ; -- Begin function _Z12ratt6_kernelIdEvPKT_S2_PS0_S2_S0_
	.globl	_Z12ratt6_kernelIdEvPKT_S2_PS0_S2_S0_
	.p2align	8
	.type	_Z12ratt6_kernelIdEvPKT_S2_PS0_S2_S0_,@function
_Z12ratt6_kernelIdEvPKT_S2_PS0_S2_S0_:  ; @_Z12ratt6_kernelIdEvPKT_S2_PS0_S2_S0_
; %bb.0:
	s_clause 0x3
	s_load_dwordx8 s[8:15], s[4:5], 0x0
	s_load_dwordx2 s[0:1], s[4:5], 0x20
	s_load_dword s2, s[4:5], 0x28
	s_load_dword s3, s[4:5], 0x34
	s_waitcnt lgkmcnt(0)
	s_and_b32 s3, s3, 0xffff
	v_mad_u64_u32 v[0:1], null, s6, s3, v[0:1]
	v_mov_b32_e32 v1, 0
	s_mul_i32 s2, s2, s3
	s_mul_i32 s3, s2, -11
	s_mul_i32 s4, s2, 11
	v_mov_b32_e32 v15, v1
	v_lshlrev_b64 v[6:7], 3, v[0:1]
	s_mul_i32 s5, s2, 0x60
	v_add_co_u32 v2, vcc_lo, s8, v6
	v_add_co_ci_u32_e64 v3, null, s9, v7, vcc_lo
	global_load_dwordx2 v[2:3], v[2:3], off
	s_waitcnt vmcnt(0)
	v_mul_f64 v[2:3], s[0:1], v[2:3]
	s_brev_b32 s0, 12
	s_mov_b32 s1, 0x4193d2c6
	v_mul_f64 v[2:3], v[2:3], s[0:1]
	s_mov_b32 s0, 0x4357691b
	s_mov_b32 s1, 0x479e17b8
	v_div_scale_f64 v[4:5], null, v[2:3], v[2:3], 1.0
	v_rcp_f64_e32 v[8:9], v[4:5]
	v_fma_f64 v[10:11], -v[4:5], v[8:9], 1.0
	v_fma_f64 v[8:9], v[8:9], v[10:11], v[8:9]
	v_fma_f64 v[10:11], -v[4:5], v[8:9], 1.0
	v_fma_f64 v[8:9], v[8:9], v[10:11], v[8:9]
	v_div_scale_f64 v[10:11], vcc_lo, 1.0, v[2:3], 1.0
	v_mul_f64 v[12:13], v[10:11], v[8:9]
	v_fma_f64 v[4:5], -v[4:5], v[12:13], v[10:11]
	v_div_fmas_f64 v[4:5], v[4:5], v[8:9], v[12:13]
	v_mad_u64_u32 v[8:9], null, s2, 3, v[0:1]
	v_mov_b32_e32 v9, v1
	v_div_fixup_f64 v[2:3], v[4:5], v[2:3], 1.0
	v_mul_f64 v[4:5], 0x412eec04, v[2:3]
	v_lshlrev_b64 v[2:3], 3, v[8:9]
	v_mad_u64_u32 v[8:9], null, s2, 14, v[8:9]
	v_mov_b32_e32 v9, v1
	v_add_co_u32 v2, vcc_lo, s14, v2
	v_add_co_ci_u32_e64 v3, null, s15, v3, vcc_lo
	v_add_nc_u32_e32 v14, s3, v8
	v_lshlrev_b64 v[9:10], 3, v[8:9]
	global_load_dwordx2 v[12:13], v[2:3], off
	v_lshlrev_b64 v[16:17], 3, v[14:15]
	v_mad_u64_u32 v[14:15], null, s2, 10, v[14:15]
	v_mov_b32_e32 v15, v1
	v_add_co_u32 v9, vcc_lo, s14, v9
	v_add_co_ci_u32_e64 v10, null, s15, v10, vcc_lo
	v_add_co_u32 v16, vcc_lo, s14, v16
	v_lshlrev_b64 v[18:19], 3, v[14:15]
	v_add_co_ci_u32_e64 v17, null, s15, v17, vcc_lo
	s_clause 0x1
	global_load_dwordx2 v[9:10], v[9:10], off
	global_load_dwordx2 v[16:17], v[16:17], off
	v_add_co_u32 v18, vcc_lo, s14, v18
	v_add_co_ci_u32_e64 v19, null, s15, v19, vcc_lo
	global_load_dwordx2 v[18:19], v[18:19], off
	s_waitcnt vmcnt(2)
	v_mul_f64 v[9:10], v[12:13], v[9:10]
	s_waitcnt vmcnt(0)
	v_mul_f64 v[15:16], v[16:17], v[18:19]
	v_div_scale_f64 v[17:18], null, v[15:16], v[15:16], 1.0
	v_rcp_f64_e32 v[19:20], v[17:18]
	v_fma_f64 v[21:22], -v[17:18], v[19:20], 1.0
	v_fma_f64 v[19:20], v[19:20], v[21:22], v[19:20]
	v_fma_f64 v[21:22], -v[17:18], v[19:20], 1.0
	v_fma_f64 v[19:20], v[19:20], v[21:22], v[19:20]
	v_div_scale_f64 v[21:22], vcc_lo, 1.0, v[15:16], 1.0
	v_mul_f64 v[23:24], v[21:22], v[19:20]
	v_fma_f64 v[17:18], -v[17:18], v[23:24], v[21:22]
	v_div_fmas_f64 v[17:18], v[17:18], v[19:20], v[23:24]
	v_div_fixup_f64 v[15:16], v[17:18], v[15:16], 1.0
	v_mul_f64 v[8:9], v[9:10], v[15:16]
	v_mad_u64_u32 v[10:11], null, 0x54, s2, v[14:15]
	v_mov_b32_e32 v11, v1
	v_lshlrev_b64 v[10:11], 3, v[10:11]
	v_add_co_u32 v14, vcc_lo, s10, v10
	v_add_co_ci_u32_e64 v15, null, s11, v11, vcc_lo
	v_add_co_u32 v10, vcc_lo, s12, v10
	v_add_co_ci_u32_e64 v11, null, s13, v11, vcc_lo
	global_load_dwordx2 v[14:15], v[14:15], off
	v_min_f64 v[8:9], v[8:9], s[0:1]
	s_waitcnt vmcnt(0)
	v_mul_f64 v[8:9], v[14:15], v[8:9]
	global_store_dwordx2 v[10:11], v[8:9], off
	v_add_nc_u32_e32 v8, s2, v0
	v_mov_b32_e32 v9, v1
	v_add_nc_u32_e32 v0, s4, v0
	v_lshlrev_b64 v[9:10], 3, v[8:9]
	v_add_nc_u32_e32 v8, s4, v8
	s_mul_i32 s4, s2, 0x62
	v_add_co_u32 v14, vcc_lo, s14, v9
	v_mov_b32_e32 v9, v1
	v_add_co_ci_u32_e64 v15, null, s15, v10, vcc_lo
	v_lshlrev_b64 v[10:11], 3, v[0:1]
	v_lshlrev_b64 v[8:9], 3, v[8:9]
	global_load_dwordx2 v[16:17], v[14:15], off
	v_add_co_u32 v8, vcc_lo, s14, v8
	v_add_co_ci_u32_e64 v9, null, s15, v9, vcc_lo
	v_add_co_u32 v6, vcc_lo, s14, v6
	v_add_co_ci_u32_e64 v7, null, s15, v7, vcc_lo
	;; [unrolled: 2-line block ×3, first 2 shown]
	s_clause 0x2
	global_load_dwordx2 v[20:21], v[8:9], off
	global_load_dwordx2 v[26:27], v[10:11], off
	;; [unrolled: 1-line block ×3, first 2 shown]
	s_waitcnt vmcnt(2)
	v_mul_f64 v[8:9], v[16:17], v[20:21]
	s_waitcnt vmcnt(0)
	v_mul_f64 v[6:7], v[6:7], v[26:27]
	v_div_scale_f64 v[18:19], null, v[6:7], v[6:7], 1.0
	v_rcp_f64_e32 v[22:23], v[18:19]
	v_fma_f64 v[24:25], -v[18:19], v[22:23], 1.0
	v_fma_f64 v[22:23], v[22:23], v[24:25], v[22:23]
	v_fma_f64 v[24:25], -v[18:19], v[22:23], 1.0
	v_fma_f64 v[22:23], v[22:23], v[24:25], v[22:23]
	v_div_scale_f64 v[24:25], vcc_lo, 1.0, v[6:7], 1.0
	v_mul_f64 v[28:29], v[24:25], v[22:23]
	v_fma_f64 v[18:19], -v[18:19], v[28:29], v[24:25]
	v_div_fmas_f64 v[18:19], v[18:19], v[22:23], v[28:29]
	v_div_fixup_f64 v[6:7], v[18:19], v[6:7], 1.0
	v_mul_f64 v[6:7], v[8:9], v[6:7]
	v_mad_u64_u32 v[8:9], null, 0x5a, s2, v[0:1]
	v_mov_b32_e32 v9, v1
	v_lshlrev_b64 v[18:19], 3, v[8:9]
	v_mad_u64_u32 v[8:9], null, 0xffffff9d, s2, v[8:9]
	v_mov_b32_e32 v9, v1
	v_add_co_u32 v22, vcc_lo, s10, v18
	v_add_co_ci_u32_e64 v23, null, s11, v19, vcc_lo
	v_add_co_u32 v18, vcc_lo, s12, v18
	v_add_co_ci_u32_e64 v19, null, s13, v19, vcc_lo
	global_load_dwordx2 v[22:23], v[22:23], off
	v_min_f64 v[6:7], v[6:7], s[0:1]
	v_lshl_add_u32 v0, s2, 1, v8
	s_waitcnt vmcnt(0)
	v_mul_f64 v[6:7], v[22:23], v[6:7]
	global_store_dwordx2 v[18:19], v[6:7], off
	v_lshlrev_b64 v[6:7], 3, v[8:9]
	v_lshlrev_b64 v[8:9], 3, v[0:1]
	v_add_nc_u32_e32 v0, s4, v0
	v_add_co_u32 v6, vcc_lo, s14, v6
	v_add_co_ci_u32_e64 v7, null, s15, v7, vcc_lo
	v_add_co_u32 v24, vcc_lo, s14, v8
	v_add_co_ci_u32_e64 v25, null, s15, v9, vcc_lo
	s_clause 0x1
	global_load_dwordx2 v[22:23], v[6:7], off
	global_load_dwordx2 v[18:19], v[24:25], off
	s_waitcnt vmcnt(1)
	v_mul_f64 v[28:29], v[20:21], v[22:23]
	s_waitcnt vmcnt(0)
	v_mul_f64 v[8:9], v[26:27], v[18:19]
	v_div_scale_f64 v[30:31], null, v[8:9], v[8:9], 1.0
	v_rcp_f64_e32 v[32:33], v[30:31]
	v_fma_f64 v[34:35], -v[30:31], v[32:33], 1.0
	v_fma_f64 v[32:33], v[32:33], v[34:35], v[32:33]
	v_fma_f64 v[34:35], -v[30:31], v[32:33], 1.0
	v_fma_f64 v[32:33], v[32:33], v[34:35], v[32:33]
	v_div_scale_f64 v[34:35], vcc_lo, 1.0, v[8:9], 1.0
	v_mul_f64 v[36:37], v[34:35], v[32:33]
	v_fma_f64 v[30:31], -v[30:31], v[36:37], v[34:35]
	v_div_fmas_f64 v[30:31], v[30:31], v[32:33], v[36:37]
	v_div_fixup_f64 v[8:9], v[30:31], v[8:9], 1.0
	v_mul_f64 v[8:9], v[28:29], v[8:9]
	v_lshlrev_b64 v[28:29], 3, v[0:1]
	v_add_co_u32 v30, vcc_lo, s10, v28
	v_add_co_ci_u32_e64 v31, null, s11, v29, vcc_lo
	v_add_co_u32 v28, vcc_lo, s12, v28
	v_add_co_ci_u32_e64 v29, null, s13, v29, vcc_lo
	global_load_dwordx2 v[30:31], v[30:31], off
	v_min_f64 v[8:9], v[8:9], s[0:1]
	s_waitcnt vmcnt(0)
	v_mul_f64 v[8:9], v[30:31], v[8:9]
	global_store_dwordx2 v[28:29], v[8:9], off
	v_mad_u64_u32 v[28:29], null, 0xffffff9f, s2, v[0:1]
	v_mov_b32_e32 v29, v1
	v_mul_f64 v[8:9], v[20:21], v[18:19]
	v_lshlrev_b64 v[29:30], 3, v[28:29]
	v_add_nc_u32_e32 v0, s4, v28
	s_mul_i32 s4, s2, 0xffffffa1
	v_add_co_u32 v29, vcc_lo, s14, v29
	v_add_co_ci_u32_e64 v30, null, s15, v30, vcc_lo
	global_load_dwordx2 v[29:30], v[29:30], off
	s_waitcnt vmcnt(0)
	v_mul_f64 v[29:30], v[26:27], v[29:30]
	v_mul_f64 v[26:27], v[26:27], v[26:27]
	v_div_scale_f64 v[31:32], null, v[29:30], v[29:30], 1.0
	v_rcp_f64_e32 v[33:34], v[31:32]
	v_fma_f64 v[35:36], -v[31:32], v[33:34], 1.0
	v_fma_f64 v[33:34], v[33:34], v[35:36], v[33:34]
	v_fma_f64 v[35:36], -v[31:32], v[33:34], 1.0
	v_fma_f64 v[33:34], v[33:34], v[35:36], v[33:34]
	v_div_scale_f64 v[35:36], vcc_lo, 1.0, v[29:30], 1.0
	v_mul_f64 v[37:38], v[35:36], v[33:34]
	v_fma_f64 v[31:32], -v[31:32], v[37:38], v[35:36]
	v_div_fmas_f64 v[31:32], v[31:32], v[33:34], v[37:38]
	v_div_fixup_f64 v[29:30], v[31:32], v[29:30], 1.0
	v_mul_f64 v[8:9], v[8:9], v[29:30]
	v_lshlrev_b64 v[28:29], 3, v[0:1]
	v_add_nc_u32_e32 v0, s4, v0
	v_add_co_u32 v30, vcc_lo, s10, v28
	v_add_co_ci_u32_e64 v31, null, s11, v29, vcc_lo
	v_add_co_u32 v28, vcc_lo, s12, v28
	v_add_co_ci_u32_e64 v29, null, s13, v29, vcc_lo
	global_load_dwordx2 v[30:31], v[30:31], off
	v_min_f64 v[8:9], v[8:9], s[0:1]
	s_waitcnt vmcnt(0)
	v_mul_f64 v[8:9], v[30:31], v[8:9]
	global_store_dwordx2 v[28:29], v[8:9], off
	v_mad_u64_u32 v[28:29], null, s2, 13, v[0:1]
	v_mov_b32_e32 v29, v1
	v_lshlrev_b64 v[8:9], 3, v[0:1]
	v_lshlrev_b64 v[32:33], 3, v[28:29]
	v_add_co_u32 v8, vcc_lo, s14, v8
	v_add_co_ci_u32_e64 v9, null, s15, v9, vcc_lo
	v_mad_u64_u32 v[28:29], null, 0x53, s2, v[28:29]
	v_add_co_u32 v32, vcc_lo, s14, v32
	v_add_co_ci_u32_e64 v33, null, s15, v33, vcc_lo
	global_load_dwordx2 v[30:31], v[8:9], off
	v_mov_b32_e32 v29, v1
	v_add_nc_u32_e32 v0, s4, v28
	global_load_dwordx2 v[32:33], v[32:33], off
	s_waitcnt vmcnt(1)
	v_mul_f64 v[8:9], v[20:21], v[30:31]
	s_waitcnt vmcnt(0)
	v_mul_f64 v[32:33], v[16:17], v[32:33]
	v_div_scale_f64 v[34:35], null, v[32:33], v[32:33], 1.0
	v_rcp_f64_e32 v[36:37], v[34:35]
	v_fma_f64 v[38:39], -v[34:35], v[36:37], 1.0
	v_fma_f64 v[36:37], v[36:37], v[38:39], v[36:37]
	v_fma_f64 v[38:39], -v[34:35], v[36:37], 1.0
	v_fma_f64 v[36:37], v[36:37], v[38:39], v[36:37]
	v_div_scale_f64 v[38:39], vcc_lo, 1.0, v[32:33], 1.0
	v_mul_f64 v[40:41], v[38:39], v[36:37]
	v_fma_f64 v[34:35], -v[34:35], v[40:41], v[38:39]
	v_div_fmas_f64 v[34:35], v[34:35], v[36:37], v[40:41]
	v_div_fixup_f64 v[32:33], v[34:35], v[32:33], 1.0
	v_mul_f64 v[8:9], v[8:9], v[32:33]
	v_lshlrev_b64 v[32:33], 3, v[28:29]
	v_add_co_u32 v34, vcc_lo, s10, v32
	v_add_co_ci_u32_e64 v35, null, s11, v33, vcc_lo
	v_add_co_u32 v32, vcc_lo, s12, v32
	v_add_co_ci_u32_e64 v33, null, s13, v33, vcc_lo
	global_load_dwordx2 v[34:35], v[34:35], off
	v_min_f64 v[8:9], v[8:9], s[0:1]
	s_waitcnt vmcnt(0)
	v_mul_f64 v[8:9], v[34:35], v[8:9]
	v_div_scale_f64 v[34:35], null, v[26:27], v[26:27], 1.0
	global_store_dwordx2 v[32:33], v[8:9], off
	v_rcp_f64_e32 v[36:37], v[34:35]
	v_lshlrev_b64 v[8:9], 3, v[0:1]
	v_add_nc_u32_e32 v0, s5, v0
	v_add_co_u32 v8, vcc_lo, s14, v8
	v_add_co_ci_u32_e64 v9, null, s15, v9, vcc_lo
	global_load_dwordx2 v[32:33], v[8:9], off
	v_fma_f64 v[38:39], -v[34:35], v[36:37], 1.0
	v_fma_f64 v[36:37], v[36:37], v[38:39], v[36:37]
	v_fma_f64 v[38:39], -v[34:35], v[36:37], 1.0
	v_fma_f64 v[36:37], v[36:37], v[38:39], v[36:37]
	v_div_scale_f64 v[38:39], vcc_lo, 1.0, v[26:27], 1.0
	v_mul_f64 v[40:41], v[38:39], v[36:37]
	v_fma_f64 v[34:35], -v[34:35], v[40:41], v[38:39]
	v_div_fmas_f64 v[34:35], v[34:35], v[36:37], v[40:41]
	v_div_fixup_f64 v[26:27], v[34:35], v[26:27], 1.0
	v_lshlrev_b64 v[34:35], 3, v[0:1]
	v_add_nc_u32_e32 v0, s4, v0
	s_mul_i32 s4, s2, 0x5c
	v_add_co_u32 v36, vcc_lo, s10, v34
	v_add_co_ci_u32_e64 v37, null, s11, v35, vcc_lo
	v_add_co_u32 v34, vcc_lo, s12, v34
	v_add_co_ci_u32_e64 v35, null, s13, v35, vcc_lo
	global_load_dwordx2 v[36:37], v[36:37], off
	s_waitcnt vmcnt(1)
	v_mul_f64 v[28:29], v[20:21], v[32:33]
	v_mul_f64 v[28:29], v[26:27], v[28:29]
	v_min_f64 v[28:29], v[28:29], s[0:1]
	s_waitcnt vmcnt(0)
	v_mul_f64 v[28:29], v[36:37], v[28:29]
	global_store_dwordx2 v[34:35], v[28:29], off
	v_lshlrev_b64 v[28:29], 3, v[0:1]
	v_add_nc_u32_e32 v0, s5, v0
	s_mul_i32 s5, s2, 0x5e
	v_add_co_u32 v28, vcc_lo, s14, v28
	v_add_co_ci_u32_e64 v29, null, s15, v29, vcc_lo
	global_load_dwordx2 v[38:39], v[28:29], off
	s_waitcnt vmcnt(0)
	v_mul_f64 v[20:21], v[20:21], v[38:39]
	v_mul_f64 v[20:21], v[26:27], v[20:21]
	v_lshlrev_b64 v[26:27], 3, v[0:1]
	v_add_co_u32 v28, vcc_lo, s10, v26
	v_add_co_ci_u32_e64 v29, null, s11, v27, vcc_lo
	v_add_co_u32 v26, vcc_lo, s12, v26
	v_add_co_ci_u32_e64 v27, null, s13, v27, vcc_lo
	global_load_dwordx2 v[28:29], v[28:29], off
	v_min_f64 v[20:21], v[20:21], s[0:1]
	s_waitcnt vmcnt(0)
	v_mul_f64 v[20:21], v[28:29], v[20:21]
	global_store_dwordx2 v[26:27], v[20:21], off
	v_mad_u64_u32 v[20:21], null, 0xffffffae, s2, v[0:1]
	v_mov_b32_e32 v21, v1
	v_lshlrev_b64 v[26:27], 3, v[20:21]
	v_add_nc_u32_e32 v0, s3, v20
	s_mul_i32 s3, s2, 0xffffffa5
	v_add_co_u32 v26, vcc_lo, s14, v26
	v_lshlrev_b64 v[20:21], 3, v[0:1]
	v_add_co_ci_u32_e64 v27, null, s15, v27, vcc_lo
	v_add_nc_u32_e32 v0, s5, v0
	global_load_dwordx2 v[36:37], v[26:27], off
	v_add_co_u32 v26, vcc_lo, s14, v20
	v_add_co_ci_u32_e64 v27, null, s15, v21, vcc_lo
	global_load_dwordx2 v[34:35], v[26:27], off
	s_waitcnt vmcnt(1)
	v_mul_f64 v[28:29], v[16:17], v[36:37]
	v_mul_f64 v[12:13], v[12:13], v[36:37]
	s_waitcnt vmcnt(0)
	v_mul_f64 v[20:21], v[38:39], v[34:35]
	v_mul_f64 v[18:19], v[18:19], v[34:35]
	v_div_scale_f64 v[38:39], null, v[20:21], v[20:21], 1.0
	v_mul_f64 v[18:19], v[34:35], v[18:19]
	v_rcp_f64_e32 v[40:41], v[38:39]
	v_mul_f64 v[18:19], v[4:5], v[18:19]
	v_fma_f64 v[42:43], -v[38:39], v[40:41], 1.0
	v_fma_f64 v[40:41], v[40:41], v[42:43], v[40:41]
	v_fma_f64 v[42:43], -v[38:39], v[40:41], 1.0
	v_fma_f64 v[40:41], v[40:41], v[42:43], v[40:41]
	v_div_scale_f64 v[42:43], vcc_lo, 1.0, v[20:21], 1.0
	v_mul_f64 v[44:45], v[42:43], v[40:41]
	v_fma_f64 v[38:39], -v[38:39], v[44:45], v[42:43]
	v_div_fmas_f64 v[38:39], v[38:39], v[40:41], v[44:45]
	v_div_fixup_f64 v[20:21], v[38:39], v[20:21], 1.0
	v_lshlrev_b64 v[38:39], 3, v[0:1]
	v_add_nc_u32_e32 v0, s2, v0
	v_add_co_u32 v40, vcc_lo, s10, v38
	v_add_co_ci_u32_e64 v41, null, s11, v39, vcc_lo
	v_add_co_u32 v38, vcc_lo, s12, v38
	v_add_co_ci_u32_e64 v39, null, s13, v39, vcc_lo
	global_load_dwordx2 v[40:41], v[40:41], off
	v_mul_f64 v[20:21], v[28:29], v[20:21]
	v_min_f64 v[20:21], v[20:21], s[0:1]
	s_waitcnt vmcnt(0)
	v_mul_f64 v[20:21], v[40:41], v[20:21]
	global_store_dwordx2 v[38:39], v[20:21], off
	v_mul_f64 v[38:39], v[16:17], v[34:35]
	v_mul_f64 v[20:21], v[22:23], v[36:37]
	;; [unrolled: 1-line block ×4, first 2 shown]
	v_div_scale_f64 v[40:41], null, v[38:39], v[38:39], 1.0
	v_rcp_f64_e32 v[42:43], v[40:41]
	v_fma_f64 v[44:45], -v[40:41], v[42:43], 1.0
	v_fma_f64 v[42:43], v[42:43], v[44:45], v[42:43]
	v_fma_f64 v[44:45], -v[40:41], v[42:43], 1.0
	v_fma_f64 v[42:43], v[42:43], v[44:45], v[42:43]
	v_div_scale_f64 v[44:45], vcc_lo, 1.0, v[38:39], 1.0
	v_mul_f64 v[46:47], v[44:45], v[42:43]
	v_fma_f64 v[40:41], -v[40:41], v[46:47], v[44:45]
	v_div_fmas_f64 v[40:41], v[40:41], v[42:43], v[46:47]
	v_div_fixup_f64 v[38:39], v[40:41], v[38:39], 1.0
	v_mul_f64 v[20:21], v[20:21], v[38:39]
	v_lshlrev_b64 v[38:39], 3, v[0:1]
	v_add_nc_u32_e32 v0, s2, v0
	v_add_co_u32 v40, vcc_lo, s10, v38
	v_add_co_ci_u32_e64 v41, null, s11, v39, vcc_lo
	v_add_co_u32 v38, vcc_lo, s12, v38
	v_add_co_ci_u32_e64 v39, null, s13, v39, vcc_lo
	global_load_dwordx2 v[40:41], v[40:41], off
	v_min_f64 v[20:21], v[20:21], s[0:1]
	s_waitcnt vmcnt(0)
	v_mul_f64 v[20:21], v[40:41], v[20:21]
	global_store_dwordx2 v[38:39], v[20:21], off
	v_div_scale_f64 v[20:21], null, v[18:19], v[18:19], 1.0
	v_rcp_f64_e32 v[38:39], v[20:21]
	v_fma_f64 v[40:41], -v[20:21], v[38:39], 1.0
	v_fma_f64 v[38:39], v[38:39], v[40:41], v[38:39]
	v_fma_f64 v[40:41], -v[20:21], v[38:39], 1.0
	v_fma_f64 v[38:39], v[38:39], v[40:41], v[38:39]
	v_div_scale_f64 v[40:41], vcc_lo, 1.0, v[18:19], 1.0
	v_mul_f64 v[42:43], v[40:41], v[38:39]
	v_fma_f64 v[20:21], -v[20:21], v[42:43], v[40:41]
	v_div_fmas_f64 v[20:21], v[20:21], v[38:39], v[42:43]
	v_div_fixup_f64 v[18:19], v[20:21], v[18:19], 1.0
	v_mul_f64 v[12:13], v[12:13], v[18:19]
	v_lshlrev_b64 v[18:19], 3, v[0:1]
	v_add_nc_u32_e32 v0, s3, v0
	v_add_co_u32 v20, vcc_lo, s10, v18
	v_add_co_ci_u32_e64 v21, null, s11, v19, vcc_lo
	v_add_co_u32 v18, vcc_lo, s12, v18
	v_add_co_ci_u32_e64 v19, null, s13, v19, vcc_lo
	global_load_dwordx2 v[20:21], v[20:21], off
	v_min_f64 v[12:13], v[12:13], s[0:1]
	s_waitcnt vmcnt(0)
	v_mul_f64 v[12:13], v[20:21], v[12:13]
	global_store_dwordx2 v[18:19], v[12:13], off
	v_lshlrev_b64 v[12:13], 3, v[0:1]
	v_mul_f64 v[18:19], v[30:31], v[36:37]
	v_add_nc_u32_e32 v0, s4, v0
	v_add_co_u32 v12, vcc_lo, s14, v12
	v_add_co_ci_u32_e64 v13, null, s15, v13, vcc_lo
	global_load_dwordx2 v[12:13], v[12:13], off
	s_waitcnt vmcnt(0)
	v_mul_f64 v[20:21], v[34:35], v[12:13]
	v_mul_f64 v[16:17], v[16:17], v[12:13]
	v_div_scale_f64 v[30:31], null, v[20:21], v[20:21], 1.0
	v_mul_f64 v[16:17], v[4:5], v[16:17]
	v_rcp_f64_e32 v[38:39], v[30:31]
	v_fma_f64 v[40:41], -v[30:31], v[38:39], 1.0
	v_fma_f64 v[38:39], v[38:39], v[40:41], v[38:39]
	v_fma_f64 v[40:41], -v[30:31], v[38:39], 1.0
	v_fma_f64 v[38:39], v[38:39], v[40:41], v[38:39]
	v_div_scale_f64 v[40:41], vcc_lo, 1.0, v[20:21], 1.0
	v_mul_f64 v[42:43], v[40:41], v[38:39]
	v_fma_f64 v[30:31], -v[30:31], v[42:43], v[40:41]
	v_div_fmas_f64 v[30:31], v[30:31], v[38:39], v[42:43]
	v_div_fixup_f64 v[20:21], v[30:31], v[20:21], 1.0
	v_mul_f64 v[18:19], v[18:19], v[20:21]
	v_lshlrev_b64 v[20:21], 3, v[0:1]
	v_add_co_u32 v30, vcc_lo, s10, v20
	v_add_co_ci_u32_e64 v31, null, s11, v21, vcc_lo
	v_add_co_u32 v20, vcc_lo, s12, v20
	v_add_co_ci_u32_e64 v21, null, s13, v21, vcc_lo
	global_load_dwordx2 v[30:31], v[30:31], off
	v_min_f64 v[18:19], v[18:19], s[0:1]
	s_waitcnt vmcnt(0)
	v_mul_f64 v[18:19], v[30:31], v[18:19]
	v_mad_u64_u32 v[30:31], null, 0xffffffa6, s2, v[0:1]
	v_mov_b32_e32 v31, v1
	global_store_dwordx2 v[20:21], v[18:19], off
	v_lshlrev_b64 v[20:21], 3, v[30:31]
	v_mul_f64 v[18:19], v[32:33], v[36:37]
	v_add_co_u32 v20, vcc_lo, s14, v20
	v_add_co_ci_u32_e64 v21, null, s15, v21, vcc_lo
	global_load_dwordx2 v[31:32], v[20:21], off
	s_waitcnt vmcnt(0)
	v_mul_f64 v[38:39], v[34:35], v[31:32]
	v_mul_f64 v[33:34], v[34:35], v[34:35]
	v_div_scale_f64 v[40:41], null, v[38:39], v[38:39], 1.0
	v_mul_f64 v[33:34], v[33:34], v[12:13]
	v_rcp_f64_e32 v[42:43], v[40:41]
	v_mul_f64 v[33:34], v[4:5], v[33:34]
	v_fma_f64 v[44:45], -v[40:41], v[42:43], 1.0
	v_fma_f64 v[42:43], v[42:43], v[44:45], v[42:43]
	v_fma_f64 v[44:45], -v[40:41], v[42:43], 1.0
	v_fma_f64 v[42:43], v[42:43], v[44:45], v[42:43]
	v_div_scale_f64 v[44:45], vcc_lo, 1.0, v[38:39], 1.0
	v_mul_f64 v[46:47], v[44:45], v[42:43]
	v_fma_f64 v[40:41], -v[40:41], v[46:47], v[44:45]
	v_div_fmas_f64 v[40:41], v[40:41], v[42:43], v[46:47]
	v_div_fixup_f64 v[38:39], v[40:41], v[38:39], 1.0
	v_mul_f64 v[18:19], v[18:19], v[38:39]
	v_mad_u64_u32 v[38:39], null, 0x5b, s2, v[30:31]
	v_mov_b32_e32 v39, v1
	v_lshlrev_b64 v[39:40], 3, v[38:39]
	v_add_nc_u32_e32 v0, s2, v38
	v_add_co_u32 v41, vcc_lo, s10, v39
	v_add_co_ci_u32_e64 v42, null, s11, v40, vcc_lo
	v_add_co_u32 v39, vcc_lo, s12, v39
	v_add_co_ci_u32_e64 v40, null, s13, v40, vcc_lo
	global_load_dwordx2 v[41:42], v[41:42], off
	v_min_f64 v[18:19], v[18:19], s[0:1]
	s_waitcnt vmcnt(0)
	v_mul_f64 v[18:19], v[41:42], v[18:19]
	global_store_dwordx2 v[39:40], v[18:19], off
	v_mul_f64 v[18:19], v[36:37], v[36:37]
	v_div_scale_f64 v[35:36], null, v[33:34], v[33:34], 1.0
	v_rcp_f64_e32 v[39:40], v[35:36]
	v_fma_f64 v[41:42], -v[35:36], v[39:40], 1.0
	v_fma_f64 v[39:40], v[39:40], v[41:42], v[39:40]
	v_fma_f64 v[41:42], -v[35:36], v[39:40], 1.0
	v_fma_f64 v[39:40], v[39:40], v[41:42], v[39:40]
	v_div_scale_f64 v[41:42], vcc_lo, 1.0, v[33:34], 1.0
	v_mul_f64 v[43:44], v[41:42], v[39:40]
	v_fma_f64 v[35:36], -v[35:36], v[43:44], v[41:42]
	v_div_fmas_f64 v[35:36], v[35:36], v[39:40], v[43:44]
	v_div_fixup_f64 v[33:34], v[35:36], v[33:34], 1.0
	v_mul_f64 v[18:19], v[18:19], v[33:34]
	v_lshlrev_b64 v[33:34], 3, v[0:1]
	v_add_co_u32 v35, vcc_lo, s10, v33
	v_add_co_ci_u32_e64 v36, null, s11, v34, vcc_lo
	v_add_co_u32 v33, vcc_lo, s12, v33
	v_add_co_ci_u32_e64 v34, null, s13, v34, vcc_lo
	global_load_dwordx2 v[35:36], v[35:36], off
	v_min_f64 v[18:19], v[18:19], s[0:1]
	s_waitcnt vmcnt(0)
	v_mul_f64 v[18:19], v[18:19], v[35:36]
	global_store_dwordx2 v[33:34], v[18:19], off
	v_mad_u64_u32 v[33:34], null, 0xffffffa3, s2, v[0:1]
	v_mov_b32_e32 v34, v1
	v_lshlrev_b64 v[18:19], 3, v[33:34]
	v_add_nc_u32_e32 v0, s5, v33
	v_add_co_u32 v18, vcc_lo, s14, v18
	v_add_co_ci_u32_e64 v19, null, s15, v19, vcc_lo
	global_load_dwordx2 v[34:35], v[18:19], off
	s_waitcnt vmcnt(0)
	v_div_scale_f64 v[36:37], null, v[34:35], v[34:35], 1.0
	v_rcp_f64_e32 v[38:39], v[36:37]
	v_fma_f64 v[40:41], -v[36:37], v[38:39], 1.0
	v_fma_f64 v[38:39], v[38:39], v[40:41], v[38:39]
	v_fma_f64 v[40:41], -v[36:37], v[38:39], 1.0
	v_fma_f64 v[38:39], v[38:39], v[40:41], v[38:39]
	v_div_scale_f64 v[40:41], vcc_lo, 1.0, v[34:35], 1.0
	v_mul_f64 v[42:43], v[40:41], v[38:39]
	v_fma_f64 v[36:37], -v[36:37], v[42:43], v[40:41]
	v_div_fmas_f64 v[36:37], v[36:37], v[38:39], v[42:43]
	v_div_fixup_f64 v[34:35], v[36:37], v[34:35], 1.0
	v_lshlrev_b64 v[36:37], 3, v[0:1]
	v_add_nc_u32_e32 v0, s2, v0
	v_add_co_u32 v38, vcc_lo, s10, v36
	v_add_co_ci_u32_e64 v39, null, s11, v37, vcc_lo
	global_load_dwordx2 v[38:39], v[38:39], off
	v_mul_f64 v[34:35], v[12:13], v[34:35]
	v_min_f64 v[33:34], v[34:35], s[0:1]
	v_add_co_u32 v35, vcc_lo, s12, v36
	v_add_co_ci_u32_e64 v36, null, s13, v37, vcc_lo
	s_waitcnt vmcnt(0)
	v_mul_f64 v[33:34], v[38:39], v[33:34]
	global_store_dwordx2 v[35:36], v[33:34], off
	v_div_scale_f64 v[33:34], null, v[16:17], v[16:17], 1.0
	v_rcp_f64_e32 v[35:36], v[33:34]
	v_fma_f64 v[37:38], -v[33:34], v[35:36], 1.0
	v_fma_f64 v[35:36], v[35:36], v[37:38], v[35:36]
	v_fma_f64 v[37:38], -v[33:34], v[35:36], 1.0
	v_fma_f64 v[35:36], v[35:36], v[37:38], v[35:36]
	v_div_scale_f64 v[37:38], vcc_lo, 1.0, v[16:17], 1.0
	v_mul_f64 v[39:40], v[37:38], v[35:36]
	v_fma_f64 v[33:34], -v[33:34], v[39:40], v[37:38]
	v_div_fmas_f64 v[33:34], v[33:34], v[35:36], v[39:40]
	v_div_fixup_f64 v[16:17], v[33:34], v[16:17], 1.0
	v_mul_f64 v[16:17], v[31:32], v[16:17]
	v_lshlrev_b64 v[30:31], 3, v[0:1]
	v_add_nc_u32_e32 v0, s2, v0
	v_add_co_u32 v32, vcc_lo, s10, v30
	v_add_co_ci_u32_e64 v33, null, s11, v31, vcc_lo
	v_add_co_u32 v30, vcc_lo, s12, v30
	v_add_co_ci_u32_e64 v31, null, s13, v31, vcc_lo
	global_load_dwordx2 v[32:33], v[32:33], off
	v_min_f64 v[16:17], v[16:17], s[0:1]
	s_waitcnt vmcnt(0)
	v_mul_f64 v[16:17], v[16:17], v[32:33]
	global_store_dwordx2 v[30:31], v[16:17], off
	v_mul_f64 v[16:17], v[22:23], v[12:13]
	v_div_scale_f64 v[22:23], null, v[28:29], v[28:29], 1.0
	v_rcp_f64_e32 v[30:31], v[22:23]
	v_fma_f64 v[32:33], -v[22:23], v[30:31], 1.0
	v_fma_f64 v[30:31], v[30:31], v[32:33], v[30:31]
	v_fma_f64 v[32:33], -v[22:23], v[30:31], 1.0
	v_fma_f64 v[30:31], v[30:31], v[32:33], v[30:31]
	v_div_scale_f64 v[32:33], vcc_lo, 1.0, v[28:29], 1.0
	v_mul_f64 v[34:35], v[32:33], v[30:31]
	v_fma_f64 v[22:23], -v[22:23], v[34:35], v[32:33]
	v_div_fmas_f64 v[22:23], v[22:23], v[30:31], v[34:35]
	v_div_fixup_f64 v[22:23], v[22:23], v[28:29], 1.0
	v_lshlrev_b64 v[28:29], 3, v[0:1]
	v_add_nc_u32_e32 v0, s2, v0
	v_add_co_u32 v30, vcc_lo, s10, v28
	v_add_co_ci_u32_e64 v31, null, s11, v29, vcc_lo
	v_add_co_u32 v28, vcc_lo, s12, v28
	v_add_co_ci_u32_e64 v29, null, s13, v29, vcc_lo
	global_load_dwordx2 v[30:31], v[30:31], off
	v_mul_f64 v[22:23], v[22:23], v[16:17]
	v_min_f64 v[22:23], v[22:23], s[0:1]
	s_waitcnt vmcnt(0)
	v_mul_f64 v[22:23], v[22:23], v[30:31]
	global_store_dwordx2 v[28:29], v[22:23], off
	s_clause 0x5
	global_load_dwordx2 v[22:23], v[8:9], off
	global_load_dwordx2 v[26:27], v[26:27], off
	;; [unrolled: 1-line block ×6, first 2 shown]
	s_waitcnt vmcnt(4)
	v_mul_f64 v[22:23], v[22:23], v[26:27]
	v_div_scale_f64 v[28:29], null, v[22:23], v[22:23], 1.0
	v_rcp_f64_e32 v[30:31], v[28:29]
	v_fma_f64 v[32:33], -v[28:29], v[30:31], 1.0
	v_fma_f64 v[30:31], v[30:31], v[32:33], v[30:31]
	v_fma_f64 v[32:33], -v[28:29], v[30:31], 1.0
	v_fma_f64 v[30:31], v[30:31], v[32:33], v[30:31]
	v_div_scale_f64 v[32:33], vcc_lo, 1.0, v[22:23], 1.0
	v_mul_f64 v[34:35], v[32:33], v[30:31]
	v_fma_f64 v[28:29], -v[28:29], v[34:35], v[32:33]
	v_div_fmas_f64 v[28:29], v[28:29], v[30:31], v[34:35]
	v_div_fixup_f64 v[22:23], v[28:29], v[22:23], 1.0
	v_lshlrev_b64 v[28:29], 3, v[0:1]
	v_add_nc_u32_e32 v0, s3, v0
	v_add_co_u32 v30, vcc_lo, s10, v28
	v_add_co_ci_u32_e64 v31, null, s11, v29, vcc_lo
	v_add_co_u32 v28, vcc_lo, s12, v28
	v_add_co_ci_u32_e64 v29, null, s13, v29, vcc_lo
	global_load_dwordx2 v[30:31], v[30:31], off
	v_mul_f64 v[16:17], v[16:17], v[22:23]
	v_min_f64 v[16:17], v[16:17], s[0:1]
	s_waitcnt vmcnt(0)
	v_mul_f64 v[16:17], v[30:31], v[16:17]
	global_store_dwordx2 v[28:29], v[16:17], off
	v_lshlrev_b64 v[28:29], 3, v[0:1]
	global_load_dwordx2 v[16:17], v[24:25], off
	v_add_nc_u32_e32 v0, s4, v0
	v_add_co_u32 v28, vcc_lo, s14, v28
	v_add_co_ci_u32_e64 v29, null, s15, v29, vcc_lo
	s_clause 0x1
	global_load_dwordx2 v[28:29], v[28:29], off
	global_load_dwordx2 v[20:21], v[20:21], off
	s_waitcnt vmcnt(2)
	v_mul_f64 v[24:25], v[16:17], v[12:13]
	s_waitcnt vmcnt(1)
	v_mul_f64 v[14:15], v[14:15], v[28:29]
	;; [unrolled: 2-line block ×3, first 2 shown]
	v_div_scale_f64 v[28:29], null, v[14:15], v[14:15], 1.0
	v_rcp_f64_e32 v[30:31], v[28:29]
	v_fma_f64 v[32:33], -v[28:29], v[30:31], 1.0
	v_fma_f64 v[30:31], v[30:31], v[32:33], v[30:31]
	v_fma_f64 v[32:33], -v[28:29], v[30:31], 1.0
	v_fma_f64 v[30:31], v[30:31], v[32:33], v[30:31]
	v_div_scale_f64 v[32:33], vcc_lo, 1.0, v[14:15], 1.0
	v_mul_f64 v[34:35], v[32:33], v[30:31]
	v_fma_f64 v[28:29], -v[28:29], v[34:35], v[32:33]
	v_div_fmas_f64 v[28:29], v[28:29], v[30:31], v[34:35]
	v_lshlrev_b64 v[30:31], 3, v[0:1]
	v_add_nc_u32_e32 v0, s2, v0
	v_add_co_u32 v32, vcc_lo, s10, v30
	v_add_co_ci_u32_e64 v33, null, s11, v31, vcc_lo
	v_add_co_u32 v30, vcc_lo, s12, v30
	v_add_co_ci_u32_e64 v31, null, s13, v31, vcc_lo
	global_load_dwordx2 v[32:33], v[32:33], off
	v_div_fixup_f64 v[14:15], v[28:29], v[14:15], 1.0
	v_mul_f64 v[28:29], v[24:25], v[14:15]
	v_min_f64 v[28:29], v[28:29], s[0:1]
	s_waitcnt vmcnt(0)
	v_mul_f64 v[28:29], v[32:33], v[28:29]
	global_store_dwordx2 v[30:31], v[28:29], off
	v_mul_f64 v[28:29], v[10:11], v[26:27]
	v_div_scale_f64 v[26:27], null, v[20:21], v[20:21], 1.0
	v_mul_f64 v[10:11], v[10:11], v[12:13]
	v_div_scale_f64 v[30:31], null, v[28:29], v[28:29], 1.0
	v_mul_f64 v[4:5], v[4:5], v[10:11]
	v_rcp_f64_e32 v[32:33], v[30:31]
	v_fma_f64 v[34:35], -v[30:31], v[32:33], 1.0
	v_fma_f64 v[32:33], v[32:33], v[34:35], v[32:33]
	v_fma_f64 v[34:35], -v[30:31], v[32:33], 1.0
	v_fma_f64 v[32:33], v[32:33], v[34:35], v[32:33]
	v_div_scale_f64 v[34:35], vcc_lo, 1.0, v[28:29], 1.0
	v_mul_f64 v[36:37], v[34:35], v[32:33]
	v_fma_f64 v[30:31], -v[30:31], v[36:37], v[34:35]
	v_div_fmas_f64 v[30:31], v[30:31], v[32:33], v[36:37]
	v_div_fixup_f64 v[28:29], v[30:31], v[28:29], 1.0
	v_mul_f64 v[24:25], v[24:25], v[28:29]
	v_lshlrev_b64 v[28:29], 3, v[0:1]
	v_add_co_u32 v30, vcc_lo, s10, v28
	v_add_co_ci_u32_e64 v31, null, s11, v29, vcc_lo
	v_add_co_u32 v28, vcc_lo, s12, v28
	v_add_co_ci_u32_e64 v29, null, s13, v29, vcc_lo
	global_load_dwordx2 v[30:31], v[30:31], off
	v_min_f64 v[24:25], v[24:25], s[0:1]
	s_waitcnt vmcnt(0)
	v_mul_f64 v[24:25], v[30:31], v[24:25]
	v_rcp_f64_e32 v[30:31], v[26:27]
	global_store_dwordx2 v[28:29], v[24:25], off
	v_mad_u64_u32 v[24:25], null, 0xffffff99, s2, v[0:1]
	v_mov_b32_e32 v25, v1
	v_fma_f64 v[32:33], -v[26:27], v[30:31], 1.0
	v_lshlrev_b64 v[28:29], 3, v[24:25]
	v_mad_u64_u32 v[24:25], null, 0x68, s2, v[24:25]
	v_mov_b32_e32 v25, v1
	v_add_co_u32 v28, vcc_lo, s14, v28
	v_add_co_ci_u32_e64 v29, null, s15, v29, vcc_lo
	v_add_nc_u32_e32 v0, s3, v24
	global_load_dwordx2 v[28:29], v[28:29], off
	v_lshlrev_b64 v[10:11], 3, v[0:1]
	v_add_nc_u32_e32 v0, s4, v0
	v_fma_f64 v[30:31], v[30:31], v[32:33], v[30:31]
	v_fma_f64 v[32:33], -v[26:27], v[30:31], 1.0
	v_fma_f64 v[30:31], v[30:31], v[32:33], v[30:31]
	v_div_scale_f64 v[32:33], vcc_lo, 1.0, v[20:21], 1.0
	v_mul_f64 v[34:35], v[32:33], v[30:31]
	v_fma_f64 v[26:27], -v[26:27], v[34:35], v[32:33]
	v_div_fmas_f64 v[26:27], v[26:27], v[30:31], v[34:35]
	v_div_fixup_f64 v[20:21], v[26:27], v[20:21], 1.0
	v_lshlrev_b64 v[25:26], 3, v[24:25]
	v_add_co_u32 v27, vcc_lo, s10, v25
	s_waitcnt vmcnt(0)
	v_mul_f64 v[28:29], v[28:29], v[12:13]
	v_mul_f64 v[20:21], v[28:29], v[20:21]
	v_add_co_ci_u32_e64 v28, null, s11, v26, vcc_lo
	v_add_co_u32 v25, vcc_lo, s12, v25
	v_add_co_ci_u32_e64 v26, null, s13, v26, vcc_lo
	global_load_dwordx2 v[27:28], v[27:28], off
	v_add_co_u32 v10, vcc_lo, s14, v10
	v_add_co_ci_u32_e64 v11, null, s15, v11, vcc_lo
	global_load_dwordx2 v[10:11], v[10:11], off
	v_min_f64 v[20:21], v[20:21], s[0:1]
	s_waitcnt vmcnt(1)
	v_mul_f64 v[20:21], v[27:28], v[20:21]
	global_store_dwordx2 v[25:26], v[20:21], off
	s_waitcnt vmcnt(0)
	v_div_scale_f64 v[20:21], null, v[10:11], v[10:11], 1.0
	v_rcp_f64_e32 v[24:25], v[20:21]
	v_fma_f64 v[26:27], -v[20:21], v[24:25], 1.0
	v_fma_f64 v[24:25], v[24:25], v[26:27], v[24:25]
	v_fma_f64 v[26:27], -v[20:21], v[24:25], 1.0
	v_fma_f64 v[24:25], v[24:25], v[26:27], v[24:25]
	v_div_scale_f64 v[26:27], vcc_lo, 1.0, v[10:11], 1.0
	v_mul_f64 v[28:29], v[26:27], v[24:25]
	v_fma_f64 v[20:21], -v[20:21], v[28:29], v[26:27]
	v_div_fmas_f64 v[20:21], v[20:21], v[24:25], v[28:29]
	v_div_fixup_f64 v[10:11], v[20:21], v[10:11], 1.0
	v_mul_f64 v[4:5], v[4:5], v[10:11]
	v_lshlrev_b64 v[10:11], 3, v[0:1]
	v_add_nc_u32_e32 v0, s2, v0
	v_add_co_u32 v20, vcc_lo, s10, v10
	v_add_co_ci_u32_e64 v21, null, s11, v11, vcc_lo
	v_add_co_u32 v10, vcc_lo, s12, v10
	v_add_co_ci_u32_e64 v11, null, s13, v11, vcc_lo
	global_load_dwordx2 v[20:21], v[20:21], off
	v_min_f64 v[4:5], v[4:5], s[0:1]
	s_waitcnt vmcnt(0)
	v_mul_f64 v[4:5], v[20:21], v[4:5]
	global_store_dwordx2 v[10:11], v[4:5], off
	global_load_dwordx2 v[4:5], v[18:19], off
	s_waitcnt vmcnt(0)
	v_div_scale_f64 v[10:11], null, v[4:5], v[4:5], 1.0
	v_mul_f64 v[6:7], v[6:7], v[4:5]
	v_mul_f64 v[2:3], v[2:3], v[4:5]
	v_rcp_f64_e32 v[18:19], v[10:11]
	v_mul_f64 v[6:7], v[6:7], v[22:23]
	v_fma_f64 v[20:21], -v[10:11], v[18:19], 1.0
	v_min_f64 v[6:7], v[6:7], s[0:1]
	v_fma_f64 v[18:19], v[18:19], v[20:21], v[18:19]
	v_fma_f64 v[20:21], -v[10:11], v[18:19], 1.0
	v_fma_f64 v[18:19], v[18:19], v[20:21], v[18:19]
	v_div_scale_f64 v[20:21], vcc_lo, 1.0, v[4:5], 1.0
	v_mul_f64 v[24:25], v[20:21], v[18:19]
	v_fma_f64 v[10:11], -v[10:11], v[24:25], v[20:21]
	v_div_fmas_f64 v[10:11], v[10:11], v[18:19], v[24:25]
	v_div_fixup_f64 v[10:11], v[10:11], v[4:5], 1.0
	v_mul_f64 v[10:11], v[12:13], v[10:11]
	v_lshlrev_b64 v[12:13], 3, v[0:1]
	v_add_nc_u32_e32 v0, s2, v0
	v_add_co_u32 v18, vcc_lo, s10, v12
	v_add_co_ci_u32_e64 v19, null, s11, v13, vcc_lo
	v_add_co_u32 v12, vcc_lo, s12, v12
	v_add_co_ci_u32_e64 v13, null, s13, v13, vcc_lo
	global_load_dwordx2 v[18:19], v[18:19], off
	v_min_f64 v[10:11], v[10:11], s[0:1]
	s_waitcnt vmcnt(0)
	v_mul_f64 v[10:11], v[18:19], v[10:11]
	global_store_dwordx2 v[12:13], v[10:11], off
	v_lshlrev_b64 v[10:11], 3, v[0:1]
	v_add_nc_u32_e32 v0, s2, v0
	v_add_co_u32 v12, vcc_lo, s10, v10
	v_add_co_ci_u32_e64 v13, null, s11, v11, vcc_lo
	v_add_co_u32 v10, vcc_lo, s12, v10
	v_add_co_ci_u32_e64 v11, null, s13, v11, vcc_lo
	global_load_dwordx2 v[12:13], v[12:13], off
	s_waitcnt vmcnt(0)
	v_mul_f64 v[6:7], v[12:13], v[6:7]
	global_store_dwordx2 v[10:11], v[6:7], off
	v_lshlrev_b64 v[10:11], 3, v[0:1]
	v_mul_f64 v[6:7], v[16:17], v[4:5]
	global_load_dwordx2 v[4:5], v[8:9], off
	v_add_co_u32 v12, vcc_lo, s10, v10
	v_add_co_ci_u32_e64 v13, null, s11, v11, vcc_lo
	v_add_co_u32 v10, vcc_lo, s12, v10
	v_add_co_ci_u32_e64 v11, null, s13, v11, vcc_lo
	global_load_dwordx2 v[12:13], v[12:13], off
	v_mul_f64 v[6:7], v[6:7], v[14:15]
	v_min_f64 v[6:7], v[6:7], s[0:1]
	s_waitcnt vmcnt(0)
	v_mul_f64 v[6:7], v[12:13], v[6:7]
	global_store_dwordx2 v[10:11], v[6:7], off
	v_mad_u64_u32 v[6:7], null, 0xffffff93, s2, v[0:1]
	v_mov_b32_e32 v7, v1
	v_lshlrev_b64 v[7:8], 3, v[6:7]
	v_add_co_u32 v7, vcc_lo, s14, v7
	v_add_co_ci_u32_e64 v8, null, s15, v8, vcc_lo
	global_load_dwordx2 v[7:8], v[7:8], off
	s_waitcnt vmcnt(0)
	v_mul_f64 v[4:5], v[4:5], v[7:8]
	v_div_scale_f64 v[7:8], null, v[4:5], v[4:5], 1.0
	v_rcp_f64_e32 v[9:10], v[7:8]
	v_fma_f64 v[11:12], -v[7:8], v[9:10], 1.0
	v_fma_f64 v[9:10], v[9:10], v[11:12], v[9:10]
	v_fma_f64 v[11:12], -v[7:8], v[9:10], 1.0
	v_fma_f64 v[9:10], v[9:10], v[11:12], v[9:10]
	v_div_scale_f64 v[11:12], vcc_lo, 1.0, v[4:5], 1.0
	v_mul_f64 v[13:14], v[11:12], v[9:10]
	v_fma_f64 v[7:8], -v[7:8], v[13:14], v[11:12]
	v_div_fmas_f64 v[7:8], v[7:8], v[9:10], v[13:14]
	v_div_fixup_f64 v[4:5], v[7:8], v[4:5], 1.0
	v_mul_f64 v[2:3], v[2:3], v[4:5]
	v_mad_u64_u32 v[4:5], null, 0x6e, s2, v[6:7]
	v_mov_b32_e32 v5, v1
	v_lshlrev_b64 v[0:1], 3, v[4:5]
	v_add_co_u32 v4, vcc_lo, s10, v0
	v_add_co_ci_u32_e64 v5, null, s11, v1, vcc_lo
	v_add_co_u32 v0, vcc_lo, s12, v0
	v_add_co_ci_u32_e64 v1, null, s13, v1, vcc_lo
	global_load_dwordx2 v[4:5], v[4:5], off
	v_min_f64 v[2:3], v[2:3], s[0:1]
	s_waitcnt vmcnt(0)
	v_mul_f64 v[2:3], v[4:5], v[2:3]
	global_store_dwordx2 v[0:1], v[2:3], off
	s_endpgm
	.section	.rodata,"a",@progbits
	.p2align	6, 0x0
	.amdhsa_kernel _Z12ratt6_kernelIdEvPKT_S2_PS0_S2_S0_
		.amdhsa_group_segment_fixed_size 0
		.amdhsa_private_segment_fixed_size 0
		.amdhsa_kernarg_size 296
		.amdhsa_user_sgpr_count 6
		.amdhsa_user_sgpr_private_segment_buffer 1
		.amdhsa_user_sgpr_dispatch_ptr 0
		.amdhsa_user_sgpr_queue_ptr 0
		.amdhsa_user_sgpr_kernarg_segment_ptr 1
		.amdhsa_user_sgpr_dispatch_id 0
		.amdhsa_user_sgpr_flat_scratch_init 0
		.amdhsa_user_sgpr_private_segment_size 0
		.amdhsa_wavefront_size32 1
		.amdhsa_uses_dynamic_stack 0
		.amdhsa_system_sgpr_private_segment_wavefront_offset 0
		.amdhsa_system_sgpr_workgroup_id_x 1
		.amdhsa_system_sgpr_workgroup_id_y 0
		.amdhsa_system_sgpr_workgroup_id_z 0
		.amdhsa_system_sgpr_workgroup_info 0
		.amdhsa_system_vgpr_workitem_id 0
		.amdhsa_next_free_vgpr 48
		.amdhsa_next_free_sgpr 16
		.amdhsa_reserve_vcc 1
		.amdhsa_reserve_flat_scratch 0
		.amdhsa_float_round_mode_32 0
		.amdhsa_float_round_mode_16_64 0
		.amdhsa_float_denorm_mode_32 3
		.amdhsa_float_denorm_mode_16_64 3
		.amdhsa_dx10_clamp 1
		.amdhsa_ieee_mode 1
		.amdhsa_fp16_overflow 0
		.amdhsa_workgroup_processor_mode 1
		.amdhsa_memory_ordered 1
		.amdhsa_forward_progress 1
		.amdhsa_shared_vgpr_count 0
		.amdhsa_exception_fp_ieee_invalid_op 0
		.amdhsa_exception_fp_denorm_src 0
		.amdhsa_exception_fp_ieee_div_zero 0
		.amdhsa_exception_fp_ieee_overflow 0
		.amdhsa_exception_fp_ieee_underflow 0
		.amdhsa_exception_fp_ieee_inexact 0
		.amdhsa_exception_int_div_zero 0
	.end_amdhsa_kernel
	.section	.text._Z12ratt6_kernelIdEvPKT_S2_PS0_S2_S0_,"axG",@progbits,_Z12ratt6_kernelIdEvPKT_S2_PS0_S2_S0_,comdat
.Lfunc_end34:
	.size	_Z12ratt6_kernelIdEvPKT_S2_PS0_S2_S0_, .Lfunc_end34-_Z12ratt6_kernelIdEvPKT_S2_PS0_S2_S0_
                                        ; -- End function
	.set _Z12ratt6_kernelIdEvPKT_S2_PS0_S2_S0_.num_vgpr, 48
	.set _Z12ratt6_kernelIdEvPKT_S2_PS0_S2_S0_.num_agpr, 0
	.set _Z12ratt6_kernelIdEvPKT_S2_PS0_S2_S0_.numbered_sgpr, 16
	.set _Z12ratt6_kernelIdEvPKT_S2_PS0_S2_S0_.num_named_barrier, 0
	.set _Z12ratt6_kernelIdEvPKT_S2_PS0_S2_S0_.private_seg_size, 0
	.set _Z12ratt6_kernelIdEvPKT_S2_PS0_S2_S0_.uses_vcc, 1
	.set _Z12ratt6_kernelIdEvPKT_S2_PS0_S2_S0_.uses_flat_scratch, 0
	.set _Z12ratt6_kernelIdEvPKT_S2_PS0_S2_S0_.has_dyn_sized_stack, 0
	.set _Z12ratt6_kernelIdEvPKT_S2_PS0_S2_S0_.has_recursion, 0
	.set _Z12ratt6_kernelIdEvPKT_S2_PS0_S2_S0_.has_indirect_call, 0
	.section	.AMDGPU.csdata,"",@progbits
; Kernel info:
; codeLenInByte = 5968
; TotalNumSgprs: 18
; NumVgprs: 48
; ScratchSize: 0
; MemoryBound: 0
; FloatMode: 240
; IeeeMode: 1
; LDSByteSize: 0 bytes/workgroup (compile time only)
; SGPRBlocks: 0
; VGPRBlocks: 5
; NumSGPRsForWavesPerEU: 18
; NumVGPRsForWavesPerEU: 48
; Occupancy: 16
; WaveLimiterHint : 0
; COMPUTE_PGM_RSRC2:SCRATCH_EN: 0
; COMPUTE_PGM_RSRC2:USER_SGPR: 6
; COMPUTE_PGM_RSRC2:TRAP_HANDLER: 0
; COMPUTE_PGM_RSRC2:TGID_X_EN: 1
; COMPUTE_PGM_RSRC2:TGID_Y_EN: 0
; COMPUTE_PGM_RSRC2:TGID_Z_EN: 0
; COMPUTE_PGM_RSRC2:TIDIG_COMP_CNT: 0
	.section	.text._Z12ratt7_kernelIdEvPKT_S2_PS0_S2_S0_,"axG",@progbits,_Z12ratt7_kernelIdEvPKT_S2_PS0_S2_S0_,comdat
	.protected	_Z12ratt7_kernelIdEvPKT_S2_PS0_S2_S0_ ; -- Begin function _Z12ratt7_kernelIdEvPKT_S2_PS0_S2_S0_
	.globl	_Z12ratt7_kernelIdEvPKT_S2_PS0_S2_S0_
	.p2align	8
	.type	_Z12ratt7_kernelIdEvPKT_S2_PS0_S2_S0_,@function
_Z12ratt7_kernelIdEvPKT_S2_PS0_S2_S0_:  ; @_Z12ratt7_kernelIdEvPKT_S2_PS0_S2_S0_
; %bb.0:
	s_clause 0x3
	s_load_dwordx8 s[8:15], s[4:5], 0x0
	s_load_dwordx2 s[0:1], s[4:5], 0x20
	s_load_dword s2, s[4:5], 0x28
	s_load_dword s3, s[4:5], 0x34
	s_waitcnt lgkmcnt(0)
	s_and_b32 s3, s3, 0xffff
	v_mad_u64_u32 v[0:1], null, s6, s3, v[0:1]
	v_mov_b32_e32 v1, 0
	s_mul_i32 s2, s2, s3
	s_lshl_b32 s3, s2, 1
	s_mul_i32 s5, s2, 0x72
	s_mul_i32 s4, s2, 0x73
	v_lshlrev_b64 v[4:5], 3, v[0:1]
	v_add_nc_u32_e32 v0, s2, v0
	s_mul_i32 s6, s2, 0xffffff8f
	v_add_co_u32 v2, vcc_lo, s8, v4
	v_add_co_ci_u32_e64 v3, null, s9, v5, vcc_lo
	global_load_dwordx2 v[2:3], v[2:3], off
	s_waitcnt vmcnt(0)
	v_mul_f64 v[2:3], s[0:1], v[2:3]
	s_brev_b32 s0, 12
	s_mov_b32 s1, 0x4193d2c6
	v_mul_f64 v[2:3], v[2:3], s[0:1]
	s_mov_b32 s0, 0x4357691b
	s_mov_b32 s1, 0x479e17b8
	v_div_scale_f64 v[6:7], null, v[2:3], v[2:3], 1.0
	v_rcp_f64_e32 v[8:9], v[6:7]
	v_fma_f64 v[10:11], -v[6:7], v[8:9], 1.0
	v_fma_f64 v[8:9], v[8:9], v[10:11], v[8:9]
	v_fma_f64 v[10:11], -v[6:7], v[8:9], 1.0
	v_fma_f64 v[8:9], v[8:9], v[10:11], v[8:9]
	v_div_scale_f64 v[10:11], vcc_lo, 1.0, v[2:3], 1.0
	v_mul_f64 v[12:13], v[10:11], v[8:9]
	v_fma_f64 v[6:7], -v[6:7], v[12:13], v[10:11]
	v_div_fmas_f64 v[6:7], v[6:7], v[8:9], v[12:13]
	v_mad_u64_u32 v[8:9], null, s2, 24, v[0:1]
	v_mov_b32_e32 v9, v1
	v_div_fixup_f64 v[2:3], v[6:7], v[2:3], 1.0
	v_mul_f64 v[6:7], 0x412eec04, v[2:3]
	v_lshlrev_b64 v[2:3], 3, v[0:1]
	v_add_nc_u32_e32 v0, s2, v8
	v_add_co_u32 v16, vcc_lo, s14, v2
	v_add_co_ci_u32_e64 v17, null, s15, v3, vcc_lo
	v_lshlrev_b64 v[2:3], 3, v[8:9]
	v_lshlrev_b64 v[8:9], 3, v[0:1]
	global_load_dwordx2 v[22:23], v[16:17], off
	v_add_co_u32 v2, vcc_lo, s14, v2
	v_add_co_ci_u32_e64 v3, null, s15, v3, vcc_lo
	v_add_co_u32 v8, vcc_lo, s14, v8
	v_add_co_ci_u32_e64 v9, null, s15, v9, vcc_lo
	s_clause 0x1
	global_load_dwordx2 v[26:27], v[2:3], off
	global_load_dwordx2 v[12:13], v[8:9], off
	s_waitcnt vmcnt(1)
	v_mul_f64 v[10:11], v[22:23], v[26:27]
	s_waitcnt vmcnt(0)
	v_div_scale_f64 v[18:19], null, v[12:13], v[12:13], 1.0
	v_mul_f64 v[14:15], v[10:11], v[6:7]
	v_rcp_f64_e32 v[20:21], v[18:19]
	v_fma_f64 v[24:25], -v[18:19], v[20:21], 1.0
	v_fma_f64 v[20:21], v[20:21], v[24:25], v[20:21]
	v_fma_f64 v[24:25], -v[18:19], v[20:21], 1.0
	v_fma_f64 v[20:21], v[20:21], v[24:25], v[20:21]
	v_div_scale_f64 v[24:25], vcc_lo, 1.0, v[12:13], 1.0
	v_mul_f64 v[28:29], v[24:25], v[20:21]
	v_fma_f64 v[18:19], -v[18:19], v[28:29], v[24:25]
	v_div_fmas_f64 v[18:19], v[18:19], v[20:21], v[28:29]
	v_div_fixup_f64 v[18:19], v[18:19], v[12:13], 1.0
	v_mul_f64 v[14:15], v[18:19], v[14:15]
	v_mad_u64_u32 v[18:19], null, 0x63, s2, v[0:1]
	v_mov_b32_e32 v19, v1
	v_lshlrev_b64 v[20:21], 3, v[18:19]
	v_add_co_u32 v24, vcc_lo, s10, v20
	v_add_co_ci_u32_e64 v25, null, s11, v21, vcc_lo
	v_add_co_u32 v20, vcc_lo, s12, v20
	v_add_co_ci_u32_e64 v21, null, s13, v21, vcc_lo
	global_load_dwordx2 v[24:25], v[24:25], off
	v_min_f64 v[14:15], v[14:15], s[0:1]
	v_add_co_u32 v4, vcc_lo, s14, v4
	v_add_co_ci_u32_e64 v5, null, s15, v5, vcc_lo
	s_waitcnt vmcnt(0)
	v_mul_f64 v[14:15], v[24:25], v[14:15]
	global_load_dwordx2 v[24:25], v[4:5], off
	global_store_dwordx2 v[20:21], v[14:15], off
	v_mad_u64_u32 v[14:15], null, 0xffffff9b, s2, v[18:19]
	v_mov_b32_e32 v15, v1
	v_lshlrev_b64 v[18:19], 3, v[14:15]
	v_mad_u64_u32 v[14:15], null, 0x66, s2, v[14:15]
	v_mov_b32_e32 v15, v1
	v_add_co_u32 v18, vcc_lo, s14, v18
	v_add_co_ci_u32_e64 v19, null, s15, v19, vcc_lo
	global_load_dwordx2 v[30:31], v[18:19], off
	s_waitcnt vmcnt(0)
	v_mul_f64 v[18:19], v[24:25], v[30:31]
	v_div_scale_f64 v[20:21], null, v[18:19], v[18:19], 1.0
	v_rcp_f64_e32 v[28:29], v[20:21]
	v_fma_f64 v[32:33], -v[20:21], v[28:29], 1.0
	v_fma_f64 v[28:29], v[28:29], v[32:33], v[28:29]
	v_fma_f64 v[32:33], -v[20:21], v[28:29], 1.0
	v_fma_f64 v[28:29], v[28:29], v[32:33], v[28:29]
	v_div_scale_f64 v[32:33], vcc_lo, 1.0, v[18:19], 1.0
	v_mul_f64 v[34:35], v[32:33], v[28:29]
	v_fma_f64 v[20:21], -v[20:21], v[34:35], v[32:33]
	v_div_fmas_f64 v[20:21], v[20:21], v[28:29], v[34:35]
	v_div_fixup_f64 v[18:19], v[20:21], v[18:19], 1.0
	v_lshlrev_b64 v[20:21], 3, v[14:15]
	v_mad_u64_u32 v[14:15], null, 0xffffff8d, s2, v[14:15]
	v_mov_b32_e32 v15, v1
	v_add_co_u32 v28, vcc_lo, s10, v20
	v_add_co_ci_u32_e64 v29, null, s11, v21, vcc_lo
	v_add_co_u32 v20, vcc_lo, s12, v20
	v_add_co_ci_u32_e64 v21, null, s13, v21, vcc_lo
	global_load_dwordx2 v[28:29], v[28:29], off
	v_add_nc_u32_e32 v0, s3, v14
	v_mul_f64 v[18:19], v[10:11], v[18:19]
	v_min_f64 v[18:19], v[18:19], s[0:1]
	s_waitcnt vmcnt(0)
	v_mul_f64 v[18:19], v[28:29], v[18:19]
	global_store_dwordx2 v[20:21], v[18:19], off
	v_lshlrev_b64 v[18:19], 3, v[14:15]
	v_lshlrev_b64 v[14:15], 3, v[0:1]
	v_add_nc_u32_e32 v0, s5, v0
	v_add_co_u32 v18, vcc_lo, s14, v18
	v_add_co_ci_u32_e64 v19, null, s15, v19, vcc_lo
	v_add_co_u32 v14, vcc_lo, s14, v14
	v_add_co_ci_u32_e64 v15, null, s15, v15, vcc_lo
	s_clause 0x2
	global_load_dwordx2 v[20:21], v[18:19], off
	global_load_dwordx2 v[28:29], v[14:15], off
	;; [unrolled: 1-line block ×3, first 2 shown]
	s_waitcnt vmcnt(1)
	v_mul_f64 v[20:21], v[20:21], v[28:29]
	v_div_scale_f64 v[28:29], null, v[20:21], v[20:21], 1.0
	v_rcp_f64_e32 v[32:33], v[28:29]
	v_fma_f64 v[34:35], -v[28:29], v[32:33], 1.0
	v_fma_f64 v[32:33], v[32:33], v[34:35], v[32:33]
	v_fma_f64 v[34:35], -v[28:29], v[32:33], 1.0
	v_fma_f64 v[32:33], v[32:33], v[34:35], v[32:33]
	v_div_scale_f64 v[34:35], vcc_lo, 1.0, v[20:21], 1.0
	v_mul_f64 v[36:37], v[34:35], v[32:33]
	v_fma_f64 v[28:29], -v[28:29], v[36:37], v[34:35]
	v_div_fmas_f64 v[28:29], v[28:29], v[32:33], v[36:37]
	v_div_fixup_f64 v[34:35], v[28:29], v[20:21], 1.0
	v_lshlrev_b64 v[28:29], 3, v[0:1]
	v_add_co_u32 v32, vcc_lo, s10, v28
	v_add_co_ci_u32_e64 v33, null, s11, v29, vcc_lo
	v_add_co_u32 v28, vcc_lo, s12, v28
	v_add_co_ci_u32_e64 v29, null, s13, v29, vcc_lo
	global_load_dwordx2 v[32:33], v[32:33], off
	v_mul_f64 v[20:21], v[10:11], v[34:35]
	v_min_f64 v[20:21], v[20:21], s[0:1]
	s_waitcnt vmcnt(0)
	v_mul_f64 v[20:21], v[32:33], v[20:21]
	global_store_dwordx2 v[28:29], v[20:21], off
	v_mad_u64_u32 v[20:21], null, 0xffffff83, s2, v[0:1]
	v_mov_b32_e32 v21, v1
	v_add_nc_u32_e32 v0, s3, v20
	v_lshlrev_b64 v[28:29], 3, v[20:21]
	s_mul_i32 s3, s2, 0xffffff89
	v_lshlrev_b64 v[20:21], 3, v[0:1]
	v_add_co_u32 v28, vcc_lo, s14, v28
	v_add_co_ci_u32_e64 v29, null, s15, v29, vcc_lo
	v_add_co_u32 v20, vcc_lo, s14, v20
	v_add_co_ci_u32_e64 v21, null, s15, v21, vcc_lo
	s_clause 0x1
	global_load_dwordx2 v[28:29], v[28:29], off
	global_load_dwordx2 v[20:21], v[20:21], off
	s_waitcnt vmcnt(1)
	v_mul_f64 v[32:33], v[26:27], v[28:29]
	s_waitcnt vmcnt(0)
	v_mul_f64 v[36:37], v[30:31], v[20:21]
	v_mul_f64 v[26:27], v[26:27], v[20:21]
	v_div_scale_f64 v[38:39], null, v[36:37], v[36:37], 1.0
	v_rcp_f64_e32 v[40:41], v[38:39]
	v_fma_f64 v[42:43], -v[38:39], v[40:41], 1.0
	v_fma_f64 v[40:41], v[40:41], v[42:43], v[40:41]
	v_fma_f64 v[42:43], -v[38:39], v[40:41], 1.0
	v_fma_f64 v[40:41], v[40:41], v[42:43], v[40:41]
	v_div_scale_f64 v[42:43], vcc_lo, 1.0, v[36:37], 1.0
	v_mul_f64 v[44:45], v[42:43], v[40:41]
	v_fma_f64 v[38:39], -v[38:39], v[44:45], v[42:43]
	v_div_fmas_f64 v[38:39], v[38:39], v[40:41], v[44:45]
	v_div_fixup_f64 v[36:37], v[38:39], v[36:37], 1.0
	v_mad_u64_u32 v[38:39], null, 0x7c, s2, v[0:1]
	v_mov_b32_e32 v39, v1
	v_lshlrev_b64 v[39:40], 3, v[38:39]
	v_add_nc_u32_e32 v0, s3, v38
	v_add_co_u32 v41, vcc_lo, s10, v39
	v_add_co_ci_u32_e64 v42, null, s11, v40, vcc_lo
	v_add_co_u32 v39, vcc_lo, s12, v39
	v_add_co_ci_u32_e64 v40, null, s13, v40, vcc_lo
	global_load_dwordx2 v[41:42], v[41:42], off
	v_mul_f64 v[36:37], v[32:33], v[36:37]
	v_min_f64 v[36:37], v[36:37], s[0:1]
	s_waitcnt vmcnt(0)
	v_mul_f64 v[36:37], v[41:42], v[36:37]
	global_store_dwordx2 v[39:40], v[36:37], off
	v_mad_u64_u32 v[38:39], null, s2, 5, v[0:1]
	v_mov_b32_e32 v39, v1
	v_lshlrev_b64 v[36:37], 3, v[0:1]
	v_lshlrev_b64 v[39:40], 3, v[38:39]
	v_add_co_u32 v36, vcc_lo, s14, v36
	v_add_co_ci_u32_e64 v37, null, s15, v37, vcc_lo
	v_add_nc_u32_e32 v0, s4, v38
	v_add_co_u32 v39, vcc_lo, s14, v39
	v_add_co_ci_u32_e64 v40, null, s15, v40, vcc_lo
	s_clause 0x1
	global_load_dwordx2 v[36:37], v[36:37], off
	global_load_dwordx2 v[39:40], v[39:40], off
	s_waitcnt vmcnt(0)
	v_mul_f64 v[36:37], v[36:37], v[39:40]
	v_div_scale_f64 v[39:40], null, v[36:37], v[36:37], 1.0
	v_rcp_f64_e32 v[41:42], v[39:40]
	v_fma_f64 v[43:44], -v[39:40], v[41:42], 1.0
	v_fma_f64 v[41:42], v[41:42], v[43:44], v[41:42]
	v_fma_f64 v[43:44], -v[39:40], v[41:42], 1.0
	v_fma_f64 v[41:42], v[41:42], v[43:44], v[41:42]
	v_div_scale_f64 v[43:44], vcc_lo, 1.0, v[36:37], 1.0
	v_mul_f64 v[45:46], v[43:44], v[41:42]
	v_fma_f64 v[39:40], -v[39:40], v[45:46], v[43:44]
	v_div_fmas_f64 v[39:40], v[39:40], v[41:42], v[45:46]
	v_div_fixup_f64 v[36:37], v[39:40], v[36:37], 1.0
	v_mul_f64 v[32:33], v[32:33], v[36:37]
	v_lshlrev_b64 v[36:37], 3, v[0:1]
	v_add_co_u32 v38, vcc_lo, s10, v36
	v_add_co_ci_u32_e64 v39, null, s11, v37, vcc_lo
	v_add_co_u32 v36, vcc_lo, s12, v36
	v_add_co_ci_u32_e64 v37, null, s13, v37, vcc_lo
	global_load_dwordx2 v[38:39], v[38:39], off
	v_min_f64 v[32:33], v[32:33], s[0:1]
	s_waitcnt vmcnt(0)
	v_mul_f64 v[32:33], v[38:39], v[32:33]
	global_store_dwordx2 v[36:37], v[32:33], off
	v_mad_u64_u32 v[32:33], null, 0xffffff84, s2, v[0:1]
	v_mov_b32_e32 v33, v1
	v_lshlrev_b64 v[36:37], 3, v[32:33]
	v_add_co_u32 v36, vcc_lo, s14, v36
	v_add_co_ci_u32_e64 v37, null, s15, v37, vcc_lo
	global_load_dwordx2 v[36:37], v[36:37], off
	s_waitcnt vmcnt(0)
	v_mul_f64 v[30:31], v[30:31], v[36:37]
	v_div_scale_f64 v[38:39], null, v[30:31], v[30:31], 1.0
	v_rcp_f64_e32 v[40:41], v[38:39]
	v_fma_f64 v[42:43], -v[38:39], v[40:41], 1.0
	v_fma_f64 v[40:41], v[40:41], v[42:43], v[40:41]
	v_fma_f64 v[42:43], -v[38:39], v[40:41], 1.0
	v_fma_f64 v[40:41], v[40:41], v[42:43], v[40:41]
	v_div_scale_f64 v[42:43], vcc_lo, 1.0, v[30:31], 1.0
	v_mul_f64 v[44:45], v[42:43], v[40:41]
	v_fma_f64 v[38:39], -v[38:39], v[44:45], v[42:43]
	v_div_fmas_f64 v[38:39], v[38:39], v[40:41], v[44:45]
	v_div_fixup_f64 v[30:31], v[38:39], v[30:31], 1.0
	v_mul_f64 v[26:27], v[26:27], v[30:31]
	v_mad_u64_u32 v[30:31], null, 0x7d, s2, v[32:33]
	v_mov_b32_e32 v31, v1
	v_lshlrev_b64 v[32:33], 3, v[30:31]
	v_add_co_u32 v38, vcc_lo, s10, v32
	v_add_co_ci_u32_e64 v39, null, s11, v33, vcc_lo
	v_add_co_u32 v32, vcc_lo, s12, v32
	v_add_co_ci_u32_e64 v33, null, s13, v33, vcc_lo
	global_load_dwordx2 v[38:39], v[38:39], off
	v_min_f64 v[26:27], v[26:27], s[0:1]
	s_waitcnt vmcnt(0)
	v_mul_f64 v[26:27], v[38:39], v[26:27]
	global_store_dwordx2 v[32:33], v[26:27], off
	v_mad_u64_u32 v[32:33], null, 0xffffff92, s2, v[30:31]
	v_mov_b32_e32 v33, v1
	v_add_nc_u32_e32 v0, s2, v32
	v_lshlrev_b64 v[26:27], 3, v[32:33]
	v_lshlrev_b64 v[32:33], 3, v[0:1]
	v_add_co_u32 v26, vcc_lo, s14, v26
	v_add_co_ci_u32_e64 v27, null, s15, v27, vcc_lo
	v_add_co_u32 v32, vcc_lo, s14, v32
	v_add_co_ci_u32_e64 v33, null, s15, v33, vcc_lo
	s_clause 0x1
	global_load_dwordx2 v[30:31], v[26:27], off
	global_load_dwordx2 v[40:41], v[32:33], off
	s_waitcnt vmcnt(1)
	v_mul_f64 v[38:39], v[22:23], v[30:31]
	s_waitcnt vmcnt(0)
	v_div_scale_f64 v[42:43], null, v[40:41], v[40:41], 1.0
	v_mul_f64 v[22:23], v[6:7], v[38:39]
	v_rcp_f64_e32 v[44:45], v[42:43]
	v_fma_f64 v[46:47], -v[42:43], v[44:45], 1.0
	v_fma_f64 v[44:45], v[44:45], v[46:47], v[44:45]
	v_fma_f64 v[46:47], -v[42:43], v[44:45], 1.0
	v_fma_f64 v[44:45], v[44:45], v[46:47], v[44:45]
	v_div_scale_f64 v[46:47], vcc_lo, 1.0, v[40:41], 1.0
	v_mul_f64 v[48:49], v[46:47], v[44:45]
	v_fma_f64 v[42:43], -v[42:43], v[48:49], v[46:47]
	v_div_fmas_f64 v[42:43], v[42:43], v[44:45], v[48:49]
	v_div_fixup_f64 v[40:41], v[42:43], v[40:41], 1.0
	v_mul_f64 v[22:23], v[22:23], v[40:41]
	v_mad_u64_u32 v[40:41], null, 0x6e, s2, v[0:1]
	v_mov_b32_e32 v41, v1
	v_lshlrev_b64 v[41:42], 3, v[40:41]
	v_add_nc_u32_e32 v0, s6, v40
	v_add_co_u32 v43, vcc_lo, s10, v41
	v_add_co_ci_u32_e64 v44, null, s11, v42, vcc_lo
	v_add_co_u32 v41, vcc_lo, s12, v41
	v_add_co_ci_u32_e64 v42, null, s13, v42, vcc_lo
	global_load_dwordx2 v[43:44], v[43:44], off
	v_min_f64 v[22:23], v[22:23], s[0:1]
	s_waitcnt vmcnt(0)
	v_mul_f64 v[22:23], v[43:44], v[22:23]
	global_store_dwordx2 v[41:42], v[22:23], off
	v_lshlrev_b64 v[22:23], 3, v[0:1]
	v_add_nc_u32_e32 v0, s5, v0
	v_add_co_u32 v22, vcc_lo, s14, v22
	v_add_co_ci_u32_e64 v23, null, s15, v23, vcc_lo
	global_load_dwordx2 v[40:41], v[22:23], off
	s_waitcnt vmcnt(0)
	v_mul_f64 v[42:43], v[24:25], v[40:41]
	v_div_scale_f64 v[44:45], null, v[42:43], v[42:43], 1.0
	v_rcp_f64_e32 v[46:47], v[44:45]
	v_fma_f64 v[48:49], -v[44:45], v[46:47], 1.0
	v_fma_f64 v[46:47], v[46:47], v[48:49], v[46:47]
	v_fma_f64 v[48:49], -v[44:45], v[46:47], 1.0
	v_fma_f64 v[46:47], v[46:47], v[48:49], v[46:47]
	v_div_scale_f64 v[48:49], vcc_lo, 1.0, v[42:43], 1.0
	v_mul_f64 v[50:51], v[48:49], v[46:47]
	v_fma_f64 v[44:45], -v[44:45], v[50:51], v[48:49]
	v_div_fmas_f64 v[44:45], v[44:45], v[46:47], v[50:51]
	v_div_fixup_f64 v[42:43], v[44:45], v[42:43], 1.0
	v_lshlrev_b64 v[44:45], 3, v[0:1]
	v_add_nc_u32_e32 v0, s6, v0
	s_mul_i32 s6, s2, 0x83
	v_add_co_u32 v46, vcc_lo, s10, v44
	v_add_co_ci_u32_e64 v47, null, s11, v45, vcc_lo
	v_add_co_u32 v44, vcc_lo, s12, v44
	v_add_co_ci_u32_e64 v45, null, s13, v45, vcc_lo
	global_load_dwordx2 v[46:47], v[46:47], off
	v_mul_f64 v[42:43], v[38:39], v[42:43]
	v_min_f64 v[42:43], v[42:43], s[0:1]
	s_waitcnt vmcnt(0)
	v_mul_f64 v[42:43], v[46:47], v[42:43]
	global_store_dwordx2 v[44:45], v[42:43], off
	v_lshlrev_b64 v[42:43], 3, v[0:1]
	v_add_nc_u32_e32 v0, s5, v0
	s_mul_i32 s5, s2, 0xffffff7b
	v_add_co_u32 v42, vcc_lo, s14, v42
	v_add_co_ci_u32_e64 v43, null, s15, v43, vcc_lo
	global_load_dwordx2 v[42:43], v[42:43], off
	s_waitcnt vmcnt(0)
	v_mul_f64 v[24:25], v[24:25], v[42:43]
	v_div_scale_f64 v[42:43], null, v[24:25], v[24:25], 1.0
	v_rcp_f64_e32 v[44:45], v[42:43]
	v_fma_f64 v[46:47], -v[42:43], v[44:45], 1.0
	v_fma_f64 v[44:45], v[44:45], v[46:47], v[44:45]
	v_fma_f64 v[46:47], -v[42:43], v[44:45], 1.0
	v_fma_f64 v[44:45], v[44:45], v[46:47], v[44:45]
	v_div_scale_f64 v[46:47], vcc_lo, 1.0, v[24:25], 1.0
	v_mul_f64 v[48:49], v[46:47], v[44:45]
	v_fma_f64 v[42:43], -v[42:43], v[48:49], v[46:47]
	v_div_fmas_f64 v[42:43], v[42:43], v[44:45], v[48:49]
	v_div_fixup_f64 v[24:25], v[42:43], v[24:25], 1.0
	v_mul_f64 v[24:25], v[38:39], v[24:25]
	v_lshlrev_b64 v[38:39], 3, v[0:1]
	v_add_nc_u32_e32 v0, s2, v0
	v_add_co_u32 v42, vcc_lo, s10, v38
	v_add_co_ci_u32_e64 v43, null, s11, v39, vcc_lo
	v_add_co_u32 v38, vcc_lo, s12, v38
	v_add_co_ci_u32_e64 v39, null, s13, v39, vcc_lo
	global_load_dwordx2 v[42:43], v[42:43], off
	v_min_f64 v[24:25], v[24:25], s[0:1]
	s_waitcnt vmcnt(0)
	v_mul_f64 v[24:25], v[42:43], v[24:25]
	global_store_dwordx2 v[38:39], v[24:25], off
	v_div_scale_f64 v[38:39], null, v[10:11], v[10:11], 1.0
	v_mul_f64 v[24:25], v[28:29], v[30:31]
	v_rcp_f64_e32 v[42:43], v[38:39]
	v_fma_f64 v[44:45], -v[38:39], v[42:43], 1.0
	v_fma_f64 v[42:43], v[42:43], v[44:45], v[42:43]
	v_fma_f64 v[44:45], -v[38:39], v[42:43], 1.0
	v_fma_f64 v[42:43], v[42:43], v[44:45], v[42:43]
	v_div_scale_f64 v[44:45], vcc_lo, 1.0, v[10:11], 1.0
	v_mul_f64 v[46:47], v[44:45], v[42:43]
	v_fma_f64 v[38:39], -v[38:39], v[46:47], v[44:45]
	v_div_fmas_f64 v[38:39], v[38:39], v[42:43], v[46:47]
	v_div_fixup_f64 v[10:11], v[38:39], v[10:11], 1.0
	v_lshlrev_b64 v[38:39], 3, v[0:1]
	v_add_nc_u32_e32 v0, s2, v0
	v_add_co_u32 v42, vcc_lo, s10, v38
	v_add_co_ci_u32_e64 v43, null, s11, v39, vcc_lo
	v_add_co_u32 v38, vcc_lo, s12, v38
	v_add_co_ci_u32_e64 v39, null, s13, v39, vcc_lo
	global_load_dwordx2 v[42:43], v[42:43], off
	v_mul_f64 v[10:11], v[10:11], v[24:25]
	v_min_f64 v[10:11], v[10:11], s[0:1]
	s_waitcnt vmcnt(0)
	v_mul_f64 v[10:11], v[10:11], v[42:43]
	global_store_dwordx2 v[38:39], v[10:11], off
	v_mul_f64 v[10:11], v[34:35], v[24:25]
	v_lshlrev_b64 v[24:25], 3, v[0:1]
	v_add_nc_u32_e32 v0, s2, v0
	v_add_co_u32 v34, vcc_lo, s10, v24
	v_add_co_ci_u32_e64 v35, null, s11, v25, vcc_lo
	v_add_co_u32 v24, vcc_lo, s12, v24
	v_add_co_ci_u32_e64 v25, null, s13, v25, vcc_lo
	global_load_dwordx2 v[34:35], v[34:35], off
	v_min_f64 v[10:11], v[10:11], s[0:1]
	s_waitcnt vmcnt(0)
	v_mul_f64 v[10:11], v[10:11], v[34:35]
	global_store_dwordx2 v[24:25], v[10:11], off
	v_mul_f64 v[24:25], v[36:37], v[40:41]
	v_mul_f64 v[10:11], v[20:21], v[30:31]
	v_div_scale_f64 v[34:35], null, v[24:25], v[24:25], 1.0
	v_rcp_f64_e32 v[36:37], v[34:35]
	v_fma_f64 v[38:39], -v[34:35], v[36:37], 1.0
	v_fma_f64 v[36:37], v[36:37], v[38:39], v[36:37]
	v_fma_f64 v[38:39], -v[34:35], v[36:37], 1.0
	v_fma_f64 v[36:37], v[36:37], v[38:39], v[36:37]
	v_div_scale_f64 v[38:39], vcc_lo, 1.0, v[24:25], 1.0
	v_mul_f64 v[42:43], v[38:39], v[36:37]
	v_fma_f64 v[34:35], -v[34:35], v[42:43], v[38:39]
	v_div_fmas_f64 v[34:35], v[34:35], v[36:37], v[42:43]
	v_div_fixup_f64 v[24:25], v[34:35], v[24:25], 1.0
	v_mul_f64 v[10:11], v[10:11], v[24:25]
	v_lshlrev_b64 v[24:25], 3, v[0:1]
	v_add_nc_u32_e32 v0, s5, v0
	v_add_co_u32 v34, vcc_lo, s10, v24
	v_add_co_ci_u32_e64 v35, null, s11, v25, vcc_lo
	v_add_co_u32 v24, vcc_lo, s12, v24
	v_add_co_ci_u32_e64 v25, null, s13, v25, vcc_lo
	global_load_dwordx2 v[34:35], v[34:35], off
	v_min_f64 v[10:11], v[10:11], s[0:1]
	s_waitcnt vmcnt(0)
	v_mul_f64 v[10:11], v[10:11], v[34:35]
	global_store_dwordx2 v[24:25], v[10:11], off
	v_lshlrev_b64 v[10:11], 3, v[0:1]
	v_add_co_u32 v10, vcc_lo, s14, v10
	v_add_co_ci_u32_e64 v11, null, s15, v11, vcc_lo
	global_load_dwordx2 v[10:11], v[10:11], off
	s_waitcnt vmcnt(0)
	v_mul_f64 v[24:25], v[30:31], v[10:11]
	v_mad_u64_u32 v[10:11], null, s2, 3, v[0:1]
	v_mov_b32_e32 v11, v1
	v_lshlrev_b64 v[34:35], 3, v[10:11]
	v_add_nc_u32_e32 v0, s6, v10
	v_add_co_u32 v34, vcc_lo, s14, v34
	v_add_co_ci_u32_e64 v35, null, s15, v35, vcc_lo
	v_lshlrev_b64 v[10:11], 3, v[0:1]
	v_add_nc_u32_e32 v0, s2, v0
	global_load_dwordx2 v[34:35], v[34:35], off
	s_waitcnt vmcnt(0)
	v_mul_f64 v[36:37], v[40:41], v[34:35]
	v_div_scale_f64 v[38:39], null, v[36:37], v[36:37], 1.0
	v_rcp_f64_e32 v[40:41], v[38:39]
	v_fma_f64 v[42:43], -v[38:39], v[40:41], 1.0
	v_fma_f64 v[40:41], v[40:41], v[42:43], v[40:41]
	v_fma_f64 v[42:43], -v[38:39], v[40:41], 1.0
	v_fma_f64 v[40:41], v[40:41], v[42:43], v[40:41]
	v_div_scale_f64 v[42:43], vcc_lo, 1.0, v[36:37], 1.0
	v_mul_f64 v[44:45], v[42:43], v[40:41]
	v_fma_f64 v[38:39], -v[38:39], v[44:45], v[42:43]
	v_div_fmas_f64 v[38:39], v[38:39], v[40:41], v[44:45]
	v_div_fixup_f64 v[36:37], v[38:39], v[36:37], 1.0
	v_add_co_u32 v38, vcc_lo, s10, v10
	v_add_co_ci_u32_e64 v39, null, s11, v11, vcc_lo
	v_add_co_u32 v10, vcc_lo, s12, v10
	v_add_co_ci_u32_e64 v11, null, s13, v11, vcc_lo
	global_load_dwordx2 v[38:39], v[38:39], off
	v_mul_f64 v[36:37], v[24:25], v[36:37]
	v_min_f64 v[36:37], v[36:37], s[0:1]
	s_waitcnt vmcnt(0)
	v_mul_f64 v[36:37], v[38:39], v[36:37]
	global_store_dwordx2 v[10:11], v[36:37], off
	v_mul_f64 v[10:11], v[12:13], v[28:29]
	v_mul_f64 v[12:13], v[12:13], v[20:21]
	v_div_scale_f64 v[28:29], null, v[10:11], v[10:11], 1.0
	v_div_scale_f64 v[20:21], null, v[12:13], v[12:13], 1.0
	v_rcp_f64_e32 v[36:37], v[28:29]
	v_fma_f64 v[38:39], -v[28:29], v[36:37], 1.0
	v_fma_f64 v[36:37], v[36:37], v[38:39], v[36:37]
	v_fma_f64 v[38:39], -v[28:29], v[36:37], 1.0
	v_fma_f64 v[36:37], v[36:37], v[38:39], v[36:37]
	v_div_scale_f64 v[38:39], vcc_lo, 1.0, v[10:11], 1.0
	v_mul_f64 v[40:41], v[38:39], v[36:37]
	v_fma_f64 v[28:29], -v[28:29], v[40:41], v[38:39]
	v_div_fmas_f64 v[28:29], v[28:29], v[36:37], v[40:41]
	v_div_fixup_f64 v[10:11], v[28:29], v[10:11], 1.0
	v_lshlrev_b64 v[28:29], 3, v[0:1]
	v_add_co_u32 v36, vcc_lo, s10, v28
	v_add_co_ci_u32_e64 v37, null, s11, v29, vcc_lo
	v_add_co_u32 v28, vcc_lo, s12, v28
	v_add_co_ci_u32_e64 v29, null, s13, v29, vcc_lo
	global_load_dwordx2 v[36:37], v[36:37], off
	v_mul_f64 v[10:11], v[10:11], v[24:25]
	v_min_f64 v[10:11], v[10:11], s[0:1]
	s_waitcnt vmcnt(0)
	v_mul_f64 v[10:11], v[10:11], v[36:37]
	global_store_dwordx2 v[28:29], v[10:11], off
	v_mad_u64_u32 v[28:29], null, 0xffffff85, s2, v[0:1]
	v_mov_b32_e32 v29, v1
	v_add_nc_u32_e32 v0, s2, v28
	v_lshlrev_b64 v[10:11], 3, v[28:29]
	v_lshlrev_b64 v[28:29], 3, v[0:1]
	v_add_co_u32 v10, vcc_lo, s14, v10
	v_add_co_ci_u32_e64 v11, null, s15, v11, vcc_lo
	v_add_co_u32 v28, vcc_lo, s14, v28
	v_add_co_ci_u32_e64 v29, null, s15, v29, vcc_lo
	s_clause 0x1
	global_load_dwordx2 v[36:37], v[10:11], off
	global_load_dwordx2 v[28:29], v[28:29], off
	s_waitcnt vmcnt(0)
	v_mul_f64 v[28:29], v[36:37], v[28:29]
	v_div_scale_f64 v[38:39], null, v[28:29], v[28:29], 1.0
	v_rcp_f64_e32 v[40:41], v[38:39]
	v_fma_f64 v[42:43], -v[38:39], v[40:41], 1.0
	v_fma_f64 v[40:41], v[40:41], v[42:43], v[40:41]
	v_fma_f64 v[42:43], -v[38:39], v[40:41], 1.0
	v_fma_f64 v[40:41], v[40:41], v[42:43], v[40:41]
	v_div_scale_f64 v[42:43], vcc_lo, 1.0, v[28:29], 1.0
	v_mul_f64 v[44:45], v[42:43], v[40:41]
	v_fma_f64 v[38:39], -v[38:39], v[44:45], v[42:43]
	v_div_fmas_f64 v[38:39], v[38:39], v[40:41], v[44:45]
	v_div_fixup_f64 v[28:29], v[38:39], v[28:29], 1.0
	v_mul_f64 v[24:25], v[24:25], v[28:29]
	v_mad_u64_u32 v[28:29], null, 0x7b, s2, v[0:1]
	v_mov_b32_e32 v29, v1
	v_lshlrev_b64 v[38:39], 3, v[28:29]
	v_add_nc_u32_e32 v0, s2, v28
	v_add_co_u32 v40, vcc_lo, s10, v38
	v_add_co_ci_u32_e64 v41, null, s11, v39, vcc_lo
	v_add_co_u32 v38, vcc_lo, s12, v38
	v_add_co_ci_u32_e64 v39, null, s13, v39, vcc_lo
	global_load_dwordx2 v[40:41], v[40:41], off
	v_min_f64 v[24:25], v[24:25], s[0:1]
	s_waitcnt vmcnt(0)
	v_mul_f64 v[24:25], v[40:41], v[24:25]
	global_store_dwordx2 v[38:39], v[24:25], off
	v_rcp_f64_e32 v[38:39], v[20:21]
	v_mul_f64 v[24:25], v[30:31], v[34:35]
	v_fma_f64 v[40:41], -v[20:21], v[38:39], 1.0
	v_fma_f64 v[38:39], v[38:39], v[40:41], v[38:39]
	v_fma_f64 v[40:41], -v[20:21], v[38:39], 1.0
	v_fma_f64 v[38:39], v[38:39], v[40:41], v[38:39]
	v_div_scale_f64 v[40:41], vcc_lo, 1.0, v[12:13], 1.0
	v_mul_f64 v[42:43], v[40:41], v[38:39]
	v_fma_f64 v[20:21], -v[20:21], v[42:43], v[40:41]
	v_div_fmas_f64 v[20:21], v[20:21], v[38:39], v[42:43]
	v_div_fixup_f64 v[12:13], v[20:21], v[12:13], 1.0
	v_lshlrev_b64 v[20:21], 3, v[0:1]
	v_add_nc_u32_e32 v0, s5, v0
	v_mul_f64 v[12:13], v[12:13], v[24:25]
	v_add_co_u32 v24, vcc_lo, s10, v20
	v_add_co_ci_u32_e64 v25, null, s11, v21, vcc_lo
	v_add_co_u32 v20, vcc_lo, s12, v20
	v_add_co_ci_u32_e64 v21, null, s13, v21, vcc_lo
	global_load_dwordx2 v[24:25], v[24:25], off
	v_min_f64 v[12:13], v[12:13], s[0:1]
	s_waitcnt vmcnt(0)
	v_mul_f64 v[12:13], v[12:13], v[24:25]
	global_store_dwordx2 v[20:21], v[12:13], off
	v_lshlrev_b64 v[12:13], 3, v[0:1]
	global_load_dwordx2 v[20:21], v[32:33], off
	v_add_co_u32 v12, vcc_lo, s14, v12
	v_add_co_ci_u32_e64 v13, null, s15, v13, vcc_lo
	global_load_dwordx2 v[12:13], v[12:13], off
	s_waitcnt vmcnt(1)
	v_mul_f64 v[24:25], v[34:35], v[20:21]
	v_mul_f64 v[20:21], v[14:15], v[20:21]
	s_waitcnt vmcnt(0)
	v_mul_f64 v[12:13], v[30:31], v[12:13]
	v_div_scale_f64 v[28:29], null, v[24:25], v[24:25], 1.0
	v_rcp_f64_e32 v[30:31], v[28:29]
	v_fma_f64 v[32:33], -v[28:29], v[30:31], 1.0
	v_fma_f64 v[30:31], v[30:31], v[32:33], v[30:31]
	v_fma_f64 v[32:33], -v[28:29], v[30:31], 1.0
	v_fma_f64 v[30:31], v[30:31], v[32:33], v[30:31]
	v_div_scale_f64 v[32:33], vcc_lo, 1.0, v[24:25], 1.0
	v_mul_f64 v[34:35], v[32:33], v[30:31]
	v_fma_f64 v[28:29], -v[28:29], v[34:35], v[32:33]
	v_div_fmas_f64 v[28:29], v[28:29], v[30:31], v[34:35]
	v_div_fixup_f64 v[24:25], v[28:29], v[24:25], 1.0
	v_mul_f64 v[12:13], v[12:13], v[24:25]
	v_mad_u64_u32 v[24:25], null, 0x86, s2, v[0:1]
	v_mov_b32_e32 v25, v1
	v_lshlrev_b64 v[28:29], 3, v[24:25]
	global_load_dwordx2 v[25:26], v[26:27], off
	v_add_nc_u32_e32 v0, s2, v24
	v_add_co_u32 v30, vcc_lo, s10, v28
	v_add_co_ci_u32_e64 v31, null, s11, v29, vcc_lo
	v_add_co_u32 v28, vcc_lo, s12, v28
	v_add_co_ci_u32_e64 v29, null, s13, v29, vcc_lo
	global_load_dwordx2 v[30:31], v[30:31], off
	v_min_f64 v[12:13], v[12:13], s[0:1]
	s_waitcnt vmcnt(0)
	v_mul_f64 v[12:13], v[30:31], v[12:13]
	global_store_dwordx2 v[28:29], v[12:13], off
	v_div_scale_f64 v[27:28], null, v[20:21], v[20:21], 1.0
	v_mul_f64 v[12:13], v[36:37], v[25:26]
	v_rcp_f64_e32 v[29:30], v[27:28]
	v_fma_f64 v[31:32], -v[27:28], v[29:30], 1.0
	v_fma_f64 v[29:30], v[29:30], v[31:32], v[29:30]
	v_fma_f64 v[31:32], -v[27:28], v[29:30], 1.0
	v_fma_f64 v[29:30], v[29:30], v[31:32], v[29:30]
	v_div_scale_f64 v[31:32], vcc_lo, 1.0, v[20:21], 1.0
	v_mul_f64 v[33:34], v[31:32], v[29:30]
	v_fma_f64 v[27:28], -v[27:28], v[33:34], v[31:32]
	v_div_fmas_f64 v[27:28], v[27:28], v[29:30], v[33:34]
	v_div_fixup_f64 v[20:21], v[27:28], v[20:21], 1.0
	v_mul_f64 v[12:13], v[12:13], v[20:21]
	v_lshlrev_b64 v[20:21], 3, v[0:1]
	v_add_co_u32 v27, vcc_lo, s10, v20
	v_add_co_ci_u32_e64 v28, null, s11, v21, vcc_lo
	v_add_co_u32 v20, vcc_lo, s12, v20
	v_add_co_ci_u32_e64 v21, null, s13, v21, vcc_lo
	global_load_dwordx2 v[27:28], v[27:28], off
	v_min_f64 v[12:13], v[12:13], s[0:1]
	s_waitcnt vmcnt(0)
	v_mul_f64 v[12:13], v[27:28], v[12:13]
	global_store_dwordx2 v[20:21], v[12:13], off
	global_load_dwordx2 v[12:13], v[18:19], off
	v_mad_u64_u32 v[20:21], null, 0xffffff7e, s2, v[0:1]
	v_mov_b32_e32 v21, v1
	v_add_nc_u32_e32 v0, s6, v20
	s_waitcnt vmcnt(0)
	v_mul_f64 v[18:19], v[12:13], v[25:26]
	v_lshlrev_b64 v[24:25], 3, v[20:21]
	v_mul_f64 v[14:15], v[12:13], v[14:15]
	v_add_co_u32 v24, vcc_lo, s14, v24
	v_add_co_ci_u32_e64 v25, null, s15, v25, vcc_lo
	s_clause 0x2
	global_load_dwordx2 v[24:25], v[24:25], off
	global_load_dwordx2 v[21:22], v[22:23], off
	;; [unrolled: 1-line block ×3, first 2 shown]
	v_mul_f64 v[14:15], v[6:7], v[14:15]
	s_waitcnt vmcnt(1)
	v_mul_f64 v[21:22], v[24:25], v[21:22]
	v_div_scale_f64 v[23:24], null, v[21:22], v[21:22], 1.0
	v_rcp_f64_e32 v[25:26], v[23:24]
	v_fma_f64 v[27:28], -v[23:24], v[25:26], 1.0
	v_fma_f64 v[25:26], v[25:26], v[27:28], v[25:26]
	v_fma_f64 v[27:28], -v[23:24], v[25:26], 1.0
	v_fma_f64 v[25:26], v[25:26], v[27:28], v[25:26]
	v_div_scale_f64 v[27:28], vcc_lo, 1.0, v[21:22], 1.0
	v_mul_f64 v[29:30], v[27:28], v[25:26]
	v_fma_f64 v[23:24], -v[23:24], v[29:30], v[27:28]
	v_div_fmas_f64 v[23:24], v[23:24], v[25:26], v[29:30]
	v_div_fixup_f64 v[21:22], v[23:24], v[21:22], 1.0
	v_lshlrev_b64 v[23:24], 3, v[0:1]
	v_add_co_u32 v25, vcc_lo, s10, v23
	v_add_co_ci_u32_e64 v26, null, s11, v24, vcc_lo
	global_load_dwordx2 v[25:26], v[25:26], off
	v_mul_f64 v[21:22], v[18:19], v[21:22]
	v_min_f64 v[20:21], v[21:22], s[0:1]
	v_add_co_u32 v22, vcc_lo, s12, v23
	v_add_co_ci_u32_e64 v23, null, s13, v24, vcc_lo
	s_waitcnt vmcnt(0)
	v_mul_f64 v[20:21], v[25:26], v[20:21]
	global_store_dwordx2 v[22:23], v[20:21], off
	v_mad_u64_u32 v[22:23], null, 0xffffff8e, s2, v[0:1]
	v_mov_b32_e32 v23, v1
	v_mul_f64 v[20:21], v[6:7], v[18:19]
	v_lshlrev_b64 v[23:24], 3, v[22:23]
	v_add_nc_u32_e32 v0, s4, v22
	v_add_co_u32 v23, vcc_lo, s14, v23
	v_add_co_ci_u32_e64 v24, null, s15, v24, vcc_lo
	global_load_dwordx2 v[23:24], v[23:24], off
	s_waitcnt vmcnt(0)
	v_div_scale_f64 v[25:26], null, v[23:24], v[23:24], 1.0
	v_rcp_f64_e32 v[27:28], v[25:26]
	v_fma_f64 v[29:30], -v[25:26], v[27:28], 1.0
	v_fma_f64 v[27:28], v[27:28], v[29:30], v[27:28]
	v_fma_f64 v[29:30], -v[25:26], v[27:28], 1.0
	v_fma_f64 v[27:28], v[27:28], v[29:30], v[27:28]
	v_div_scale_f64 v[29:30], vcc_lo, 1.0, v[23:24], 1.0
	v_mul_f64 v[31:32], v[29:30], v[27:28]
	v_fma_f64 v[25:26], -v[25:26], v[31:32], v[29:30]
	v_div_fmas_f64 v[25:26], v[25:26], v[27:28], v[31:32]
	v_div_fixup_f64 v[23:24], v[25:26], v[23:24], 1.0
	v_mul_f64 v[20:21], v[20:21], v[23:24]
	v_lshlrev_b64 v[22:23], 3, v[0:1]
	v_add_co_u32 v24, vcc_lo, s10, v22
	v_add_co_ci_u32_e64 v25, null, s11, v23, vcc_lo
	v_add_co_u32 v22, vcc_lo, s12, v22
	v_add_co_ci_u32_e64 v23, null, s13, v23, vcc_lo
	global_load_dwordx2 v[24:25], v[24:25], off
	v_min_f64 v[20:21], v[20:21], s[0:1]
	s_waitcnt vmcnt(0)
	v_mul_f64 v[20:21], v[24:25], v[20:21]
	global_store_dwordx2 v[22:23], v[20:21], off
	v_mad_u64_u32 v[20:21], null, 0xffffff8c, s2, v[0:1]
	v_mov_b32_e32 v21, v1
	v_lshlrev_b64 v[21:22], 3, v[20:21]
	v_add_co_u32 v21, vcc_lo, s14, v21
	v_add_co_ci_u32_e64 v22, null, s15, v22, vcc_lo
	s_clause 0x1
	global_load_dwordx2 v[21:22], v[21:22], off
	global_load_dwordx2 v[8:9], v[8:9], off
	s_waitcnt vmcnt(1)
	v_mul_f64 v[21:22], v[16:17], v[21:22]
	v_div_scale_f64 v[23:24], null, v[21:22], v[21:22], 1.0
	v_rcp_f64_e32 v[25:26], v[23:24]
	v_fma_f64 v[27:28], -v[23:24], v[25:26], 1.0
	v_fma_f64 v[25:26], v[25:26], v[27:28], v[25:26]
	v_fma_f64 v[27:28], -v[23:24], v[25:26], 1.0
	v_fma_f64 v[25:26], v[25:26], v[27:28], v[25:26]
	v_div_scale_f64 v[27:28], vcc_lo, 1.0, v[21:22], 1.0
	v_mul_f64 v[29:30], v[27:28], v[25:26]
	v_fma_f64 v[23:24], -v[23:24], v[29:30], v[27:28]
	v_div_fmas_f64 v[23:24], v[23:24], v[25:26], v[29:30]
	v_div_fixup_f64 v[21:22], v[23:24], v[21:22], 1.0
	v_mul_f64 v[21:22], v[18:19], v[21:22]
	v_mad_u64_u32 v[18:19], null, 0x75, s2, v[20:21]
	v_mov_b32_e32 v19, v1
	v_min_f64 v[21:22], v[21:22], s[0:1]
	v_lshlrev_b64 v[19:20], 3, v[18:19]
	v_add_nc_u32_e32 v0, s2, v18
	v_add_co_u32 v23, vcc_lo, s10, v19
	v_add_co_ci_u32_e64 v24, null, s11, v20, vcc_lo
	v_add_co_u32 v19, vcc_lo, s12, v19
	v_add_co_ci_u32_e64 v20, null, s13, v20, vcc_lo
	global_load_dwordx2 v[23:24], v[23:24], off
	s_waitcnt vmcnt(0)
	v_mul_f64 v[21:22], v[23:24], v[21:22]
	global_store_dwordx2 v[19:20], v[21:22], off
	v_div_scale_f64 v[19:20], null, v[14:15], v[14:15], 1.0
	v_rcp_f64_e32 v[21:22], v[19:20]
	v_fma_f64 v[23:24], -v[19:20], v[21:22], 1.0
	v_fma_f64 v[21:22], v[21:22], v[23:24], v[21:22]
	v_fma_f64 v[23:24], -v[19:20], v[21:22], 1.0
	v_fma_f64 v[21:22], v[21:22], v[23:24], v[21:22]
	v_div_scale_f64 v[23:24], vcc_lo, 1.0, v[14:15], 1.0
	v_mul_f64 v[25:26], v[23:24], v[21:22]
	v_fma_f64 v[19:20], -v[19:20], v[25:26], v[23:24]
	v_div_fmas_f64 v[19:20], v[19:20], v[21:22], v[25:26]
	v_div_fixup_f64 v[14:15], v[19:20], v[14:15], 1.0
	v_lshlrev_b64 v[18:19], 3, v[0:1]
	v_add_nc_u32_e32 v0, s3, v0
	v_add_co_u32 v20, vcc_lo, s10, v18
	v_add_co_ci_u32_e64 v21, null, s11, v19, vcc_lo
	v_add_co_u32 v18, vcc_lo, s12, v18
	v_add_co_ci_u32_e64 v19, null, s13, v19, vcc_lo
	global_load_dwordx2 v[20:21], v[20:21], off
	v_mul_f64 v[14:15], v[8:9], v[14:15]
	v_mul_f64 v[8:9], v[16:17], v[8:9]
	v_min_f64 v[14:15], v[14:15], s[0:1]
	v_mul_f64 v[6:7], v[6:7], v[8:9]
	s_waitcnt vmcnt(0)
	v_mul_f64 v[14:15], v[20:21], v[14:15]
	global_store_dwordx2 v[18:19], v[14:15], off
	v_lshlrev_b64 v[14:15], 3, v[0:1]
	v_add_co_u32 v14, vcc_lo, s14, v14
	v_add_co_ci_u32_e64 v15, null, s15, v15, vcc_lo
	global_load_dwordx2 v[14:15], v[14:15], off
	s_waitcnt vmcnt(0)
	v_div_scale_f64 v[16:17], null, v[14:15], v[14:15], 1.0
	v_rcp_f64_e32 v[18:19], v[16:17]
	v_fma_f64 v[20:21], -v[16:17], v[18:19], 1.0
	v_fma_f64 v[18:19], v[18:19], v[20:21], v[18:19]
	v_fma_f64 v[20:21], -v[16:17], v[18:19], 1.0
	v_fma_f64 v[18:19], v[18:19], v[20:21], v[18:19]
	v_div_scale_f64 v[20:21], vcc_lo, 1.0, v[14:15], 1.0
	v_mul_f64 v[22:23], v[20:21], v[18:19]
	v_fma_f64 v[16:17], -v[16:17], v[22:23], v[20:21]
	v_div_fmas_f64 v[16:17], v[16:17], v[18:19], v[22:23]
	v_div_fixup_f64 v[14:15], v[16:17], v[14:15], 1.0
	v_mul_f64 v[6:7], v[6:7], v[14:15]
	v_mad_u64_u32 v[14:15], null, 0x78, s2, v[0:1]
	v_mov_b32_e32 v15, v1
	v_lshlrev_b64 v[15:16], 3, v[14:15]
	v_add_nc_u32_e32 v0, s2, v14
	v_add_co_u32 v17, vcc_lo, s10, v15
	v_add_co_ci_u32_e64 v18, null, s11, v16, vcc_lo
	v_add_co_u32 v15, vcc_lo, s12, v15
	v_add_co_ci_u32_e64 v16, null, s13, v16, vcc_lo
	global_load_dwordx2 v[17:18], v[17:18], off
	v_min_f64 v[6:7], v[6:7], s[0:1]
	s_waitcnt vmcnt(0)
	v_mul_f64 v[6:7], v[17:18], v[6:7]
	global_store_dwordx2 v[15:16], v[6:7], off
	global_load_dwordx2 v[6:7], v[10:11], off
	s_waitcnt vmcnt(0)
	v_mul_f64 v[6:7], v[12:13], v[6:7]
	v_div_scale_f64 v[10:11], null, v[6:7], v[6:7], 1.0
	v_rcp_f64_e32 v[12:13], v[10:11]
	v_fma_f64 v[15:16], -v[10:11], v[12:13], 1.0
	v_fma_f64 v[12:13], v[12:13], v[15:16], v[12:13]
	v_fma_f64 v[15:16], -v[10:11], v[12:13], 1.0
	v_fma_f64 v[12:13], v[12:13], v[15:16], v[12:13]
	v_div_scale_f64 v[15:16], vcc_lo, 1.0, v[6:7], 1.0
	v_mul_f64 v[17:18], v[15:16], v[12:13]
	v_fma_f64 v[10:11], -v[10:11], v[17:18], v[15:16]
	v_div_fmas_f64 v[10:11], v[10:11], v[12:13], v[17:18]
	v_div_fixup_f64 v[6:7], v[10:11], v[6:7], 1.0
	v_lshlrev_b64 v[10:11], 3, v[0:1]
	v_add_nc_u32_e32 v0, s2, v0
	v_add_co_u32 v12, vcc_lo, s10, v10
	v_add_co_ci_u32_e64 v13, null, s11, v11, vcc_lo
	v_add_co_u32 v10, vcc_lo, s12, v10
	v_add_co_ci_u32_e64 v11, null, s13, v11, vcc_lo
	global_load_dwordx2 v[12:13], v[12:13], off
	v_lshlrev_b64 v[0:1], 3, v[0:1]
	v_mul_f64 v[6:7], v[8:9], v[6:7]
	v_min_f64 v[6:7], v[6:7], s[0:1]
	s_waitcnt vmcnt(0)
	v_mul_f64 v[6:7], v[12:13], v[6:7]
	global_store_dwordx2 v[10:11], v[6:7], off
	s_clause 0x1
	global_load_dwordx2 v[4:5], v[4:5], off
	global_load_dwordx2 v[2:3], v[2:3], off
	s_waitcnt vmcnt(0)
	v_mul_f64 v[2:3], v[4:5], v[2:3]
	v_div_scale_f64 v[4:5], null, v[2:3], v[2:3], 1.0
	v_rcp_f64_e32 v[6:7], v[4:5]
	v_fma_f64 v[10:11], -v[4:5], v[6:7], 1.0
	v_fma_f64 v[6:7], v[6:7], v[10:11], v[6:7]
	v_fma_f64 v[10:11], -v[4:5], v[6:7], 1.0
	v_fma_f64 v[6:7], v[6:7], v[10:11], v[6:7]
	v_div_scale_f64 v[10:11], vcc_lo, 1.0, v[2:3], 1.0
	v_mul_f64 v[12:13], v[10:11], v[6:7]
	v_fma_f64 v[4:5], -v[4:5], v[12:13], v[10:11]
	v_div_fmas_f64 v[4:5], v[4:5], v[6:7], v[12:13]
	v_div_fixup_f64 v[2:3], v[4:5], v[2:3], 1.0
	v_add_co_u32 v4, vcc_lo, s10, v0
	v_add_co_ci_u32_e64 v5, null, s11, v1, vcc_lo
	v_add_co_u32 v0, vcc_lo, s12, v0
	v_add_co_ci_u32_e64 v1, null, s13, v1, vcc_lo
	global_load_dwordx2 v[4:5], v[4:5], off
	v_mul_f64 v[2:3], v[8:9], v[2:3]
	v_min_f64 v[2:3], v[2:3], s[0:1]
	s_waitcnt vmcnt(0)
	v_mul_f64 v[2:3], v[4:5], v[2:3]
	global_store_dwordx2 v[0:1], v[2:3], off
	s_endpgm
	.section	.rodata,"a",@progbits
	.p2align	6, 0x0
	.amdhsa_kernel _Z12ratt7_kernelIdEvPKT_S2_PS0_S2_S0_
		.amdhsa_group_segment_fixed_size 0
		.amdhsa_private_segment_fixed_size 0
		.amdhsa_kernarg_size 296
		.amdhsa_user_sgpr_count 6
		.amdhsa_user_sgpr_private_segment_buffer 1
		.amdhsa_user_sgpr_dispatch_ptr 0
		.amdhsa_user_sgpr_queue_ptr 0
		.amdhsa_user_sgpr_kernarg_segment_ptr 1
		.amdhsa_user_sgpr_dispatch_id 0
		.amdhsa_user_sgpr_flat_scratch_init 0
		.amdhsa_user_sgpr_private_segment_size 0
		.amdhsa_wavefront_size32 1
		.amdhsa_uses_dynamic_stack 0
		.amdhsa_system_sgpr_private_segment_wavefront_offset 0
		.amdhsa_system_sgpr_workgroup_id_x 1
		.amdhsa_system_sgpr_workgroup_id_y 0
		.amdhsa_system_sgpr_workgroup_id_z 0
		.amdhsa_system_sgpr_workgroup_info 0
		.amdhsa_system_vgpr_workitem_id 0
		.amdhsa_next_free_vgpr 52
		.amdhsa_next_free_sgpr 16
		.amdhsa_reserve_vcc 1
		.amdhsa_reserve_flat_scratch 0
		.amdhsa_float_round_mode_32 0
		.amdhsa_float_round_mode_16_64 0
		.amdhsa_float_denorm_mode_32 3
		.amdhsa_float_denorm_mode_16_64 3
		.amdhsa_dx10_clamp 1
		.amdhsa_ieee_mode 1
		.amdhsa_fp16_overflow 0
		.amdhsa_workgroup_processor_mode 1
		.amdhsa_memory_ordered 1
		.amdhsa_forward_progress 1
		.amdhsa_shared_vgpr_count 0
		.amdhsa_exception_fp_ieee_invalid_op 0
		.amdhsa_exception_fp_denorm_src 0
		.amdhsa_exception_fp_ieee_div_zero 0
		.amdhsa_exception_fp_ieee_overflow 0
		.amdhsa_exception_fp_ieee_underflow 0
		.amdhsa_exception_fp_ieee_inexact 0
		.amdhsa_exception_int_div_zero 0
	.end_amdhsa_kernel
	.section	.text._Z12ratt7_kernelIdEvPKT_S2_PS0_S2_S0_,"axG",@progbits,_Z12ratt7_kernelIdEvPKT_S2_PS0_S2_S0_,comdat
.Lfunc_end35:
	.size	_Z12ratt7_kernelIdEvPKT_S2_PS0_S2_S0_, .Lfunc_end35-_Z12ratt7_kernelIdEvPKT_S2_PS0_S2_S0_
                                        ; -- End function
	.set _Z12ratt7_kernelIdEvPKT_S2_PS0_S2_S0_.num_vgpr, 52
	.set _Z12ratt7_kernelIdEvPKT_S2_PS0_S2_S0_.num_agpr, 0
	.set _Z12ratt7_kernelIdEvPKT_S2_PS0_S2_S0_.numbered_sgpr, 16
	.set _Z12ratt7_kernelIdEvPKT_S2_PS0_S2_S0_.num_named_barrier, 0
	.set _Z12ratt7_kernelIdEvPKT_S2_PS0_S2_S0_.private_seg_size, 0
	.set _Z12ratt7_kernelIdEvPKT_S2_PS0_S2_S0_.uses_vcc, 1
	.set _Z12ratt7_kernelIdEvPKT_S2_PS0_S2_S0_.uses_flat_scratch, 0
	.set _Z12ratt7_kernelIdEvPKT_S2_PS0_S2_S0_.has_dyn_sized_stack, 0
	.set _Z12ratt7_kernelIdEvPKT_S2_PS0_S2_S0_.has_recursion, 0
	.set _Z12ratt7_kernelIdEvPKT_S2_PS0_S2_S0_.has_indirect_call, 0
	.section	.AMDGPU.csdata,"",@progbits
; Kernel info:
; codeLenInByte = 6140
; TotalNumSgprs: 18
; NumVgprs: 52
; ScratchSize: 0
; MemoryBound: 0
; FloatMode: 240
; IeeeMode: 1
; LDSByteSize: 0 bytes/workgroup (compile time only)
; SGPRBlocks: 0
; VGPRBlocks: 6
; NumSGPRsForWavesPerEU: 18
; NumVGPRsForWavesPerEU: 52
; Occupancy: 16
; WaveLimiterHint : 0
; COMPUTE_PGM_RSRC2:SCRATCH_EN: 0
; COMPUTE_PGM_RSRC2:USER_SGPR: 6
; COMPUTE_PGM_RSRC2:TRAP_HANDLER: 0
; COMPUTE_PGM_RSRC2:TGID_X_EN: 1
; COMPUTE_PGM_RSRC2:TGID_Y_EN: 0
; COMPUTE_PGM_RSRC2:TGID_Z_EN: 0
; COMPUTE_PGM_RSRC2:TIDIG_COMP_CNT: 0
	.section	.text._Z12ratt8_kernelIdEvPKT_S2_PS0_S2_S0_,"axG",@progbits,_Z12ratt8_kernelIdEvPKT_S2_PS0_S2_S0_,comdat
	.protected	_Z12ratt8_kernelIdEvPKT_S2_PS0_S2_S0_ ; -- Begin function _Z12ratt8_kernelIdEvPKT_S2_PS0_S2_S0_
	.globl	_Z12ratt8_kernelIdEvPKT_S2_PS0_S2_S0_
	.p2align	8
	.type	_Z12ratt8_kernelIdEvPKT_S2_PS0_S2_S0_,@function
_Z12ratt8_kernelIdEvPKT_S2_PS0_S2_S0_:  ; @_Z12ratt8_kernelIdEvPKT_S2_PS0_S2_S0_
; %bb.0:
	s_clause 0x3
	s_load_dwordx8 s[8:15], s[4:5], 0x0
	s_load_dwordx2 s[0:1], s[4:5], 0x20
	s_load_dword s2, s[4:5], 0x28
	s_load_dword s3, s[4:5], 0x34
	s_waitcnt lgkmcnt(0)
	s_and_b32 s3, s3, 0xffff
	v_mad_u64_u32 v[0:1], null, s6, s3, v[0:1]
	v_mov_b32_e32 v1, 0
	s_mul_i32 s2, s2, s3
	s_lshl_b32 s4, s2, 1
	s_mul_i32 s6, s2, 21
	s_mul_i32 s3, s2, 0xffffff6f
	v_lshlrev_b64 v[8:9], 3, v[0:1]
	s_mul_i32 s5, s2, 0x92
	s_mul_i32 s7, s2, 3
	v_add_co_u32 v2, vcc_lo, s8, v8
	v_add_co_ci_u32_e64 v3, null, s9, v9, vcc_lo
	s_mul_i32 s8, s2, 0xffffff79
	global_load_dwordx2 v[2:3], v[2:3], off
	s_waitcnt vmcnt(0)
	v_mul_f64 v[2:3], s[0:1], v[2:3]
	s_brev_b32 s0, 12
	s_mov_b32 s1, 0x4193d2c6
	v_mul_f64 v[2:3], v[2:3], s[0:1]
	s_mov_b32 s0, 0x4357691b
	s_mov_b32 s1, 0x479e17b8
	v_div_scale_f64 v[4:5], null, v[2:3], v[2:3], 1.0
	v_rcp_f64_e32 v[6:7], v[4:5]
	v_fma_f64 v[10:11], -v[4:5], v[6:7], 1.0
	v_fma_f64 v[6:7], v[6:7], v[10:11], v[6:7]
	v_fma_f64 v[10:11], -v[4:5], v[6:7], 1.0
	v_fma_f64 v[6:7], v[6:7], v[10:11], v[6:7]
	v_div_scale_f64 v[10:11], vcc_lo, 1.0, v[2:3], 1.0
	v_mul_f64 v[12:13], v[10:11], v[6:7]
	v_fma_f64 v[4:5], -v[4:5], v[12:13], v[10:11]
	v_div_fmas_f64 v[4:5], v[4:5], v[6:7], v[12:13]
	v_div_fixup_f64 v[2:3], v[4:5], v[2:3], 1.0
	v_mul_f64 v[6:7], 0x412eec04, v[2:3]
	v_add_nc_u32_e32 v2, s4, v0
	v_mov_b32_e32 v3, v1
	v_add_nc_u32_e32 v0, s2, v0
	v_lshlrev_b64 v[4:5], 3, v[2:3]
	v_mad_u64_u32 v[2:3], null, s2, 24, v[2:3]
	v_mov_b32_e32 v3, v1
	v_add_co_u32 v10, vcc_lo, s14, v4
	v_add_co_ci_u32_e64 v11, null, s15, v5, vcc_lo
	v_lshlrev_b64 v[4:5], 3, v[2:3]
	v_mad_u64_u32 v[2:3], null, 0xffffffea, s2, v[2:3]
	v_mov_b32_e32 v3, v1
	global_load_dwordx2 v[20:21], v[10:11], off
	v_add_co_u32 v4, vcc_lo, s14, v4
	v_add_co_ci_u32_e64 v5, null, s15, v5, vcc_lo
	global_load_dwordx2 v[14:15], v[4:5], off
	v_lshlrev_b64 v[3:4], 3, v[2:3]
	v_add_nc_u32_e32 v2, s6, v2
	v_add_co_u32 v3, vcc_lo, s14, v3
	v_add_co_ci_u32_e64 v4, null, s15, v4, vcc_lo
	global_load_dwordx2 v[4:5], v[3:4], off
	v_mov_b32_e32 v3, v1
	v_lshlrev_b64 v[16:17], 3, v[2:3]
	v_mad_u64_u32 v[2:3], null, 0x7d, s2, v[2:3]
	v_mov_b32_e32 v3, v1
	v_add_co_u32 v16, vcc_lo, s14, v16
	v_add_co_ci_u32_e64 v17, null, s15, v17, vcc_lo
	global_load_dwordx2 v[16:17], v[16:17], off
	s_waitcnt vmcnt(2)
	v_mul_f64 v[12:13], v[20:21], v[14:15]
	s_waitcnt vmcnt(0)
	v_mul_f64 v[18:19], v[4:5], v[16:17]
	v_div_scale_f64 v[22:23], null, v[18:19], v[18:19], 1.0
	v_rcp_f64_e32 v[24:25], v[22:23]
	v_fma_f64 v[26:27], -v[22:23], v[24:25], 1.0
	v_fma_f64 v[24:25], v[24:25], v[26:27], v[24:25]
	v_fma_f64 v[26:27], -v[22:23], v[24:25], 1.0
	v_fma_f64 v[24:25], v[24:25], v[26:27], v[24:25]
	v_div_scale_f64 v[26:27], vcc_lo, 1.0, v[18:19], 1.0
	v_mul_f64 v[28:29], v[26:27], v[24:25]
	v_fma_f64 v[22:23], -v[22:23], v[28:29], v[26:27]
	v_div_fmas_f64 v[22:23], v[22:23], v[24:25], v[28:29]
	v_div_fixup_f64 v[18:19], v[22:23], v[18:19], 1.0
	v_mul_f64 v[12:13], v[12:13], v[18:19]
	v_lshlrev_b64 v[18:19], 3, v[2:3]
	v_add_nc_u32_e32 v2, s3, v2
	v_add_co_u32 v22, vcc_lo, s10, v18
	v_add_co_ci_u32_e64 v23, null, s11, v19, vcc_lo
	v_add_co_u32 v18, vcc_lo, s12, v18
	v_add_co_ci_u32_e64 v19, null, s13, v19, vcc_lo
	global_load_dwordx2 v[22:23], v[22:23], off
	v_min_f64 v[12:13], v[12:13], s[0:1]
	s_waitcnt vmcnt(0)
	v_mul_f64 v[12:13], v[22:23], v[12:13]
	global_store_dwordx2 v[18:19], v[12:13], off
	v_lshlrev_b64 v[18:19], 3, v[2:3]
	v_mul_f64 v[12:13], v[14:15], v[4:5]
	v_add_nc_u32_e32 v2, s5, v2
	v_add_co_u32 v18, vcc_lo, s14, v18
	v_add_co_ci_u32_e64 v19, null, s15, v19, vcc_lo
	global_load_dwordx2 v[22:23], v[18:19], off
	s_waitcnt vmcnt(0)
	v_mul_f64 v[18:19], v[16:17], v[22:23]
	v_div_scale_f64 v[24:25], null, v[18:19], v[18:19], 1.0
	v_rcp_f64_e32 v[26:27], v[24:25]
	v_fma_f64 v[28:29], -v[24:25], v[26:27], 1.0
	v_fma_f64 v[26:27], v[26:27], v[28:29], v[26:27]
	v_fma_f64 v[28:29], -v[24:25], v[26:27], 1.0
	v_fma_f64 v[26:27], v[26:27], v[28:29], v[26:27]
	v_div_scale_f64 v[28:29], vcc_lo, 1.0, v[18:19], 1.0
	v_mul_f64 v[30:31], v[28:29], v[26:27]
	v_fma_f64 v[24:25], -v[24:25], v[30:31], v[28:29]
	v_div_fmas_f64 v[24:25], v[24:25], v[26:27], v[30:31]
	v_div_fixup_f64 v[18:19], v[24:25], v[18:19], 1.0
	v_mul_f64 v[12:13], v[12:13], v[18:19]
	v_lshlrev_b64 v[18:19], 3, v[2:3]
	v_mad_u64_u32 v[2:3], null, 0xffffff6c, s2, v[2:3]
	v_mov_b32_e32 v3, v1
	v_add_co_u32 v24, vcc_lo, s10, v18
	v_add_co_ci_u32_e64 v25, null, s11, v19, vcc_lo
	v_add_co_u32 v18, vcc_lo, s12, v18
	v_add_co_ci_u32_e64 v19, null, s13, v19, vcc_lo
	global_load_dwordx2 v[24:25], v[24:25], off
	v_min_f64 v[12:13], v[12:13], s[0:1]
	s_waitcnt vmcnt(0)
	v_mul_f64 v[12:13], v[24:25], v[12:13]
	global_store_dwordx2 v[18:19], v[12:13], off
	v_lshlrev_b64 v[12:13], 3, v[2:3]
	v_add_co_u32 v12, vcc_lo, s14, v12
	v_add_co_ci_u32_e64 v13, null, s15, v13, vcc_lo
	global_load_dwordx2 v[24:25], v[12:13], off
	s_waitcnt vmcnt(0)
	v_mul_f64 v[18:19], v[14:15], v[24:25]
	v_add_nc_u32_e32 v14, s7, v2
	v_mov_b32_e32 v15, v1
	v_lshlrev_b64 v[2:3], 3, v[14:15]
	v_add_co_u32 v2, vcc_lo, s14, v2
	v_add_co_ci_u32_e64 v3, null, s15, v3, vcc_lo
	global_load_dwordx2 v[30:31], v[2:3], off
	s_waitcnt vmcnt(0)
	v_mul_f64 v[15:16], v[16:17], v[30:31]
	v_div_scale_f64 v[26:27], null, v[15:16], v[15:16], 1.0
	v_rcp_f64_e32 v[28:29], v[26:27]
	v_fma_f64 v[32:33], -v[26:27], v[28:29], 1.0
	v_fma_f64 v[28:29], v[28:29], v[32:33], v[28:29]
	v_fma_f64 v[32:33], -v[26:27], v[28:29], 1.0
	v_fma_f64 v[28:29], v[28:29], v[32:33], v[28:29]
	v_div_scale_f64 v[32:33], vcc_lo, 1.0, v[15:16], 1.0
	v_mul_f64 v[34:35], v[32:33], v[28:29]
	v_fma_f64 v[26:27], -v[26:27], v[34:35], v[32:33]
	v_div_fmas_f64 v[26:27], v[26:27], v[28:29], v[34:35]
	v_div_fixup_f64 v[15:16], v[26:27], v[15:16], 1.0
	v_add_nc_u32_e32 v26, s5, v14
	v_mov_b32_e32 v27, v1
	v_lshlrev_b64 v[28:29], 3, v[26:27]
	v_add_co_u32 v32, vcc_lo, s10, v28
	v_add_co_ci_u32_e64 v33, null, s11, v29, vcc_lo
	global_load_dwordx2 v[32:33], v[32:33], off
	v_mul_f64 v[15:16], v[18:19], v[15:16]
	v_min_f64 v[14:15], v[15:16], s[0:1]
	v_add_co_u32 v16, vcc_lo, s12, v28
	v_add_co_ci_u32_e64 v17, null, s13, v29, vcc_lo
	s_waitcnt vmcnt(0)
	v_mul_f64 v[14:15], v[32:33], v[14:15]
	global_store_dwordx2 v[16:17], v[14:15], off
	v_mad_u64_u32 v[14:15], null, 0xffffff75, s2, v[26:27]
	v_mov_b32_e32 v15, v1
	v_lshlrev_b64 v[15:16], 3, v[14:15]
	v_add_nc_u32_e32 v26, s7, v14
	s_mul_i32 s7, s2, 0x87
	v_add_co_u32 v15, vcc_lo, s14, v15
	v_add_co_ci_u32_e64 v16, null, s15, v16, vcc_lo
	global_load_dwordx2 v[36:37], v[15:16], off
	v_lshlrev_b64 v[14:15], 3, v[26:27]
	v_add_co_u32 v14, vcc_lo, s14, v14
	v_add_co_ci_u32_e64 v15, null, s15, v15, vcc_lo
	global_load_dwordx2 v[44:45], v[14:15], off
	s_waitcnt vmcnt(1)
	v_mul_f64 v[16:17], v[4:5], v[36:37]
	s_waitcnt vmcnt(0)
	v_mul_f64 v[16:17], v[16:17], v[44:45]
	v_mul_f64 v[16:17], v[6:7], v[16:17]
	v_div_scale_f64 v[28:29], null, v[16:17], v[16:17], 1.0
	v_rcp_f64_e32 v[32:33], v[28:29]
	v_fma_f64 v[34:35], -v[28:29], v[32:33], 1.0
	v_fma_f64 v[32:33], v[32:33], v[34:35], v[32:33]
	v_fma_f64 v[34:35], -v[28:29], v[32:33], 1.0
	v_fma_f64 v[32:33], v[32:33], v[34:35], v[32:33]
	v_div_scale_f64 v[34:35], vcc_lo, 1.0, v[16:17], 1.0
	v_mul_f64 v[38:39], v[34:35], v[32:33]
	v_fma_f64 v[28:29], -v[28:29], v[38:39], v[34:35]
	v_div_fmas_f64 v[28:29], v[28:29], v[32:33], v[38:39]
	v_div_fixup_f64 v[16:17], v[28:29], v[16:17], 1.0
	v_mul_f64 v[16:17], v[18:19], v[16:17]
	v_mad_u64_u32 v[18:19], null, 0x89, s2, v[26:27]
	v_mov_b32_e32 v19, v1
	v_lshlrev_b64 v[26:27], 3, v[18:19]
	v_add_co_u32 v28, vcc_lo, s10, v26
	v_add_co_ci_u32_e64 v29, null, s11, v27, vcc_lo
	v_add_co_u32 v26, vcc_lo, s12, v26
	v_add_co_ci_u32_e64 v27, null, s13, v27, vcc_lo
	global_load_dwordx2 v[28:29], v[28:29], off
	v_min_f64 v[16:17], v[16:17], s[0:1]
	s_waitcnt vmcnt(0)
	v_mul_f64 v[16:17], v[28:29], v[16:17]
	v_mad_u64_u32 v[28:29], null, 0xffffff7c, s2, v[18:19]
	v_mov_b32_e32 v29, v1
	global_store_dwordx2 v[26:27], v[16:17], off
	v_lshlrev_b64 v[16:17], 3, v[28:29]
	v_add_co_u32 v18, vcc_lo, s14, v16
	v_add_co_ci_u32_e64 v19, null, s15, v17, vcc_lo
	v_add_co_u32 v16, vcc_lo, s14, v8
	v_add_co_ci_u32_e64 v17, null, s15, v9, vcc_lo
	v_subrev_nc_u32_e32 v8, s4, v28
	v_mov_b32_e32 v9, v1
	global_load_dwordx2 v[26:27], v[18:19], off
	v_lshlrev_b64 v[28:29], 3, v[8:9]
	v_add_nc_u32_e32 v8, s7, v8
	v_add_co_u32 v28, vcc_lo, s14, v28
	v_add_co_ci_u32_e64 v29, null, s15, v29, vcc_lo
	v_lshlrev_b64 v[8:9], 3, v[8:9]
	s_clause 0x1
	global_load_dwordx2 v[28:29], v[28:29], off
	global_load_dwordx2 v[40:41], v[16:17], off
	s_waitcnt vmcnt(2)
	v_mul_f64 v[20:21], v[20:21], v[26:27]
	s_waitcnt vmcnt(0)
	v_mul_f64 v[32:33], v[40:41], v[28:29]
	v_mul_f64 v[32:33], v[6:7], v[32:33]
	v_div_scale_f64 v[34:35], null, v[32:33], v[32:33], 1.0
	v_rcp_f64_e32 v[38:39], v[34:35]
	v_fma_f64 v[42:43], -v[34:35], v[38:39], 1.0
	v_fma_f64 v[38:39], v[38:39], v[42:43], v[38:39]
	v_fma_f64 v[42:43], -v[34:35], v[38:39], 1.0
	v_fma_f64 v[38:39], v[38:39], v[42:43], v[38:39]
	v_div_scale_f64 v[42:43], vcc_lo, 1.0, v[32:33], 1.0
	v_mul_f64 v[46:47], v[42:43], v[38:39]
	v_fma_f64 v[34:35], -v[34:35], v[46:47], v[42:43]
	v_div_fmas_f64 v[34:35], v[34:35], v[38:39], v[46:47]
	v_div_fixup_f64 v[32:33], v[34:35], v[32:33], 1.0
	v_add_co_u32 v34, vcc_lo, s10, v8
	v_add_co_ci_u32_e64 v35, null, s11, v9, vcc_lo
	v_add_co_u32 v8, vcc_lo, s12, v8
	v_add_co_ci_u32_e64 v9, null, s13, v9, vcc_lo
	global_load_dwordx2 v[34:35], v[34:35], off
	v_mul_f64 v[32:33], v[26:27], v[32:33]
	v_min_f64 v[32:33], v[32:33], s[0:1]
	s_waitcnt vmcnt(0)
	v_mul_f64 v[32:33], v[34:35], v[32:33]
	global_store_dwordx2 v[8:9], v[32:33], off
	v_lshlrev_b64 v[8:9], 3, v[0:1]
	v_add_nc_u32_e32 v0, s6, v0
	s_mul_i32 s6, s2, 0x88
	v_add_co_u32 v32, vcc_lo, s14, v8
	v_add_co_ci_u32_e64 v33, null, s15, v9, vcc_lo
	v_lshlrev_b64 v[8:9], 3, v[0:1]
	global_load_dwordx2 v[38:39], v[32:33], off
	v_add_co_u32 v8, vcc_lo, s14, v8
	v_add_co_ci_u32_e64 v9, null, s15, v9, vcc_lo
	global_load_dwordx2 v[42:43], v[8:9], off
	s_waitcnt vmcnt(1)
	v_mul_f64 v[46:47], v[26:27], v[38:39]
	s_waitcnt vmcnt(0)
	v_div_scale_f64 v[48:49], null, v[42:43], v[42:43], 1.0
	v_mul_f64 v[34:35], v[6:7], v[46:47]
	v_rcp_f64_e32 v[50:51], v[48:49]
	v_fma_f64 v[52:53], -v[48:49], v[50:51], 1.0
	v_fma_f64 v[50:51], v[50:51], v[52:53], v[50:51]
	v_fma_f64 v[52:53], -v[48:49], v[50:51], 1.0
	v_fma_f64 v[50:51], v[50:51], v[52:53], v[50:51]
	v_div_scale_f64 v[52:53], vcc_lo, 1.0, v[42:43], 1.0
	v_mul_f64 v[54:55], v[52:53], v[50:51]
	v_fma_f64 v[48:49], -v[48:49], v[54:55], v[52:53]
	v_div_fmas_f64 v[48:49], v[48:49], v[50:51], v[54:55]
	v_div_fixup_f64 v[48:49], v[48:49], v[42:43], 1.0
	v_mul_f64 v[34:35], v[34:35], v[48:49]
	v_mad_u64_u32 v[48:49], null, 0x85, s2, v[0:1]
	v_mov_b32_e32 v49, v1
	v_lshlrev_b64 v[49:50], 3, v[48:49]
	v_add_nc_u32_e32 v0, s8, v48
	v_add_co_u32 v51, vcc_lo, s10, v49
	v_add_co_ci_u32_e64 v52, null, s11, v50, vcc_lo
	v_add_co_u32 v49, vcc_lo, s12, v49
	v_add_co_ci_u32_e64 v50, null, s13, v50, vcc_lo
	global_load_dwordx2 v[51:52], v[51:52], off
	v_min_f64 v[34:35], v[34:35], s[0:1]
	s_waitcnt vmcnt(0)
	v_mul_f64 v[34:35], v[51:52], v[34:35]
	global_store_dwordx2 v[49:50], v[34:35], off
	v_lshlrev_b64 v[34:35], 3, v[0:1]
	v_add_nc_u32_e32 v0, s6, v0
	v_add_co_u32 v34, vcc_lo, s14, v34
	v_add_co_ci_u32_e64 v35, null, s15, v35, vcc_lo
	global_load_dwordx2 v[48:49], v[34:35], off
	s_waitcnt vmcnt(0)
	v_mul_f64 v[40:41], v[40:41], v[48:49]
	v_mul_f64 v[22:23], v[22:23], v[48:49]
	v_div_scale_f64 v[50:51], null, v[40:41], v[40:41], 1.0
	v_rcp_f64_e32 v[52:53], v[50:51]
	v_fma_f64 v[54:55], -v[50:51], v[52:53], 1.0
	v_fma_f64 v[52:53], v[52:53], v[54:55], v[52:53]
	v_fma_f64 v[54:55], -v[50:51], v[52:53], 1.0
	v_fma_f64 v[52:53], v[52:53], v[54:55], v[52:53]
	v_div_scale_f64 v[54:55], vcc_lo, 1.0, v[40:41], 1.0
	v_mul_f64 v[56:57], v[54:55], v[52:53]
	v_fma_f64 v[50:51], -v[50:51], v[56:57], v[54:55]
	v_div_fmas_f64 v[50:51], v[50:51], v[52:53], v[56:57]
	v_div_fixup_f64 v[40:41], v[50:51], v[40:41], 1.0
	v_mul_f64 v[40:41], v[46:47], v[40:41]
	v_lshlrev_b64 v[46:47], 3, v[0:1]
	v_add_nc_u32_e32 v0, s2, v0
	v_add_co_u32 v50, vcc_lo, s10, v46
	v_add_co_ci_u32_e64 v51, null, s11, v47, vcc_lo
	v_add_co_u32 v46, vcc_lo, s12, v46
	v_add_co_ci_u32_e64 v47, null, s13, v47, vcc_lo
	global_load_dwordx2 v[50:51], v[50:51], off
	v_min_f64 v[40:41], v[40:41], s[0:1]
	s_waitcnt vmcnt(0)
	v_mul_f64 v[40:41], v[50:51], v[40:41]
	global_store_dwordx2 v[46:47], v[40:41], off
	v_mul_f64 v[40:41], v[4:5], v[48:49]
	v_div_scale_f64 v[46:47], null, v[40:41], v[40:41], 1.0
	v_rcp_f64_e32 v[50:51], v[46:47]
	v_fma_f64 v[52:53], -v[46:47], v[50:51], 1.0
	v_fma_f64 v[50:51], v[50:51], v[52:53], v[50:51]
	v_fma_f64 v[52:53], -v[46:47], v[50:51], 1.0
	v_fma_f64 v[50:51], v[50:51], v[52:53], v[50:51]
	v_div_scale_f64 v[52:53], vcc_lo, 1.0, v[40:41], 1.0
	v_mul_f64 v[54:55], v[52:53], v[50:51]
	v_fma_f64 v[46:47], -v[46:47], v[54:55], v[52:53]
	v_div_fmas_f64 v[46:47], v[46:47], v[50:51], v[54:55]
	v_div_fixup_f64 v[40:41], v[46:47], v[40:41], 1.0
	v_lshlrev_b64 v[46:47], 3, v[0:1]
	v_add_co_u32 v50, vcc_lo, s10, v46
	v_add_co_ci_u32_e64 v51, null, s11, v47, vcc_lo
	v_add_co_u32 v46, vcc_lo, s12, v46
	v_add_co_ci_u32_e64 v47, null, s13, v47, vcc_lo
	global_load_dwordx2 v[50:51], v[50:51], off
	v_mul_f64 v[40:41], v[20:21], v[40:41]
	v_min_f64 v[40:41], v[40:41], s[0:1]
	s_waitcnt vmcnt(0)
	v_mul_f64 v[40:41], v[50:51], v[40:41]
	global_store_dwordx2 v[46:47], v[40:41], off
	v_mad_u64_u32 v[46:47], null, 0xffffff6e, s2, v[0:1]
	v_mov_b32_e32 v47, v1
	v_lshl_add_u32 v0, s2, 2, v46
	v_lshlrev_b64 v[40:41], 3, v[46:47]
	v_lshlrev_b64 v[46:47], 3, v[0:1]
	v_add_co_u32 v40, vcc_lo, s14, v40
	v_add_co_ci_u32_e64 v41, null, s15, v41, vcc_lo
	v_add_co_u32 v46, vcc_lo, s14, v46
	v_add_co_ci_u32_e64 v47, null, s15, v47, vcc_lo
	s_clause 0x1
	global_load_dwordx2 v[50:51], v[40:41], off
	global_load_dwordx2 v[46:47], v[46:47], off
	s_waitcnt vmcnt(0)
	v_mul_f64 v[50:51], v[50:51], v[46:47]
	v_div_scale_f64 v[52:53], null, v[50:51], v[50:51], 1.0
	v_rcp_f64_e32 v[54:55], v[52:53]
	v_fma_f64 v[56:57], -v[52:53], v[54:55], 1.0
	v_fma_f64 v[54:55], v[54:55], v[56:57], v[54:55]
	v_fma_f64 v[56:57], -v[52:53], v[54:55], 1.0
	v_fma_f64 v[54:55], v[54:55], v[56:57], v[54:55]
	v_div_scale_f64 v[56:57], vcc_lo, 1.0, v[50:51], 1.0
	v_mul_f64 v[58:59], v[56:57], v[54:55]
	v_fma_f64 v[52:53], -v[52:53], v[58:59], v[56:57]
	v_div_fmas_f64 v[52:53], v[52:53], v[54:55], v[58:59]
	v_div_fixup_f64 v[50:51], v[52:53], v[50:51], 1.0
	v_mad_u64_u32 v[52:53], null, 0x8f, s2, v[0:1]
	v_mov_b32_e32 v53, v1
	v_lshlrev_b64 v[54:55], 3, v[52:53]
	v_add_co_u32 v56, vcc_lo, s10, v54
	v_add_co_ci_u32_e64 v57, null, s11, v55, vcc_lo
	v_add_co_u32 v54, vcc_lo, s12, v54
	v_add_co_ci_u32_e64 v55, null, s13, v55, vcc_lo
	global_load_dwordx2 v[56:57], v[56:57], off
	v_mul_f64 v[50:51], v[20:21], v[50:51]
	v_min_f64 v[50:51], v[50:51], s[0:1]
	s_waitcnt vmcnt(0)
	v_mul_f64 v[50:51], v[56:57], v[50:51]
	global_store_dwordx2 v[54:55], v[50:51], off
	v_mad_u64_u32 v[50:51], null, 0xffffff6b, s2, v[52:53]
	v_mov_b32_e32 v51, v1
	v_lshlrev_b64 v[51:52], 3, v[50:51]
	v_add_co_u32 v51, vcc_lo, s14, v51
	v_add_co_ci_u32_e64 v52, null, s15, v52, vcc_lo
	global_load_dwordx2 v[51:52], v[51:52], off
	s_waitcnt vmcnt(0)
	v_mul_f64 v[44:45], v[44:45], v[51:52]
	v_div_scale_f64 v[53:54], null, v[44:45], v[44:45], 1.0
	v_rcp_f64_e32 v[55:56], v[53:54]
	v_fma_f64 v[57:58], -v[53:54], v[55:56], 1.0
	v_fma_f64 v[55:56], v[55:56], v[57:58], v[55:56]
	v_fma_f64 v[57:58], -v[53:54], v[55:56], 1.0
	v_fma_f64 v[55:56], v[55:56], v[57:58], v[55:56]
	v_div_scale_f64 v[57:58], vcc_lo, 1.0, v[44:45], 1.0
	v_mul_f64 v[59:60], v[57:58], v[55:56]
	v_fma_f64 v[53:54], -v[53:54], v[59:60], v[57:58]
	v_div_fmas_f64 v[53:54], v[53:54], v[55:56], v[59:60]
	v_div_fixup_f64 v[44:45], v[53:54], v[44:45], 1.0
	v_mul_f64 v[20:21], v[20:21], v[44:45]
	v_mad_u64_u32 v[44:45], null, 0x96, s2, v[50:51]
	v_mov_b32_e32 v45, v1
	v_lshlrev_b64 v[53:54], 3, v[44:45]
	v_add_nc_u32_e32 v0, s2, v44
	v_add_co_u32 v55, vcc_lo, s10, v53
	v_add_co_ci_u32_e64 v56, null, s11, v54, vcc_lo
	v_add_co_u32 v53, vcc_lo, s12, v53
	v_add_co_ci_u32_e64 v54, null, s13, v54, vcc_lo
	global_load_dwordx2 v[55:56], v[55:56], off
	v_min_f64 v[20:21], v[20:21], s[0:1]
	s_waitcnt vmcnt(0)
	v_mul_f64 v[20:21], v[55:56], v[20:21]
	global_store_dwordx2 v[53:54], v[20:21], off
	v_div_scale_f64 v[53:54], null, v[22:23], v[22:23], 1.0
	v_mul_f64 v[20:21], v[4:5], v[26:27]
	v_rcp_f64_e32 v[55:56], v[53:54]
	v_fma_f64 v[57:58], -v[53:54], v[55:56], 1.0
	v_fma_f64 v[55:56], v[55:56], v[57:58], v[55:56]
	v_fma_f64 v[57:58], -v[53:54], v[55:56], 1.0
	v_fma_f64 v[55:56], v[55:56], v[57:58], v[55:56]
	v_div_scale_f64 v[57:58], vcc_lo, 1.0, v[22:23], 1.0
	v_mul_f64 v[59:60], v[57:58], v[55:56]
	v_fma_f64 v[53:54], -v[53:54], v[59:60], v[57:58]
	v_div_fmas_f64 v[53:54], v[53:54], v[55:56], v[59:60]
	v_div_fixup_f64 v[22:23], v[53:54], v[22:23], 1.0
	v_mul_f64 v[20:21], v[20:21], v[22:23]
	v_lshlrev_b64 v[22:23], 3, v[0:1]
	v_add_nc_u32_e32 v0, s2, v0
	v_add_co_u32 v44, vcc_lo, s10, v22
	v_add_co_ci_u32_e64 v45, null, s11, v23, vcc_lo
	v_add_co_u32 v22, vcc_lo, s12, v22
	v_add_co_ci_u32_e64 v23, null, s13, v23, vcc_lo
	global_load_dwordx2 v[44:45], v[44:45], off
	v_min_f64 v[20:21], v[20:21], s[0:1]
	s_waitcnt vmcnt(0)
	v_mul_f64 v[20:21], v[20:21], v[44:45]
	global_store_dwordx2 v[22:23], v[20:21], off
	v_mul_f64 v[22:23], v[30:31], v[48:49]
	v_mul_f64 v[20:21], v[24:25], v[26:27]
	v_div_scale_f64 v[24:25], null, v[22:23], v[22:23], 1.0
	v_rcp_f64_e32 v[44:45], v[24:25]
	v_fma_f64 v[48:49], -v[24:25], v[44:45], 1.0
	v_fma_f64 v[44:45], v[44:45], v[48:49], v[44:45]
	v_fma_f64 v[48:49], -v[24:25], v[44:45], 1.0
	v_fma_f64 v[44:45], v[44:45], v[48:49], v[44:45]
	v_div_scale_f64 v[48:49], vcc_lo, 1.0, v[22:23], 1.0
	v_mul_f64 v[53:54], v[48:49], v[44:45]
	v_fma_f64 v[24:25], -v[24:25], v[53:54], v[48:49]
	v_div_fmas_f64 v[24:25], v[24:25], v[44:45], v[53:54]
	v_div_fixup_f64 v[22:23], v[24:25], v[22:23], 1.0
	v_mul_f64 v[20:21], v[20:21], v[22:23]
	v_lshlrev_b64 v[22:23], 3, v[0:1]
	v_add_co_u32 v24, vcc_lo, s10, v22
	v_add_co_ci_u32_e64 v25, null, s11, v23, vcc_lo
	v_add_co_u32 v22, vcc_lo, s12, v22
	v_add_co_ci_u32_e64 v23, null, s13, v23, vcc_lo
	global_load_dwordx2 v[24:25], v[24:25], off
	v_min_f64 v[20:21], v[20:21], s[0:1]
	s_waitcnt vmcnt(0)
	v_mul_f64 v[20:21], v[20:21], v[24:25]
	v_mad_u64_u32 v[24:25], null, 0xffffff7a, s2, v[0:1]
	v_mov_b32_e32 v25, v1
	v_add_nc_u32_e32 v0, s7, v24
	global_store_dwordx2 v[22:23], v[20:21], off
	v_lshlrev_b64 v[20:21], 3, v[24:25]
	v_mul_f64 v[22:23], v[30:31], v[26:27]
	v_add_co_u32 v20, vcc_lo, s14, v20
	v_add_co_ci_u32_e64 v21, null, s15, v21, vcc_lo
	global_load_dwordx2 v[30:31], v[20:21], off
	s_waitcnt vmcnt(0)
	v_mul_f64 v[4:5], v[4:5], v[30:31]
	v_div_scale_f64 v[30:31], null, v[4:5], v[4:5], 1.0
	v_rcp_f64_e32 v[44:45], v[30:31]
	v_fma_f64 v[48:49], -v[30:31], v[44:45], 1.0
	v_fma_f64 v[44:45], v[44:45], v[48:49], v[44:45]
	v_fma_f64 v[48:49], -v[30:31], v[44:45], 1.0
	v_fma_f64 v[44:45], v[44:45], v[48:49], v[44:45]
	v_div_scale_f64 v[48:49], vcc_lo, 1.0, v[4:5], 1.0
	v_mul_f64 v[53:54], v[48:49], v[44:45]
	v_fma_f64 v[30:31], -v[30:31], v[53:54], v[48:49]
	v_div_fmas_f64 v[30:31], v[30:31], v[44:45], v[53:54]
	v_div_fixup_f64 v[4:5], v[30:31], v[4:5], 1.0
	v_mul_f64 v[4:5], v[22:23], v[4:5]
	v_lshlrev_b64 v[22:23], 3, v[0:1]
	v_add_nc_u32_e32 v0, s2, v0
	v_add_co_u32 v24, vcc_lo, s10, v22
	v_add_co_ci_u32_e64 v25, null, s11, v23, vcc_lo
	v_add_co_u32 v22, vcc_lo, s12, v22
	v_add_co_ci_u32_e64 v23, null, s13, v23, vcc_lo
	global_load_dwordx2 v[24:25], v[24:25], off
	v_min_f64 v[4:5], v[4:5], s[0:1]
	s_waitcnt vmcnt(0)
	v_mul_f64 v[4:5], v[24:25], v[4:5]
	global_store_dwordx2 v[22:23], v[4:5], off
	v_mul_f64 v[22:23], v[36:37], v[42:43]
	v_mul_f64 v[4:5], v[26:27], v[46:47]
	v_div_scale_f64 v[24:25], null, v[22:23], v[22:23], 1.0
	v_rcp_f64_e32 v[30:31], v[24:25]
	v_fma_f64 v[36:37], -v[24:25], v[30:31], 1.0
	v_fma_f64 v[30:31], v[30:31], v[36:37], v[30:31]
	v_fma_f64 v[36:37], -v[24:25], v[30:31], 1.0
	v_fma_f64 v[30:31], v[30:31], v[36:37], v[30:31]
	v_div_scale_f64 v[36:37], vcc_lo, 1.0, v[22:23], 1.0
	v_mul_f64 v[42:43], v[36:37], v[30:31]
	v_fma_f64 v[24:25], -v[24:25], v[42:43], v[36:37]
	v_div_fmas_f64 v[24:25], v[24:25], v[30:31], v[42:43]
	v_div_fixup_f64 v[22:23], v[24:25], v[22:23], 1.0
	v_mul_f64 v[4:5], v[22:23], v[4:5]
	v_lshlrev_b64 v[22:23], 3, v[0:1]
	v_add_nc_u32_e32 v0, s8, v0
	v_add_co_u32 v24, vcc_lo, s10, v22
	v_add_co_ci_u32_e64 v25, null, s11, v23, vcc_lo
	v_add_co_u32 v22, vcc_lo, s12, v22
	v_add_co_ci_u32_e64 v23, null, s13, v23, vcc_lo
	global_load_dwordx2 v[24:25], v[24:25], off
	v_min_f64 v[4:5], v[4:5], s[0:1]
	s_waitcnt vmcnt(0)
	v_mul_f64 v[4:5], v[4:5], v[24:25]
	global_store_dwordx2 v[22:23], v[4:5], off
	v_lshlrev_b64 v[22:23], 3, v[0:1]
	v_mul_f64 v[4:5], v[26:27], v[51:52]
	v_add_nc_u32_e32 v0, s6, v0
	v_add_co_u32 v22, vcc_lo, s14, v22
	v_add_co_ci_u32_e64 v23, null, s15, v23, vcc_lo
	global_load_dwordx2 v[24:25], v[22:23], off
	s_waitcnt vmcnt(0)
	v_mul_f64 v[22:23], v[38:39], v[24:25]
	v_div_scale_f64 v[30:31], null, v[22:23], v[22:23], 1.0
	v_rcp_f64_e32 v[36:37], v[30:31]
	v_fma_f64 v[38:39], -v[30:31], v[36:37], 1.0
	v_fma_f64 v[36:37], v[36:37], v[38:39], v[36:37]
	v_fma_f64 v[38:39], -v[30:31], v[36:37], 1.0
	v_fma_f64 v[36:37], v[36:37], v[38:39], v[36:37]
	v_div_scale_f64 v[38:39], vcc_lo, 1.0, v[22:23], 1.0
	v_mul_f64 v[42:43], v[38:39], v[36:37]
	v_fma_f64 v[30:31], -v[30:31], v[42:43], v[38:39]
	v_div_fmas_f64 v[30:31], v[30:31], v[36:37], v[42:43]
	v_div_fixup_f64 v[22:23], v[30:31], v[22:23], 1.0
	v_mul_f64 v[4:5], v[4:5], v[22:23]
	v_lshlrev_b64 v[22:23], 3, v[0:1]
	v_add_co_u32 v30, vcc_lo, s10, v22
	v_add_co_ci_u32_e64 v31, null, s11, v23, vcc_lo
	v_add_co_u32 v22, vcc_lo, s12, v22
	v_add_co_ci_u32_e64 v23, null, s13, v23, vcc_lo
	global_load_dwordx2 v[30:31], v[30:31], off
	v_min_f64 v[4:5], v[4:5], s[0:1]
	s_waitcnt vmcnt(0)
	v_mul_f64 v[4:5], v[30:31], v[4:5]
	global_store_dwordx2 v[22:23], v[4:5], off
	v_mad_u64_u32 v[4:5], null, 0xffffff66, s2, v[0:1]
	v_mov_b32_e32 v5, v1
	v_add_nc_u32_e32 v0, s4, v4
	v_lshlrev_b64 v[22:23], 3, v[4:5]
	v_lshlrev_b64 v[4:5], 3, v[0:1]
	v_add_co_u32 v22, vcc_lo, s14, v22
	v_add_co_ci_u32_e64 v23, null, s15, v23, vcc_lo
	v_add_co_u32 v4, vcc_lo, s14, v4
	v_add_co_ci_u32_e64 v5, null, s15, v5, vcc_lo
	s_clause 0x1
	global_load_dwordx2 v[22:23], v[22:23], off
	global_load_dwordx2 v[30:31], v[4:5], off
	s_waitcnt vmcnt(1)
	v_mul_f64 v[26:27], v[26:27], v[22:23]
	s_waitcnt vmcnt(0)
	v_mul_f64 v[4:5], v[28:29], v[30:31]
	v_div_scale_f64 v[22:23], null, v[4:5], v[4:5], 1.0
	v_rcp_f64_e32 v[28:29], v[22:23]
	v_fma_f64 v[36:37], -v[22:23], v[28:29], 1.0
	v_fma_f64 v[28:29], v[28:29], v[36:37], v[28:29]
	v_fma_f64 v[36:37], -v[22:23], v[28:29], 1.0
	v_fma_f64 v[28:29], v[28:29], v[36:37], v[28:29]
	v_div_scale_f64 v[36:37], vcc_lo, 1.0, v[4:5], 1.0
	v_mul_f64 v[38:39], v[36:37], v[28:29]
	v_fma_f64 v[22:23], -v[22:23], v[38:39], v[36:37]
	v_div_fmas_f64 v[22:23], v[22:23], v[28:29], v[38:39]
	v_mad_u64_u32 v[28:29], null, 0x99, s2, v[0:1]
	v_mov_b32_e32 v29, v1
	v_add_nc_u32_e32 v0, s2, v28
	v_div_fixup_f64 v[4:5], v[22:23], v[4:5], 1.0
	v_lshlrev_b64 v[22:23], 3, v[28:29]
	v_add_co_u32 v36, vcc_lo, s10, v22
	v_add_co_ci_u32_e64 v37, null, s11, v23, vcc_lo
	v_add_co_u32 v22, vcc_lo, s12, v22
	v_add_co_ci_u32_e64 v23, null, s13, v23, vcc_lo
	global_load_dwordx2 v[36:37], v[36:37], off
	v_mul_f64 v[4:5], v[26:27], v[4:5]
	v_min_f64 v[4:5], v[4:5], s[0:1]
	s_waitcnt vmcnt(0)
	v_mul_f64 v[4:5], v[36:37], v[4:5]
	global_store_dwordx2 v[22:23], v[4:5], off
	global_load_dwordx2 v[22:23], v[32:33], off
	s_waitcnt vmcnt(0)
	v_mul_f64 v[4:5], v[22:23], v[24:25]
	v_div_scale_f64 v[24:25], null, v[4:5], v[4:5], 1.0
	v_rcp_f64_e32 v[32:33], v[24:25]
	v_fma_f64 v[36:37], -v[24:25], v[32:33], 1.0
	v_fma_f64 v[32:33], v[32:33], v[36:37], v[32:33]
	v_fma_f64 v[36:37], -v[24:25], v[32:33], 1.0
	v_fma_f64 v[32:33], v[32:33], v[36:37], v[32:33]
	v_div_scale_f64 v[36:37], vcc_lo, 1.0, v[4:5], 1.0
	v_mul_f64 v[38:39], v[36:37], v[32:33]
	v_fma_f64 v[24:25], -v[24:25], v[38:39], v[36:37]
	v_div_fmas_f64 v[24:25], v[24:25], v[32:33], v[38:39]
	v_div_fixup_f64 v[4:5], v[24:25], v[4:5], 1.0
	v_lshlrev_b64 v[24:25], 3, v[0:1]
	v_add_nc_u32_e32 v0, s2, v0
	v_mul_f64 v[4:5], v[26:27], v[4:5]
	v_add_co_u32 v26, vcc_lo, s10, v24
	v_add_co_ci_u32_e64 v27, null, s11, v25, vcc_lo
	v_add_co_u32 v24, vcc_lo, s12, v24
	v_add_co_ci_u32_e64 v25, null, s13, v25, vcc_lo
	global_load_dwordx2 v[26:27], v[26:27], off
	v_min_f64 v[4:5], v[4:5], s[0:1]
	s_waitcnt vmcnt(0)
	v_mul_f64 v[4:5], v[26:27], v[4:5]
	global_store_dwordx2 v[24:25], v[4:5], off
	s_clause 0x7
	global_load_dwordx2 v[24:25], v[40:41], off
	global_load_dwordx2 v[4:5], v[18:19], off
	;; [unrolled: 1-line block ×8, first 2 shown]
	s_waitcnt vmcnt(6)
	v_mul_f64 v[18:19], v[24:25], v[4:5]
	s_waitcnt vmcnt(5)
	v_mul_f64 v[26:27], v[30:31], v[26:27]
	;; [unrolled: 2-line block ×6, first 2 shown]
	v_mul_f64 v[2:3], v[2:3], v[8:9]
	v_div_scale_f64 v[28:29], null, v[26:27], v[26:27], 1.0
	v_rcp_f64_e32 v[30:31], v[28:29]
	v_fma_f64 v[32:33], -v[28:29], v[30:31], 1.0
	v_fma_f64 v[30:31], v[30:31], v[32:33], v[30:31]
	v_fma_f64 v[32:33], -v[28:29], v[30:31], 1.0
	v_fma_f64 v[30:31], v[30:31], v[32:33], v[30:31]
	v_div_scale_f64 v[32:33], vcc_lo, 1.0, v[26:27], 1.0
	v_mul_f64 v[34:35], v[32:33], v[30:31]
	v_fma_f64 v[28:29], -v[28:29], v[34:35], v[32:33]
	v_div_fmas_f64 v[28:29], v[28:29], v[30:31], v[34:35]
	v_div_fixup_f64 v[26:27], v[28:29], v[26:27], 1.0
	v_lshlrev_b64 v[28:29], 3, v[0:1]
	v_add_co_u32 v30, vcc_lo, s10, v28
	v_add_co_ci_u32_e64 v31, null, s11, v29, vcc_lo
	v_add_co_u32 v28, vcc_lo, s12, v28
	v_add_co_ci_u32_e64 v29, null, s13, v29, vcc_lo
	global_load_dwordx2 v[30:31], v[30:31], off
	v_mul_f64 v[26:27], v[18:19], v[26:27]
	v_mul_f64 v[18:19], v[6:7], v[18:19]
	v_min_f64 v[26:27], v[26:27], s[0:1]
	s_waitcnt vmcnt(0)
	v_mul_f64 v[26:27], v[30:31], v[26:27]
	global_store_dwordx2 v[28:29], v[26:27], off
	v_mad_u64_u32 v[26:27], null, 0xffffff77, s2, v[0:1]
	v_mov_b32_e32 v27, v1
	v_lshlrev_b64 v[27:28], 3, v[26:27]
	v_add_co_u32 v27, vcc_lo, s14, v27
	v_add_co_ci_u32_e64 v28, null, s15, v28, vcc_lo
	global_load_dwordx2 v[27:28], v[27:28], off
	s_waitcnt vmcnt(0)
	v_div_scale_f64 v[29:30], null, v[27:28], v[27:28], 1.0
	v_rcp_f64_e32 v[31:32], v[29:30]
	v_fma_f64 v[33:34], -v[29:30], v[31:32], 1.0
	v_fma_f64 v[31:32], v[31:32], v[33:34], v[31:32]
	v_fma_f64 v[33:34], -v[29:30], v[31:32], 1.0
	v_fma_f64 v[31:32], v[31:32], v[33:34], v[31:32]
	v_div_scale_f64 v[33:34], vcc_lo, 1.0, v[27:28], 1.0
	v_mul_f64 v[35:36], v[33:34], v[31:32]
	v_fma_f64 v[29:30], -v[29:30], v[35:36], v[33:34]
	v_div_fmas_f64 v[29:30], v[29:30], v[31:32], v[35:36]
	v_div_fixup_f64 v[27:28], v[29:30], v[27:28], 1.0
	v_mul_f64 v[18:19], v[18:19], v[27:28]
	v_mad_u64_u32 v[26:27], null, 0x8a, s2, v[26:27]
	v_mov_b32_e32 v27, v1
	v_lshlrev_b64 v[27:28], 3, v[26:27]
	v_add_nc_u32_e32 v0, s3, v26
	v_add_co_u32 v29, vcc_lo, s10, v27
	v_add_co_ci_u32_e64 v30, null, s11, v28, vcc_lo
	v_add_co_u32 v27, vcc_lo, s12, v27
	v_add_co_ci_u32_e64 v28, null, s13, v28, vcc_lo
	global_load_dwordx2 v[29:30], v[29:30], off
	v_min_f64 v[18:19], v[18:19], s[0:1]
	s_waitcnt vmcnt(0)
	v_mul_f64 v[18:19], v[29:30], v[18:19]
	global_store_dwordx2 v[27:28], v[18:19], off
	v_mul_f64 v[18:19], v[22:23], v[8:9]
	v_mul_f64 v[27:28], v[6:7], v[18:19]
	v_lshlrev_b64 v[6:7], 3, v[0:1]
	v_add_nc_u32_e32 v0, s5, v0
	v_add_co_u32 v6, vcc_lo, s14, v6
	v_add_co_ci_u32_e64 v7, null, s15, v7, vcc_lo
	global_load_dwordx2 v[6:7], v[6:7], off
	s_waitcnt vmcnt(0)
	v_div_scale_f64 v[29:30], null, v[6:7], v[6:7], 1.0
	v_rcp_f64_e32 v[31:32], v[29:30]
	v_fma_f64 v[33:34], -v[29:30], v[31:32], 1.0
	v_fma_f64 v[31:32], v[31:32], v[33:34], v[31:32]
	v_fma_f64 v[33:34], -v[29:30], v[31:32], 1.0
	v_fma_f64 v[31:32], v[31:32], v[33:34], v[31:32]
	v_div_scale_f64 v[33:34], vcc_lo, 1.0, v[6:7], 1.0
	v_mul_f64 v[35:36], v[33:34], v[31:32]
	v_fma_f64 v[29:30], -v[29:30], v[35:36], v[33:34]
	v_div_fmas_f64 v[29:30], v[29:30], v[31:32], v[35:36]
	v_div_fixup_f64 v[29:30], v[29:30], v[6:7], 1.0
	v_mul_f64 v[26:27], v[27:28], v[29:30]
	v_lshlrev_b64 v[28:29], 3, v[0:1]
	v_add_nc_u32_e32 v0, s2, v0
	v_add_co_u32 v30, vcc_lo, s10, v28
	v_add_co_ci_u32_e64 v31, null, s11, v29, vcc_lo
	v_add_co_u32 v28, vcc_lo, s12, v28
	v_add_co_ci_u32_e64 v29, null, s13, v29, vcc_lo
	global_load_dwordx2 v[30:31], v[30:31], off
	v_min_f64 v[26:27], v[26:27], s[0:1]
	s_waitcnt vmcnt(0)
	v_mul_f64 v[26:27], v[30:31], v[26:27]
	global_store_dwordx2 v[28:29], v[26:27], off
	v_div_scale_f64 v[26:27], null, v[16:17], v[16:17], 1.0
	v_rcp_f64_e32 v[28:29], v[26:27]
	v_fma_f64 v[30:31], -v[26:27], v[28:29], 1.0
	v_fma_f64 v[28:29], v[28:29], v[30:31], v[28:29]
	v_fma_f64 v[30:31], -v[26:27], v[28:29], 1.0
	v_fma_f64 v[28:29], v[28:29], v[30:31], v[28:29]
	v_div_scale_f64 v[30:31], vcc_lo, 1.0, v[16:17], 1.0
	v_mul_f64 v[32:33], v[30:31], v[28:29]
	v_fma_f64 v[26:27], -v[26:27], v[32:33], v[30:31]
	v_div_fmas_f64 v[26:27], v[26:27], v[28:29], v[32:33]
	v_div_fixup_f64 v[16:17], v[26:27], v[16:17], 1.0
	v_mul_f64 v[16:17], v[18:19], v[16:17]
	v_lshlrev_b64 v[18:19], 3, v[0:1]
	v_add_nc_u32_e32 v0, s2, v0
	v_add_co_u32 v26, vcc_lo, s10, v18
	v_add_co_ci_u32_e64 v27, null, s11, v19, vcc_lo
	v_add_co_u32 v18, vcc_lo, s12, v18
	v_add_co_ci_u32_e64 v19, null, s13, v19, vcc_lo
	global_load_dwordx2 v[26:27], v[26:27], off
	v_min_f64 v[16:17], v[16:17], s[0:1]
	s_waitcnt vmcnt(0)
	v_mul_f64 v[16:17], v[26:27], v[16:17]
	global_store_dwordx2 v[18:19], v[16:17], off
	v_div_scale_f64 v[16:17], null, v[14:15], v[14:15], 1.0
	v_rcp_f64_e32 v[18:19], v[16:17]
	v_fma_f64 v[24:25], -v[16:17], v[18:19], 1.0
	v_fma_f64 v[18:19], v[18:19], v[24:25], v[18:19]
	v_fma_f64 v[24:25], -v[16:17], v[18:19], 1.0
	v_fma_f64 v[18:19], v[18:19], v[24:25], v[18:19]
	v_div_scale_f64 v[24:25], vcc_lo, 1.0, v[14:15], 1.0
	v_mul_f64 v[26:27], v[24:25], v[18:19]
	v_fma_f64 v[16:17], -v[16:17], v[26:27], v[24:25]
	v_div_fmas_f64 v[16:17], v[16:17], v[18:19], v[26:27]
	v_div_fixup_f64 v[14:15], v[16:17], v[14:15], 1.0
	v_lshlrev_b64 v[16:17], 3, v[0:1]
	v_add_nc_u32_e32 v0, s2, v0
	v_add_co_u32 v18, vcc_lo, s10, v16
	v_add_co_ci_u32_e64 v19, null, s11, v17, vcc_lo
	v_add_co_u32 v16, vcc_lo, s12, v16
	v_add_co_ci_u32_e64 v17, null, s13, v17, vcc_lo
	global_load_dwordx2 v[18:19], v[18:19], off
	v_mul_f64 v[14:15], v[10:11], v[14:15]
	v_min_f64 v[14:15], v[14:15], s[0:1]
	s_waitcnt vmcnt(0)
	v_mul_f64 v[14:15], v[18:19], v[14:15]
	global_store_dwordx2 v[16:17], v[14:15], off
	global_load_dwordx2 v[14:15], v[20:21], off
	s_waitcnt vmcnt(0)
	v_mul_f64 v[14:15], v[22:23], v[14:15]
	v_div_scale_f64 v[16:17], null, v[14:15], v[14:15], 1.0
	v_rcp_f64_e32 v[18:19], v[16:17]
	v_fma_f64 v[20:21], -v[16:17], v[18:19], 1.0
	v_fma_f64 v[18:19], v[18:19], v[20:21], v[18:19]
	v_fma_f64 v[20:21], -v[16:17], v[18:19], 1.0
	v_fma_f64 v[18:19], v[18:19], v[20:21], v[18:19]
	v_div_scale_f64 v[20:21], vcc_lo, 1.0, v[14:15], 1.0
	v_mul_f64 v[22:23], v[20:21], v[18:19]
	v_fma_f64 v[16:17], -v[16:17], v[22:23], v[20:21]
	v_div_fmas_f64 v[16:17], v[16:17], v[18:19], v[22:23]
	v_div_fixup_f64 v[14:15], v[16:17], v[14:15], 1.0
	v_mul_f64 v[10:11], v[10:11], v[14:15]
	v_lshlrev_b64 v[14:15], 3, v[0:1]
	v_add_nc_u32_e32 v0, s2, v0
	v_add_co_u32 v16, vcc_lo, s10, v14
	v_add_co_ci_u32_e64 v17, null, s11, v15, vcc_lo
	v_add_co_u32 v14, vcc_lo, s12, v14
	v_add_co_ci_u32_e64 v15, null, s13, v15, vcc_lo
	global_load_dwordx2 v[16:17], v[16:17], off
	v_min_f64 v[10:11], v[10:11], s[0:1]
	s_waitcnt vmcnt(0)
	v_mul_f64 v[10:11], v[16:17], v[10:11]
	global_store_dwordx2 v[14:15], v[10:11], off
	global_load_dwordx2 v[10:11], v[12:13], off
	v_div_scale_f64 v[14:15], null, v[4:5], v[4:5], 1.0
	v_rcp_f64_e32 v[16:17], v[14:15]
	v_fma_f64 v[18:19], -v[14:15], v[16:17], 1.0
	v_fma_f64 v[16:17], v[16:17], v[18:19], v[16:17]
	v_fma_f64 v[18:19], -v[14:15], v[16:17], 1.0
	v_fma_f64 v[16:17], v[16:17], v[18:19], v[16:17]
	v_div_scale_f64 v[18:19], vcc_lo, 1.0, v[4:5], 1.0
	v_mul_f64 v[20:21], v[18:19], v[16:17]
	v_fma_f64 v[14:15], -v[14:15], v[20:21], v[18:19]
	v_div_fmas_f64 v[14:15], v[14:15], v[16:17], v[20:21]
	v_div_fixup_f64 v[4:5], v[14:15], v[4:5], 1.0
	s_waitcnt vmcnt(0)
	v_mul_f64 v[12:13], v[10:11], v[8:9]
	v_mul_f64 v[4:5], v[12:13], v[4:5]
	v_lshlrev_b64 v[12:13], 3, v[0:1]
	v_add_nc_u32_e32 v0, s2, v0
	v_add_co_u32 v14, vcc_lo, s10, v12
	v_add_co_ci_u32_e64 v15, null, s11, v13, vcc_lo
	v_add_co_u32 v12, vcc_lo, s12, v12
	v_add_co_ci_u32_e64 v13, null, s13, v13, vcc_lo
	global_load_dwordx2 v[14:15], v[14:15], off
	v_lshlrev_b64 v[0:1], 3, v[0:1]
	v_min_f64 v[4:5], v[4:5], s[0:1]
	s_waitcnt vmcnt(0)
	v_mul_f64 v[4:5], v[14:15], v[4:5]
	global_store_dwordx2 v[12:13], v[4:5], off
	v_mul_f64 v[4:5], v[10:11], v[6:7]
	v_div_scale_f64 v[6:7], null, v[4:5], v[4:5], 1.0
	v_rcp_f64_e32 v[8:9], v[6:7]
	v_fma_f64 v[10:11], -v[6:7], v[8:9], 1.0
	v_fma_f64 v[8:9], v[8:9], v[10:11], v[8:9]
	v_fma_f64 v[10:11], -v[6:7], v[8:9], 1.0
	v_fma_f64 v[8:9], v[8:9], v[10:11], v[8:9]
	v_div_scale_f64 v[10:11], vcc_lo, 1.0, v[4:5], 1.0
	v_mul_f64 v[12:13], v[10:11], v[8:9]
	v_fma_f64 v[6:7], -v[6:7], v[12:13], v[10:11]
	v_div_fmas_f64 v[6:7], v[6:7], v[8:9], v[12:13]
	v_div_fixup_f64 v[4:5], v[6:7], v[4:5], 1.0
	v_mul_f64 v[2:3], v[2:3], v[4:5]
	v_add_co_u32 v4, vcc_lo, s10, v0
	v_add_co_ci_u32_e64 v5, null, s11, v1, vcc_lo
	v_add_co_u32 v0, vcc_lo, s12, v0
	v_add_co_ci_u32_e64 v1, null, s13, v1, vcc_lo
	global_load_dwordx2 v[4:5], v[4:5], off
	v_min_f64 v[2:3], v[2:3], s[0:1]
	s_waitcnt vmcnt(0)
	v_mul_f64 v[2:3], v[4:5], v[2:3]
	global_store_dwordx2 v[0:1], v[2:3], off
	s_endpgm
	.section	.rodata,"a",@progbits
	.p2align	6, 0x0
	.amdhsa_kernel _Z12ratt8_kernelIdEvPKT_S2_PS0_S2_S0_
		.amdhsa_group_segment_fixed_size 0
		.amdhsa_private_segment_fixed_size 0
		.amdhsa_kernarg_size 296
		.amdhsa_user_sgpr_count 6
		.amdhsa_user_sgpr_private_segment_buffer 1
		.amdhsa_user_sgpr_dispatch_ptr 0
		.amdhsa_user_sgpr_queue_ptr 0
		.amdhsa_user_sgpr_kernarg_segment_ptr 1
		.amdhsa_user_sgpr_dispatch_id 0
		.amdhsa_user_sgpr_flat_scratch_init 0
		.amdhsa_user_sgpr_private_segment_size 0
		.amdhsa_wavefront_size32 1
		.amdhsa_uses_dynamic_stack 0
		.amdhsa_system_sgpr_private_segment_wavefront_offset 0
		.amdhsa_system_sgpr_workgroup_id_x 1
		.amdhsa_system_sgpr_workgroup_id_y 0
		.amdhsa_system_sgpr_workgroup_id_z 0
		.amdhsa_system_sgpr_workgroup_info 0
		.amdhsa_system_vgpr_workitem_id 0
		.amdhsa_next_free_vgpr 61
		.amdhsa_next_free_sgpr 16
		.amdhsa_reserve_vcc 1
		.amdhsa_reserve_flat_scratch 0
		.amdhsa_float_round_mode_32 0
		.amdhsa_float_round_mode_16_64 0
		.amdhsa_float_denorm_mode_32 3
		.amdhsa_float_denorm_mode_16_64 3
		.amdhsa_dx10_clamp 1
		.amdhsa_ieee_mode 1
		.amdhsa_fp16_overflow 0
		.amdhsa_workgroup_processor_mode 1
		.amdhsa_memory_ordered 1
		.amdhsa_forward_progress 1
		.amdhsa_shared_vgpr_count 0
		.amdhsa_exception_fp_ieee_invalid_op 0
		.amdhsa_exception_fp_denorm_src 0
		.amdhsa_exception_fp_ieee_div_zero 0
		.amdhsa_exception_fp_ieee_overflow 0
		.amdhsa_exception_fp_ieee_underflow 0
		.amdhsa_exception_fp_ieee_inexact 0
		.amdhsa_exception_int_div_zero 0
	.end_amdhsa_kernel
	.section	.text._Z12ratt8_kernelIdEvPKT_S2_PS0_S2_S0_,"axG",@progbits,_Z12ratt8_kernelIdEvPKT_S2_PS0_S2_S0_,comdat
.Lfunc_end36:
	.size	_Z12ratt8_kernelIdEvPKT_S2_PS0_S2_S0_, .Lfunc_end36-_Z12ratt8_kernelIdEvPKT_S2_PS0_S2_S0_
                                        ; -- End function
	.set _Z12ratt8_kernelIdEvPKT_S2_PS0_S2_S0_.num_vgpr, 61
	.set _Z12ratt8_kernelIdEvPKT_S2_PS0_S2_S0_.num_agpr, 0
	.set _Z12ratt8_kernelIdEvPKT_S2_PS0_S2_S0_.numbered_sgpr, 16
	.set _Z12ratt8_kernelIdEvPKT_S2_PS0_S2_S0_.num_named_barrier, 0
	.set _Z12ratt8_kernelIdEvPKT_S2_PS0_S2_S0_.private_seg_size, 0
	.set _Z12ratt8_kernelIdEvPKT_S2_PS0_S2_S0_.uses_vcc, 1
	.set _Z12ratt8_kernelIdEvPKT_S2_PS0_S2_S0_.uses_flat_scratch, 0
	.set _Z12ratt8_kernelIdEvPKT_S2_PS0_S2_S0_.has_dyn_sized_stack, 0
	.set _Z12ratt8_kernelIdEvPKT_S2_PS0_S2_S0_.has_recursion, 0
	.set _Z12ratt8_kernelIdEvPKT_S2_PS0_S2_S0_.has_indirect_call, 0
	.section	.AMDGPU.csdata,"",@progbits
; Kernel info:
; codeLenInByte = 6244
; TotalNumSgprs: 18
; NumVgprs: 61
; ScratchSize: 0
; MemoryBound: 0
; FloatMode: 240
; IeeeMode: 1
; LDSByteSize: 0 bytes/workgroup (compile time only)
; SGPRBlocks: 0
; VGPRBlocks: 7
; NumSGPRsForWavesPerEU: 18
; NumVGPRsForWavesPerEU: 61
; Occupancy: 16
; WaveLimiterHint : 0
; COMPUTE_PGM_RSRC2:SCRATCH_EN: 0
; COMPUTE_PGM_RSRC2:USER_SGPR: 6
; COMPUTE_PGM_RSRC2:TRAP_HANDLER: 0
; COMPUTE_PGM_RSRC2:TGID_X_EN: 1
; COMPUTE_PGM_RSRC2:TGID_Y_EN: 0
; COMPUTE_PGM_RSRC2:TGID_Z_EN: 0
; COMPUTE_PGM_RSRC2:TIDIG_COMP_CNT: 0
	.section	.text._Z12ratt9_kernelIdEvPKT_S2_PS0_S2_S0_,"axG",@progbits,_Z12ratt9_kernelIdEvPKT_S2_PS0_S2_S0_,comdat
	.protected	_Z12ratt9_kernelIdEvPKT_S2_PS0_S2_S0_ ; -- Begin function _Z12ratt9_kernelIdEvPKT_S2_PS0_S2_S0_
	.globl	_Z12ratt9_kernelIdEvPKT_S2_PS0_S2_S0_
	.p2align	8
	.type	_Z12ratt9_kernelIdEvPKT_S2_PS0_S2_S0_,@function
_Z12ratt9_kernelIdEvPKT_S2_PS0_S2_S0_:  ; @_Z12ratt9_kernelIdEvPKT_S2_PS0_S2_S0_
; %bb.0:
	s_clause 0x3
	s_load_dwordx8 s[8:15], s[4:5], 0x0
	s_load_dwordx2 s[0:1], s[4:5], 0x20
	s_load_dword s2, s[4:5], 0x28
	s_load_dword s3, s[4:5], 0x34
	s_waitcnt lgkmcnt(0)
	s_and_b32 s3, s3, 0xffff
	v_mad_u64_u32 v[0:1], null, s6, s3, v[0:1]
	v_mov_b32_e32 v1, 0
	s_mul_i32 s2, s2, s3
	s_mul_i32 s4, s2, 0x9a
	;; [unrolled: 1-line block ×3, first 2 shown]
	v_lshlrev_b64 v[14:15], 3, v[0:1]
	v_add_co_u32 v2, vcc_lo, s8, v14
	v_add_co_ci_u32_e64 v3, null, s9, v15, vcc_lo
	global_load_dwordx2 v[2:3], v[2:3], off
	s_waitcnt vmcnt(0)
	v_mul_f64 v[2:3], s[0:1], v[2:3]
	s_brev_b32 s0, 12
	s_mov_b32 s1, 0x4193d2c6
	v_mul_f64 v[2:3], v[2:3], s[0:1]
	s_mov_b32 s0, 0x4357691b
	s_mov_b32 s1, 0x479e17b8
	v_div_scale_f64 v[4:5], null, v[2:3], v[2:3], 1.0
	v_rcp_f64_e32 v[6:7], v[4:5]
	v_fma_f64 v[8:9], -v[4:5], v[6:7], 1.0
	v_fma_f64 v[6:7], v[6:7], v[8:9], v[6:7]
	v_fma_f64 v[8:9], -v[4:5], v[6:7], 1.0
	v_fma_f64 v[6:7], v[6:7], v[8:9], v[6:7]
	v_div_scale_f64 v[8:9], vcc_lo, 1.0, v[2:3], 1.0
	v_mul_f64 v[10:11], v[8:9], v[6:7]
	v_fma_f64 v[4:5], -v[4:5], v[10:11], v[8:9]
	v_div_fmas_f64 v[4:5], v[4:5], v[6:7], v[10:11]
	v_div_fixup_f64 v[2:3], v[4:5], v[2:3], 1.0
	v_mov_b32_e32 v5, v1
	v_mul_f64 v[6:7], 0x412eec04, v[2:3]
	v_mad_u64_u32 v[2:3], null, s2, 6, v[0:1]
	v_mov_b32_e32 v3, v1
	v_add_nc_u32_e32 v0, s2, v0
	v_lshlrev_b64 v[3:4], 3, v[2:3]
	v_add_co_u32 v18, vcc_lo, s14, v3
	v_add_co_ci_u32_e64 v19, null, s15, v4, vcc_lo
	v_lshl_add_u32 v4, s2, 4, v2
	global_load_dwordx2 v[10:11], v[18:19], off
	v_lshlrev_b64 v[2:3], 3, v[4:5]
	v_mad_u64_u32 v[4:5], null, s2, -15, v[4:5]
	v_mov_b32_e32 v5, v1
	v_add_co_u32 v12, vcc_lo, s14, v2
	v_add_co_ci_u32_e64 v13, null, s15, v3, vcc_lo
	v_lshlrev_b64 v[8:9], 3, v[4:5]
	v_mad_u64_u32 v[4:5], null, s2, 14, v[4:5]
	v_mov_b32_e32 v5, v1
	v_add_co_u32 v22, vcc_lo, s14, v8
	v_add_co_ci_u32_e64 v23, null, s15, v9, vcc_lo
	v_lshlrev_b64 v[8:9], 3, v[4:5]
	v_add_nc_u32_e32 v4, s4, v4
	s_clause 0x1
	global_load_dwordx2 v[26:27], v[22:23], off
	global_load_dwordx2 v[2:3], v[12:13], off
	v_add_co_u32 v8, vcc_lo, s14, v8
	v_add_co_ci_u32_e64 v9, null, s15, v9, vcc_lo
	global_load_dwordx2 v[20:21], v[8:9], off
	s_waitcnt vmcnt(1)
	v_mul_f64 v[24:25], v[10:11], v[2:3]
	s_waitcnt vmcnt(0)
	v_mul_f64 v[8:9], v[26:27], v[20:21]
	v_div_scale_f64 v[16:17], null, v[8:9], v[8:9], 1.0
	v_rcp_f64_e32 v[28:29], v[16:17]
	v_fma_f64 v[30:31], -v[16:17], v[28:29], 1.0
	v_fma_f64 v[28:29], v[28:29], v[30:31], v[28:29]
	v_fma_f64 v[30:31], -v[16:17], v[28:29], 1.0
	v_fma_f64 v[28:29], v[28:29], v[30:31], v[28:29]
	v_div_scale_f64 v[30:31], vcc_lo, 1.0, v[8:9], 1.0
	v_mul_f64 v[32:33], v[30:31], v[28:29]
	v_fma_f64 v[16:17], -v[16:17], v[32:33], v[30:31]
	v_div_fmas_f64 v[16:17], v[16:17], v[28:29], v[32:33]
	v_div_fixup_f64 v[8:9], v[16:17], v[8:9], 1.0
	v_lshlrev_b64 v[16:17], 3, v[4:5]
	v_add_nc_u32_e32 v4, s3, v4
	v_add_co_u32 v28, vcc_lo, s10, v16
	v_add_co_ci_u32_e64 v29, null, s11, v17, vcc_lo
	v_add_co_u32 v16, vcc_lo, s12, v16
	v_add_co_ci_u32_e64 v17, null, s13, v17, vcc_lo
	global_load_dwordx2 v[28:29], v[28:29], off
	v_mul_f64 v[8:9], v[24:25], v[8:9]
	v_min_f64 v[8:9], v[8:9], s[0:1]
	s_waitcnt vmcnt(0)
	v_mul_f64 v[8:9], v[28:29], v[8:9]
	global_store_dwordx2 v[16:17], v[8:9], off
	v_lshlrev_b64 v[8:9], 3, v[4:5]
	v_add_co_u32 v16, vcc_lo, s14, v8
	v_add_co_ci_u32_e64 v17, null, s15, v9, vcc_lo
	v_mad_u64_u32 v[8:9], null, s2, 7, v[4:5]
	v_mov_b32_e32 v9, v1
	global_load_dwordx2 v[32:33], v[16:17], off
	v_lshlrev_b64 v[4:5], 3, v[8:9]
	v_mad_u64_u32 v[30:31], null, s2, 5, v[8:9]
	v_mov_b32_e32 v31, v1
	v_add_co_u32 v4, vcc_lo, s14, v4
	v_add_co_ci_u32_e64 v5, null, s15, v5, vcc_lo
	v_lshlrev_b64 v[8:9], 3, v[30:31]
	global_load_dwordx2 v[34:35], v[4:5], off
	v_add_co_u32 v8, vcc_lo, s14, v8
	v_add_co_ci_u32_e64 v9, null, s15, v9, vcc_lo
	global_load_dwordx2 v[40:41], v[8:9], off
	s_waitcnt vmcnt(1)
	v_mul_f64 v[28:29], v[32:33], v[34:35]
	v_mul_f64 v[20:21], v[20:21], v[34:35]
	s_waitcnt vmcnt(0)
	v_mul_f64 v[28:29], v[28:29], v[40:41]
	v_mul_f64 v[28:29], v[6:7], v[28:29]
	v_div_scale_f64 v[36:37], null, v[28:29], v[28:29], 1.0
	v_rcp_f64_e32 v[38:39], v[36:37]
	v_fma_f64 v[42:43], -v[36:37], v[38:39], 1.0
	v_fma_f64 v[38:39], v[38:39], v[42:43], v[38:39]
	v_fma_f64 v[42:43], -v[36:37], v[38:39], 1.0
	v_fma_f64 v[38:39], v[38:39], v[42:43], v[38:39]
	v_div_scale_f64 v[42:43], vcc_lo, 1.0, v[28:29], 1.0
	v_mul_f64 v[44:45], v[42:43], v[38:39]
	v_fma_f64 v[36:37], -v[36:37], v[44:45], v[42:43]
	v_div_fmas_f64 v[36:37], v[36:37], v[38:39], v[44:45]
	v_div_fixup_f64 v[28:29], v[36:37], v[28:29], 1.0
	v_mul_f64 v[24:25], v[24:25], v[28:29]
	v_mad_u64_u32 v[28:29], null, 0xa0, s2, v[30:31]
	v_mov_b32_e32 v29, v1
	v_lshlrev_b64 v[30:31], 3, v[28:29]
	v_add_co_u32 v36, vcc_lo, s10, v30
	v_add_co_ci_u32_e64 v37, null, s11, v31, vcc_lo
	v_add_co_u32 v30, vcc_lo, s12, v30
	v_add_co_ci_u32_e64 v31, null, s13, v31, vcc_lo
	global_load_dwordx2 v[36:37], v[36:37], off
	v_min_f64 v[24:25], v[24:25], s[0:1]
	s_waitcnt vmcnt(0)
	v_mul_f64 v[24:25], v[36:37], v[24:25]
	global_store_dwordx2 v[30:31], v[24:25], off
	v_mul_f64 v[24:25], v[2:3], v[26:27]
	v_mad_u64_u32 v[26:27], null, 0xffffff67, s2, v[28:29]
	v_mov_b32_e32 v27, v1
	v_lshlrev_b64 v[27:28], 3, v[26:27]
	v_add_nc_u32_e32 v26, s4, v26
	s_lshl_b32 s4, s2, 1
	v_add_co_u32 v27, vcc_lo, s14, v27
	v_add_co_ci_u32_e64 v28, null, s15, v28, vcc_lo
	global_load_dwordx2 v[28:29], v[27:28], off
	v_mov_b32_e32 v27, v1
	s_waitcnt vmcnt(0)
	v_mul_f64 v[30:31], v[10:11], v[28:29]
	v_div_scale_f64 v[36:37], null, v[30:31], v[30:31], 1.0
	v_rcp_f64_e32 v[38:39], v[36:37]
	v_fma_f64 v[42:43], -v[36:37], v[38:39], 1.0
	v_fma_f64 v[38:39], v[38:39], v[42:43], v[38:39]
	v_fma_f64 v[42:43], -v[36:37], v[38:39], 1.0
	v_fma_f64 v[38:39], v[38:39], v[42:43], v[38:39]
	v_div_scale_f64 v[42:43], vcc_lo, 1.0, v[30:31], 1.0
	v_mul_f64 v[44:45], v[42:43], v[38:39]
	v_fma_f64 v[36:37], -v[36:37], v[44:45], v[42:43]
	v_div_fmas_f64 v[36:37], v[36:37], v[38:39], v[44:45]
	v_div_fixup_f64 v[30:31], v[36:37], v[30:31], 1.0
	v_mul_f64 v[24:25], v[24:25], v[30:31]
	v_lshlrev_b64 v[30:31], 3, v[26:27]
	v_add_co_u32 v36, vcc_lo, s10, v30
	v_add_co_ci_u32_e64 v37, null, s11, v31, vcc_lo
	v_add_co_u32 v30, vcc_lo, s12, v30
	v_add_co_ci_u32_e64 v31, null, s13, v31, vcc_lo
	global_load_dwordx2 v[36:37], v[36:37], off
	v_min_f64 v[24:25], v[24:25], s[0:1]
	s_waitcnt vmcnt(0)
	v_mul_f64 v[24:25], v[36:37], v[24:25]
	global_store_dwordx2 v[30:31], v[24:25], off
	v_mad_u64_u32 v[24:25], null, 0xffffff5e, s2, v[26:27]
	v_mov_b32_e32 v25, v1
	v_mov_b32_e32 v31, v1
	v_subrev_nc_u32_e32 v30, s4, v24
	v_lshlrev_b64 v[25:26], 3, v[24:25]
	s_mul_i32 s4, s2, 0xb2
	v_lshlrev_b64 v[36:37], 3, v[30:31]
	v_add_co_u32 v42, vcc_lo, s14, v25
	v_add_co_ci_u32_e64 v43, null, s15, v26, vcc_lo
	v_add_co_u32 v36, vcc_lo, s14, v36
	v_add_co_ci_u32_e64 v37, null, s15, v37, vcc_lo
	s_clause 0x1
	global_load_dwordx2 v[46:47], v[42:43], off
	global_load_dwordx2 v[48:49], v[36:37], off
	s_waitcnt vmcnt(1)
	v_mul_f64 v[25:26], v[2:3], v[46:47]
	s_waitcnt vmcnt(0)
	v_mul_f64 v[36:37], v[28:29], v[48:49]
	v_div_scale_f64 v[38:39], null, v[36:37], v[36:37], 1.0
	v_rcp_f64_e32 v[44:45], v[38:39]
	v_fma_f64 v[50:51], -v[38:39], v[44:45], 1.0
	v_fma_f64 v[44:45], v[44:45], v[50:51], v[44:45]
	v_fma_f64 v[50:51], -v[38:39], v[44:45], 1.0
	v_fma_f64 v[44:45], v[44:45], v[50:51], v[44:45]
	v_div_scale_f64 v[50:51], vcc_lo, 1.0, v[36:37], 1.0
	v_mul_f64 v[52:53], v[50:51], v[44:45]
	v_fma_f64 v[38:39], -v[38:39], v[52:53], v[50:51]
	v_div_fmas_f64 v[38:39], v[38:39], v[44:45], v[52:53]
	v_div_fixup_f64 v[36:37], v[38:39], v[36:37], 1.0
	v_mul_f64 v[24:25], v[25:26], v[36:37]
	v_mad_u64_u32 v[26:27], null, 0xa5, s2, v[30:31]
	v_mov_b32_e32 v27, v1
	v_lshlrev_b64 v[26:27], 3, v[26:27]
	v_add_co_u32 v30, vcc_lo, s10, v26
	v_add_co_ci_u32_e64 v31, null, s11, v27, vcc_lo
	v_add_co_u32 v26, vcc_lo, s12, v26
	v_add_co_ci_u32_e64 v27, null, s13, v27, vcc_lo
	global_load_dwordx2 v[30:31], v[30:31], off
	v_min_f64 v[24:25], v[24:25], s[0:1]
	s_waitcnt vmcnt(0)
	v_mul_f64 v[24:25], v[30:31], v[24:25]
	global_store_dwordx2 v[26:27], v[24:25], off
	v_lshlrev_b64 v[24:25], 3, v[0:1]
	v_add_nc_u32_e32 v0, s4, v0
	v_add_co_u32 v38, vcc_lo, s14, v24
	v_add_co_ci_u32_e64 v39, null, s15, v25, vcc_lo
	v_add_co_u32 v24, vcc_lo, s14, v14
	v_add_co_ci_u32_e64 v25, null, s15, v15, vcc_lo
	s_clause 0x1
	global_load_dwordx2 v[36:37], v[38:39], off
	global_load_dwordx2 v[14:15], v[24:25], off
	s_waitcnt vmcnt(1)
	v_mul_f64 v[26:27], v[28:29], v[36:37]
	s_waitcnt vmcnt(0)
	v_mul_f64 v[14:15], v[2:3], v[14:15]
	v_div_scale_f64 v[30:31], null, v[14:15], v[14:15], 1.0
	v_rcp_f64_e32 v[44:45], v[30:31]
	v_fma_f64 v[50:51], -v[30:31], v[44:45], 1.0
	v_fma_f64 v[44:45], v[44:45], v[50:51], v[44:45]
	v_fma_f64 v[50:51], -v[30:31], v[44:45], 1.0
	v_fma_f64 v[44:45], v[44:45], v[50:51], v[44:45]
	v_div_scale_f64 v[50:51], vcc_lo, 1.0, v[14:15], 1.0
	v_mul_f64 v[52:53], v[50:51], v[44:45]
	v_fma_f64 v[30:31], -v[30:31], v[52:53], v[50:51]
	v_div_fmas_f64 v[30:31], v[30:31], v[44:45], v[52:53]
	v_mul_f64 v[44:45], v[2:3], v[32:33]
	v_div_fixup_f64 v[14:15], v[30:31], v[14:15], 1.0
	v_div_scale_f64 v[50:51], null, v[44:45], v[44:45], 1.0
	v_mul_f64 v[14:15], v[26:27], v[14:15]
	v_lshlrev_b64 v[26:27], 3, v[0:1]
	v_rcp_f64_e32 v[52:53], v[50:51]
	v_add_co_u32 v30, vcc_lo, s10, v26
	v_add_co_ci_u32_e64 v31, null, s11, v27, vcc_lo
	v_add_co_u32 v26, vcc_lo, s12, v26
	v_add_co_ci_u32_e64 v27, null, s13, v27, vcc_lo
	global_load_dwordx2 v[30:31], v[30:31], off
	v_min_f64 v[14:15], v[14:15], s[0:1]
	v_fma_f64 v[54:55], -v[50:51], v[52:53], 1.0
	v_fma_f64 v[52:53], v[52:53], v[54:55], v[52:53]
	v_fma_f64 v[54:55], -v[50:51], v[52:53], 1.0
	v_fma_f64 v[52:53], v[52:53], v[54:55], v[52:53]
	s_waitcnt vmcnt(0)
	v_mul_f64 v[14:15], v[30:31], v[14:15]
	global_store_dwordx2 v[26:27], v[14:15], off
	v_mad_u64_u32 v[14:15], null, 0xffffff4f, s2, v[0:1]
	v_mov_b32_e32 v15, v1
	v_lshlrev_b64 v[26:27], 3, v[14:15]
	v_add_nc_u32_e32 v0, s4, v14
	s_mul_i32 s4, s2, 0xa7
	v_add_co_u32 v26, vcc_lo, s14, v26
	v_add_co_ci_u32_e64 v27, null, s15, v27, vcc_lo
	v_div_scale_f64 v[54:55], vcc_lo, 1.0, v[44:45], 1.0
	v_lshlrev_b64 v[14:15], 3, v[0:1]
	global_load_dwordx2 v[30:31], v[26:27], off
	v_mul_f64 v[56:57], v[54:55], v[52:53]
	v_fma_f64 v[50:51], -v[50:51], v[56:57], v[54:55]
	v_div_fmas_f64 v[50:51], v[50:51], v[52:53], v[56:57]
	v_div_fixup_f64 v[44:45], v[50:51], v[44:45], 1.0
	s_waitcnt vmcnt(0)
	v_mul_f64 v[30:31], v[28:29], v[30:31]
	v_mul_f64 v[30:31], v[44:45], v[30:31]
	v_add_co_u32 v44, vcc_lo, s10, v14
	v_add_co_ci_u32_e64 v45, null, s11, v15, vcc_lo
	v_add_co_u32 v14, vcc_lo, s12, v14
	v_add_co_ci_u32_e64 v15, null, s13, v15, vcc_lo
	global_load_dwordx2 v[44:45], v[44:45], off
	v_min_f64 v[30:31], v[30:31], s[0:1]
	s_waitcnt vmcnt(0)
	v_mul_f64 v[30:31], v[44:45], v[30:31]
	global_store_dwordx2 v[14:15], v[30:31], off
	v_mad_u64_u32 v[30:31], null, 0xffffff51, s2, v[0:1]
	v_mov_b32_e32 v31, v1
	v_mul_f64 v[14:15], v[32:33], v[28:29]
	v_mul_f64 v[32:33], v[32:33], v[40:41]
	v_lshlrev_b64 v[44:45], 3, v[30:31]
	v_mad_u64_u32 v[30:31], null, 0xb0, s2, v[30:31]
	v_mov_b32_e32 v31, v1
	v_add_co_u32 v44, vcc_lo, s14, v44
	v_add_co_ci_u32_e64 v45, null, s15, v45, vcc_lo
	v_add_nc_u32_e32 v0, s3, v30
	s_mul_i32 s3, s2, 0xffffff5a
	global_load_dwordx2 v[50:51], v[44:45], off
	s_waitcnt vmcnt(0)
	v_mul_f64 v[50:51], v[2:3], v[50:51]
	v_div_scale_f64 v[52:53], null, v[50:51], v[50:51], 1.0
	v_rcp_f64_e32 v[54:55], v[52:53]
	v_fma_f64 v[56:57], -v[52:53], v[54:55], 1.0
	v_fma_f64 v[54:55], v[54:55], v[56:57], v[54:55]
	v_fma_f64 v[56:57], -v[52:53], v[54:55], 1.0
	v_fma_f64 v[54:55], v[54:55], v[56:57], v[54:55]
	v_div_scale_f64 v[56:57], vcc_lo, 1.0, v[50:51], 1.0
	v_mul_f64 v[58:59], v[56:57], v[54:55]
	v_fma_f64 v[52:53], -v[52:53], v[58:59], v[56:57]
	v_div_fmas_f64 v[52:53], v[52:53], v[54:55], v[58:59]
	v_div_fixup_f64 v[50:51], v[52:53], v[50:51], 1.0
	v_mul_f64 v[14:15], v[14:15], v[50:51]
	v_lshlrev_b64 v[50:51], 3, v[30:31]
	v_mul_f64 v[30:31], v[2:3], v[34:35]
	v_add_co_u32 v52, vcc_lo, s10, v50
	v_add_co_ci_u32_e64 v53, null, s11, v51, vcc_lo
	v_add_co_u32 v50, vcc_lo, s12, v50
	v_add_co_ci_u32_e64 v51, null, s13, v51, vcc_lo
	global_load_dwordx2 v[52:53], v[52:53], off
	v_min_f64 v[14:15], v[14:15], s[0:1]
	s_waitcnt vmcnt(0)
	v_mul_f64 v[14:15], v[52:53], v[14:15]
	global_store_dwordx2 v[50:51], v[14:15], off
	v_lshlrev_b64 v[14:15], 3, v[0:1]
	v_div_scale_f64 v[50:51], null, v[30:31], v[30:31], 1.0
	v_add_co_u32 v14, vcc_lo, s14, v14
	v_add_co_ci_u32_e64 v15, null, s15, v15, vcc_lo
	global_load_dwordx2 v[14:15], v[14:15], off
	v_rcp_f64_e32 v[52:53], v[50:51]
	v_fma_f64 v[54:55], -v[50:51], v[52:53], 1.0
	v_fma_f64 v[52:53], v[52:53], v[54:55], v[52:53]
	v_fma_f64 v[54:55], -v[50:51], v[52:53], 1.0
	v_fma_f64 v[52:53], v[52:53], v[54:55], v[52:53]
	v_div_scale_f64 v[54:55], vcc_lo, 1.0, v[30:31], 1.0
	v_mul_f64 v[56:57], v[54:55], v[52:53]
	v_fma_f64 v[50:51], -v[50:51], v[56:57], v[54:55]
	v_div_fmas_f64 v[50:51], v[50:51], v[52:53], v[56:57]
	v_div_fixup_f64 v[30:31], v[50:51], v[30:31], 1.0
	s_waitcnt vmcnt(0)
	v_mul_f64 v[14:15], v[28:29], v[14:15]
	v_mul_f64 v[14:15], v[30:31], v[14:15]
	v_mad_u64_u32 v[30:31], null, 0xac, s2, v[0:1]
	v_mov_b32_e32 v31, v1
	v_lshlrev_b64 v[50:51], 3, v[30:31]
	v_add_co_u32 v52, vcc_lo, s10, v50
	v_add_co_ci_u32_e64 v53, null, s11, v51, vcc_lo
	v_add_co_u32 v50, vcc_lo, s12, v50
	v_add_co_ci_u32_e64 v51, null, s13, v51, vcc_lo
	global_load_dwordx2 v[52:53], v[52:53], off
	v_min_f64 v[14:15], v[14:15], s[0:1]
	s_waitcnt vmcnt(0)
	v_mul_f64 v[14:15], v[52:53], v[14:15]
	global_store_dwordx2 v[50:51], v[14:15], off
	v_mul_f64 v[14:15], v[34:35], v[28:29]
	v_mad_u64_u32 v[28:29], null, 0xffffff56, s2, v[30:31]
	v_mov_b32_e32 v29, v1
	v_div_scale_f64 v[34:35], null, v[20:21], v[20:21], 1.0
	v_lshlrev_b64 v[30:31], 3, v[28:29]
	v_add_co_u32 v30, vcc_lo, s14, v30
	v_add_co_ci_u32_e64 v31, null, s15, v31, vcc_lo
	global_load_dwordx2 v[50:51], v[30:31], off
	s_waitcnt vmcnt(0)
	v_mul_f64 v[2:3], v[2:3], v[50:51]
	v_div_scale_f64 v[52:53], null, v[2:3], v[2:3], 1.0
	v_rcp_f64_e32 v[54:55], v[52:53]
	v_fma_f64 v[56:57], -v[52:53], v[54:55], 1.0
	v_fma_f64 v[54:55], v[54:55], v[56:57], v[54:55]
	v_fma_f64 v[56:57], -v[52:53], v[54:55], 1.0
	v_fma_f64 v[54:55], v[54:55], v[56:57], v[54:55]
	v_div_scale_f64 v[56:57], vcc_lo, 1.0, v[2:3], 1.0
	v_mul_f64 v[58:59], v[56:57], v[54:55]
	v_fma_f64 v[52:53], -v[52:53], v[58:59], v[56:57]
	v_div_fmas_f64 v[52:53], v[52:53], v[54:55], v[58:59]
	v_div_fixup_f64 v[2:3], v[52:53], v[2:3], 1.0
	v_mul_f64 v[2:3], v[14:15], v[2:3]
	v_mad_u64_u32 v[14:15], null, 0xab, s2, v[28:29]
	v_mov_b32_e32 v15, v1
	v_lshlrev_b64 v[28:29], 3, v[14:15]
	v_mad_u64_u32 v[14:15], null, 0xffffff65, s2, v[14:15]
	v_mov_b32_e32 v15, v1
	v_add_co_u32 v52, vcc_lo, s10, v28
	v_add_co_ci_u32_e64 v53, null, s11, v29, vcc_lo
	v_add_co_u32 v28, vcc_lo, s12, v28
	v_add_co_ci_u32_e64 v29, null, s13, v29, vcc_lo
	global_load_dwordx2 v[52:53], v[52:53], off
	v_min_f64 v[2:3], v[2:3], s[0:1]
	v_add_nc_u32_e32 v0, s2, v14
	s_waitcnt vmcnt(0)
	v_mul_f64 v[2:3], v[52:53], v[2:3]
	global_store_dwordx2 v[28:29], v[2:3], off
	v_lshlrev_b64 v[2:3], 3, v[14:15]
	v_lshlrev_b64 v[14:15], 3, v[0:1]
	v_add_co_u32 v2, vcc_lo, s14, v2
	v_add_co_ci_u32_e64 v3, null, s15, v3, vcc_lo
	v_add_co_u32 v28, vcc_lo, s14, v14
	v_add_co_ci_u32_e64 v29, null, s15, v15, vcc_lo
	s_clause 0x1
	global_load_dwordx2 v[52:53], v[2:3], off
	global_load_dwordx2 v[58:59], v[28:29], off
	s_waitcnt vmcnt(1)
	v_mul_f64 v[54:55], v[36:37], v[52:53]
	s_waitcnt vmcnt(0)
	v_div_scale_f64 v[14:15], null, v[58:59], v[58:59], 1.0
	v_mul_f64 v[56:57], v[6:7], v[54:55]
	v_rcp_f64_e32 v[60:61], v[14:15]
	v_fma_f64 v[62:63], -v[14:15], v[60:61], 1.0
	v_fma_f64 v[60:61], v[60:61], v[62:63], v[60:61]
	v_fma_f64 v[62:63], -v[14:15], v[60:61], 1.0
	v_fma_f64 v[60:61], v[60:61], v[62:63], v[60:61]
	v_div_scale_f64 v[62:63], vcc_lo, 1.0, v[58:59], 1.0
	v_mul_f64 v[64:65], v[62:63], v[60:61]
	v_fma_f64 v[14:15], -v[14:15], v[64:65], v[62:63]
	v_div_fmas_f64 v[14:15], v[14:15], v[60:61], v[64:65]
	v_div_fixup_f64 v[14:15], v[14:15], v[58:59], 1.0
	v_mul_f64 v[14:15], v[56:57], v[14:15]
	v_mad_u64_u32 v[56:57], null, 0x9b, s2, v[0:1]
	v_mov_b32_e32 v57, v1
	v_lshlrev_b64 v[60:61], 3, v[56:57]
	v_add_co_u32 v62, vcc_lo, s10, v60
	v_add_co_ci_u32_e64 v63, null, s11, v61, vcc_lo
	v_add_co_u32 v60, vcc_lo, s12, v60
	v_add_co_ci_u32_e64 v61, null, s13, v61, vcc_lo
	global_load_dwordx2 v[62:63], v[62:63], off
	v_min_f64 v[14:15], v[14:15], s[0:1]
	s_waitcnt vmcnt(0)
	v_mul_f64 v[14:15], v[62:63], v[14:15]
	global_store_dwordx2 v[60:61], v[14:15], off
	v_mad_u64_u32 v[14:15], null, 0xffffff5b, s2, v[56:57]
	v_mov_b32_e32 v15, v1
	v_lshlrev_b64 v[56:57], 3, v[14:15]
	v_mad_u64_u32 v[14:15], null, 0xa6, s2, v[14:15]
	v_mov_b32_e32 v15, v1
	v_add_co_u32 v56, vcc_lo, s14, v56
	v_add_co_ci_u32_e64 v57, null, s15, v57, vcc_lo
	global_load_dwordx2 v[56:57], v[56:57], off
	s_waitcnt vmcnt(0)
	v_mul_f64 v[50:51], v[50:51], v[56:57]
	v_div_scale_f64 v[56:57], null, v[50:51], v[50:51], 1.0
	v_rcp_f64_e32 v[60:61], v[56:57]
	v_fma_f64 v[62:63], -v[56:57], v[60:61], 1.0
	v_fma_f64 v[60:61], v[60:61], v[62:63], v[60:61]
	v_fma_f64 v[62:63], -v[56:57], v[60:61], 1.0
	v_fma_f64 v[60:61], v[60:61], v[62:63], v[60:61]
	v_div_scale_f64 v[62:63], vcc_lo, 1.0, v[50:51], 1.0
	v_mul_f64 v[64:65], v[62:63], v[60:61]
	v_fma_f64 v[56:57], -v[56:57], v[64:65], v[62:63]
	v_div_fmas_f64 v[56:57], v[56:57], v[60:61], v[64:65]
	v_div_fixup_f64 v[50:51], v[56:57], v[50:51], 1.0
	v_mul_f64 v[50:51], v[54:55], v[50:51]
	v_lshlrev_b64 v[54:55], 3, v[14:15]
	v_add_co_u32 v56, vcc_lo, s10, v54
	v_add_co_ci_u32_e64 v57, null, s11, v55, vcc_lo
	v_add_co_u32 v54, vcc_lo, s12, v54
	v_add_co_ci_u32_e64 v55, null, s13, v55, vcc_lo
	global_load_dwordx2 v[56:57], v[56:57], off
	v_min_f64 v[50:51], v[50:51], s[0:1]
	s_waitcnt vmcnt(0)
	v_mul_f64 v[50:51], v[56:57], v[50:51]
	global_store_dwordx2 v[54:55], v[50:51], off
	v_mul_f64 v[50:51], v[10:11], v[52:53]
	v_mad_u64_u32 v[10:11], null, 0xffffff4a, s2, v[14:15]
	v_mov_b32_e32 v11, v1
	v_lshlrev_b64 v[14:15], 3, v[10:11]
	v_mad_u64_u32 v[10:11], null, 0xb7, s2, v[10:11]
	v_mov_b32_e32 v11, v1
	v_add_co_u32 v14, vcc_lo, s14, v14
	v_add_co_ci_u32_e64 v15, null, s15, v15, vcc_lo
	v_add_nc_u32_e32 v0, s3, v10
	global_load_dwordx2 v[54:55], v[14:15], off
	s_waitcnt vmcnt(0)
	v_mul_f64 v[54:55], v[58:59], v[54:55]
	v_div_scale_f64 v[56:57], null, v[54:55], v[54:55], 1.0
	v_rcp_f64_e32 v[60:61], v[56:57]
	v_fma_f64 v[62:63], -v[56:57], v[60:61], 1.0
	v_fma_f64 v[60:61], v[60:61], v[62:63], v[60:61]
	v_fma_f64 v[62:63], -v[56:57], v[60:61], 1.0
	v_fma_f64 v[60:61], v[60:61], v[62:63], v[60:61]
	v_div_scale_f64 v[62:63], vcc_lo, 1.0, v[54:55], 1.0
	v_mul_f64 v[64:65], v[62:63], v[60:61]
	v_fma_f64 v[56:57], -v[56:57], v[64:65], v[62:63]
	v_div_fmas_f64 v[56:57], v[56:57], v[60:61], v[64:65]
	v_div_fixup_f64 v[54:55], v[56:57], v[54:55], 1.0
	v_lshlrev_b64 v[56:57], 3, v[10:11]
	v_lshlrev_b64 v[10:11], 3, v[0:1]
	v_add_nc_u32_e32 v0, s4, v0
	v_add_co_u32 v60, vcc_lo, s10, v56
	v_add_co_ci_u32_e64 v61, null, s11, v57, vcc_lo
	v_add_co_u32 v56, vcc_lo, s12, v56
	v_add_co_ci_u32_e64 v57, null, s13, v57, vcc_lo
	;; [unrolled: 2-line block ×3, first 2 shown]
	global_load_dwordx2 v[60:61], v[60:61], off
	global_load_dwordx2 v[40:41], v[10:11], off
	v_mul_f64 v[54:55], v[50:51], v[54:55]
	v_min_f64 v[54:55], v[54:55], s[0:1]
	s_waitcnt vmcnt(1)
	v_mul_f64 v[54:55], v[60:61], v[54:55]
	s_waitcnt vmcnt(0)
	v_mul_f64 v[32:33], v[32:33], v[40:41]
	global_store_dwordx2 v[56:57], v[54:55], off
	v_mul_f64 v[32:33], v[6:7], v[32:33]
	v_div_scale_f64 v[40:41], null, v[32:33], v[32:33], 1.0
	v_rcp_f64_e32 v[54:55], v[40:41]
	v_fma_f64 v[56:57], -v[40:41], v[54:55], 1.0
	v_fma_f64 v[54:55], v[54:55], v[56:57], v[54:55]
	v_fma_f64 v[56:57], -v[40:41], v[54:55], 1.0
	v_fma_f64 v[54:55], v[54:55], v[56:57], v[54:55]
	v_div_scale_f64 v[56:57], vcc_lo, 1.0, v[32:33], 1.0
	v_mul_f64 v[60:61], v[56:57], v[54:55]
	v_fma_f64 v[40:41], -v[40:41], v[60:61], v[56:57]
	v_div_fmas_f64 v[40:41], v[40:41], v[54:55], v[60:61]
	v_div_fixup_f64 v[32:33], v[40:41], v[32:33], 1.0
	v_lshlrev_b64 v[40:41], 3, v[0:1]
	v_add_nc_u32_e32 v0, s2, v0
	v_mul_f64 v[32:33], v[50:51], v[32:33]
	v_add_co_u32 v50, vcc_lo, s10, v40
	v_add_co_ci_u32_e64 v51, null, s11, v41, vcc_lo
	v_add_co_u32 v40, vcc_lo, s12, v40
	v_add_co_ci_u32_e64 v41, null, s13, v41, vcc_lo
	global_load_dwordx2 v[50:51], v[50:51], off
	v_min_f64 v[32:33], v[32:33], s[0:1]
	s_waitcnt vmcnt(0)
	v_mul_f64 v[32:33], v[50:51], v[32:33]
	global_store_dwordx2 v[40:41], v[32:33], off
	v_mul_f64 v[40:41], v[48:49], v[58:59]
	v_mul_f64 v[32:33], v[46:47], v[52:53]
	v_div_scale_f64 v[46:47], null, v[40:41], v[40:41], 1.0
	v_rcp_f64_e32 v[48:49], v[46:47]
	v_fma_f64 v[50:51], -v[46:47], v[48:49], 1.0
	v_fma_f64 v[48:49], v[48:49], v[50:51], v[48:49]
	v_fma_f64 v[50:51], -v[46:47], v[48:49], 1.0
	v_fma_f64 v[48:49], v[48:49], v[50:51], v[48:49]
	v_div_scale_f64 v[50:51], vcc_lo, 1.0, v[40:41], 1.0
	v_mul_f64 v[52:53], v[50:51], v[48:49]
	v_fma_f64 v[46:47], -v[46:47], v[52:53], v[50:51]
	v_div_fmas_f64 v[46:47], v[46:47], v[48:49], v[52:53]
	v_mad_u64_u32 v[48:49], null, 0xffffff62, s2, v[0:1]
	v_mov_b32_e32 v49, v1
	v_div_fixup_f64 v[40:41], v[46:47], v[40:41], 1.0
	v_mul_f64 v[32:33], v[32:33], v[40:41]
	v_lshlrev_b64 v[40:41], 3, v[0:1]
	v_add_co_u32 v46, vcc_lo, s10, v40
	v_add_co_ci_u32_e64 v47, null, s11, v41, vcc_lo
	v_add_co_u32 v40, vcc_lo, s12, v40
	v_add_co_ci_u32_e64 v41, null, s13, v41, vcc_lo
	global_load_dwordx2 v[46:47], v[46:47], off
	v_min_f64 v[32:33], v[32:33], s[0:1]
	s_waitcnt vmcnt(0)
	v_mul_f64 v[32:33], v[32:33], v[46:47]
	global_store_dwordx2 v[40:41], v[32:33], off
	v_lshlrev_b64 v[32:33], 3, v[48:49]
	v_mul_f64 v[40:41], v[36:37], v[58:59]
	v_add_co_u32 v32, vcc_lo, s14, v32
	v_add_co_ci_u32_e64 v33, null, s15, v33, vcc_lo
	global_load_dwordx2 v[49:50], v[32:33], off
	v_mul_f64 v[46:47], v[6:7], v[40:41]
	s_waitcnt vmcnt(0)
	v_div_scale_f64 v[51:52], null, v[49:50], v[49:50], 1.0
	v_rcp_f64_e32 v[53:54], v[51:52]
	v_fma_f64 v[55:56], -v[51:52], v[53:54], 1.0
	v_fma_f64 v[53:54], v[53:54], v[55:56], v[53:54]
	v_fma_f64 v[55:56], -v[51:52], v[53:54], 1.0
	v_fma_f64 v[53:54], v[53:54], v[55:56], v[53:54]
	v_div_scale_f64 v[55:56], vcc_lo, 1.0, v[49:50], 1.0
	v_mul_f64 v[57:58], v[55:56], v[53:54]
	v_fma_f64 v[51:52], -v[51:52], v[57:58], v[55:56]
	v_div_fmas_f64 v[51:52], v[51:52], v[53:54], v[57:58]
	v_div_fixup_f64 v[49:50], v[51:52], v[49:50], 1.0
	v_mul_f64 v[46:47], v[46:47], v[49:50]
	v_mad_u64_u32 v[48:49], null, 0x9f, s2, v[48:49]
	v_mov_b32_e32 v49, v1
	v_lshlrev_b64 v[49:50], 3, v[48:49]
	v_add_nc_u32_e32 v0, s2, v48
	v_add_co_u32 v51, vcc_lo, s10, v49
	v_add_co_ci_u32_e64 v52, null, s11, v50, vcc_lo
	v_add_co_u32 v49, vcc_lo, s12, v49
	v_add_co_ci_u32_e64 v50, null, s13, v50, vcc_lo
	global_load_dwordx2 v[51:52], v[51:52], off
	v_min_f64 v[46:47], v[46:47], s[0:1]
	s_waitcnt vmcnt(0)
	v_mul_f64 v[46:47], v[51:52], v[46:47]
	global_store_dwordx2 v[49:50], v[46:47], off
	v_rcp_f64_e32 v[46:47], v[34:35]
	v_fma_f64 v[49:50], -v[34:35], v[46:47], 1.0
	v_fma_f64 v[46:47], v[46:47], v[49:50], v[46:47]
	v_fma_f64 v[49:50], -v[34:35], v[46:47], 1.0
	v_fma_f64 v[46:47], v[46:47], v[49:50], v[46:47]
	v_div_scale_f64 v[49:50], vcc_lo, 1.0, v[20:21], 1.0
	v_mul_f64 v[51:52], v[49:50], v[46:47]
	v_fma_f64 v[34:35], -v[34:35], v[51:52], v[49:50]
	v_div_fmas_f64 v[34:35], v[34:35], v[46:47], v[51:52]
	v_div_fixup_f64 v[20:21], v[34:35], v[20:21], 1.0
	v_lshlrev_b64 v[34:35], 3, v[0:1]
	v_add_nc_u32_e32 v0, s2, v0
	v_mul_f64 v[20:21], v[20:21], v[40:41]
	v_add_co_u32 v40, vcc_lo, s10, v34
	v_add_co_ci_u32_e64 v41, null, s11, v35, vcc_lo
	v_add_co_u32 v34, vcc_lo, s12, v34
	v_add_co_ci_u32_e64 v35, null, s13, v35, vcc_lo
	global_load_dwordx2 v[40:41], v[40:41], off
	v_min_f64 v[20:21], v[20:21], s[0:1]
	s_waitcnt vmcnt(0)
	v_mul_f64 v[20:21], v[20:21], v[40:41]
	global_store_dwordx2 v[34:35], v[20:21], off
	global_load_dwordx2 v[34:35], v[28:29], off
	s_waitcnt vmcnt(0)
	v_mul_f64 v[20:21], v[36:37], v[34:35]
	s_clause 0x1
	global_load_dwordx2 v[40:41], v[24:25], off
	global_load_dwordx2 v[36:37], v[2:3], off
	s_waitcnt vmcnt(0)
	v_mul_f64 v[40:41], v[40:41], v[36:37]
	v_div_scale_f64 v[46:47], null, v[40:41], v[40:41], 1.0
	v_rcp_f64_e32 v[48:49], v[46:47]
	v_fma_f64 v[50:51], -v[46:47], v[48:49], 1.0
	v_fma_f64 v[48:49], v[48:49], v[50:51], v[48:49]
	v_fma_f64 v[50:51], -v[46:47], v[48:49], 1.0
	v_fma_f64 v[48:49], v[48:49], v[50:51], v[48:49]
	v_div_scale_f64 v[50:51], vcc_lo, 1.0, v[40:41], 1.0
	v_mul_f64 v[52:53], v[50:51], v[48:49]
	v_fma_f64 v[46:47], -v[46:47], v[52:53], v[50:51]
	v_div_fmas_f64 v[46:47], v[46:47], v[48:49], v[52:53]
	v_div_fixup_f64 v[40:41], v[46:47], v[40:41], 1.0
	v_mul_f64 v[20:21], v[20:21], v[40:41]
	v_lshlrev_b64 v[40:41], 3, v[0:1]
	v_add_nc_u32_e32 v0, s3, v0
	v_add_co_u32 v46, vcc_lo, s10, v40
	v_add_co_ci_u32_e64 v47, null, s11, v41, vcc_lo
	v_add_co_u32 v40, vcc_lo, s12, v40
	v_add_co_ci_u32_e64 v41, null, s13, v41, vcc_lo
	global_load_dwordx2 v[46:47], v[46:47], off
	v_lshlrev_b64 v[48:49], 3, v[0:1]
	v_add_nc_u32_e32 v0, s4, v0
	v_min_f64 v[20:21], v[20:21], s[0:1]
	v_add_co_u32 v48, vcc_lo, s14, v48
	v_add_co_ci_u32_e64 v49, null, s15, v49, vcc_lo
	s_waitcnt vmcnt(0)
	v_mul_f64 v[20:21], v[46:47], v[20:21]
	global_store_dwordx2 v[40:41], v[20:21], off
	s_clause 0x3
	global_load_dwordx2 v[20:21], v[26:27], off
	global_load_dwordx2 v[38:39], v[38:39], off
	;; [unrolled: 1-line block ×4, first 2 shown]
	s_waitcnt vmcnt(3)
	v_mul_f64 v[20:21], v[20:21], v[34:35]
	s_waitcnt vmcnt(1)
	v_mul_f64 v[46:47], v[38:39], v[40:41]
	;; [unrolled: 2-line block ×3, first 2 shown]
	v_mul_f64 v[46:47], v[6:7], v[46:47]
	v_div_scale_f64 v[48:49], null, v[46:47], v[46:47], 1.0
	v_rcp_f64_e32 v[50:51], v[48:49]
	v_fma_f64 v[52:53], -v[48:49], v[50:51], 1.0
	v_fma_f64 v[50:51], v[50:51], v[52:53], v[50:51]
	v_fma_f64 v[52:53], -v[48:49], v[50:51], 1.0
	v_fma_f64 v[50:51], v[50:51], v[52:53], v[50:51]
	v_div_scale_f64 v[52:53], vcc_lo, 1.0, v[46:47], 1.0
	v_mul_f64 v[54:55], v[52:53], v[50:51]
	v_fma_f64 v[48:49], -v[48:49], v[54:55], v[52:53]
	v_div_fmas_f64 v[48:49], v[48:49], v[50:51], v[54:55]
	v_div_fixup_f64 v[46:47], v[48:49], v[46:47], 1.0
	v_lshlrev_b64 v[48:49], 3, v[0:1]
	v_add_nc_u32_e32 v0, s2, v0
	v_add_co_u32 v50, vcc_lo, s10, v48
	v_add_co_ci_u32_e64 v51, null, s11, v49, vcc_lo
	v_add_co_u32 v48, vcc_lo, s12, v48
	v_add_co_ci_u32_e64 v49, null, s13, v49, vcc_lo
	global_load_dwordx2 v[50:51], v[50:51], off
	v_mul_f64 v[46:47], v[20:21], v[46:47]
	v_min_f64 v[46:47], v[46:47], s[0:1]
	s_waitcnt vmcnt(0)
	v_mul_f64 v[46:47], v[50:51], v[46:47]
	global_store_dwordx2 v[48:49], v[46:47], off
	s_clause 0x4
	global_load_dwordx2 v[42:43], v[42:43], off
	global_load_dwordx2 v[12:13], v[12:13], off
	;; [unrolled: 1-line block ×5, first 2 shown]
	s_waitcnt vmcnt(3)
	v_mul_f64 v[42:43], v[42:43], v[12:13]
	s_waitcnt vmcnt(0)
	v_mul_f64 v[22:23], v[22:23], v[36:37]
	v_div_scale_f64 v[46:47], null, v[42:43], v[42:43], 1.0
	v_rcp_f64_e32 v[48:49], v[46:47]
	v_fma_f64 v[50:51], -v[46:47], v[48:49], 1.0
	v_fma_f64 v[48:49], v[48:49], v[50:51], v[48:49]
	v_fma_f64 v[50:51], -v[46:47], v[48:49], 1.0
	v_fma_f64 v[48:49], v[48:49], v[50:51], v[48:49]
	v_div_scale_f64 v[50:51], vcc_lo, 1.0, v[42:43], 1.0
	v_mul_f64 v[52:53], v[50:51], v[48:49]
	v_fma_f64 v[46:47], -v[46:47], v[52:53], v[50:51]
	v_div_fmas_f64 v[46:47], v[46:47], v[48:49], v[52:53]
	v_div_fixup_f64 v[42:43], v[46:47], v[42:43], 1.0
	v_lshlrev_b64 v[46:47], 3, v[0:1]
	v_add_nc_u32_e32 v0, s2, v0
	v_add_co_u32 v48, vcc_lo, s10, v46
	v_add_co_ci_u32_e64 v49, null, s11, v47, vcc_lo
	v_add_co_u32 v46, vcc_lo, s12, v46
	v_add_co_ci_u32_e64 v47, null, s13, v47, vcc_lo
	global_load_dwordx2 v[48:49], v[48:49], off
	v_mul_f64 v[42:43], v[20:21], v[42:43]
	v_min_f64 v[42:43], v[42:43], s[0:1]
	s_waitcnt vmcnt(0)
	v_mul_f64 v[42:43], v[48:49], v[42:43]
	global_store_dwordx2 v[46:47], v[42:43], off
	v_mul_f64 v[42:43], v[16:17], v[36:37]
	v_div_scale_f64 v[46:47], null, v[42:43], v[42:43], 1.0
	v_rcp_f64_e32 v[48:49], v[46:47]
	v_fma_f64 v[50:51], -v[46:47], v[48:49], 1.0
	v_fma_f64 v[48:49], v[48:49], v[50:51], v[48:49]
	v_fma_f64 v[50:51], -v[46:47], v[48:49], 1.0
	v_fma_f64 v[48:49], v[48:49], v[50:51], v[48:49]
	v_div_scale_f64 v[50:51], vcc_lo, 1.0, v[42:43], 1.0
	v_mul_f64 v[52:53], v[50:51], v[48:49]
	v_fma_f64 v[46:47], -v[46:47], v[52:53], v[50:51]
	v_div_fmas_f64 v[46:47], v[46:47], v[48:49], v[52:53]
	v_div_fixup_f64 v[42:43], v[46:47], v[42:43], 1.0
	v_mul_f64 v[20:21], v[20:21], v[42:43]
	v_lshlrev_b64 v[42:43], 3, v[0:1]
	v_add_nc_u32_e32 v0, s2, v0
	v_add_co_u32 v46, vcc_lo, s10, v42
	v_add_co_ci_u32_e64 v47, null, s11, v43, vcc_lo
	v_add_co_u32 v42, vcc_lo, s12, v42
	v_add_co_ci_u32_e64 v43, null, s13, v43, vcc_lo
	global_load_dwordx2 v[46:47], v[46:47], off
	v_min_f64 v[20:21], v[20:21], s[0:1]
	s_waitcnt vmcnt(0)
	v_mul_f64 v[20:21], v[46:47], v[20:21]
	global_store_dwordx2 v[42:43], v[20:21], off
	global_load_dwordx2 v[20:21], v[44:45], off
	v_mul_f64 v[42:43], v[16:17], v[34:35]
	s_waitcnt vmcnt(0)
	v_mul_f64 v[44:45], v[20:21], v[36:37]
	v_div_scale_f64 v[46:47], null, v[44:45], v[44:45], 1.0
	v_rcp_f64_e32 v[48:49], v[46:47]
	v_fma_f64 v[50:51], -v[46:47], v[48:49], 1.0
	v_fma_f64 v[48:49], v[48:49], v[50:51], v[48:49]
	v_fma_f64 v[50:51], -v[46:47], v[48:49], 1.0
	v_fma_f64 v[48:49], v[48:49], v[50:51], v[48:49]
	v_div_scale_f64 v[50:51], vcc_lo, 1.0, v[44:45], 1.0
	v_mul_f64 v[52:53], v[50:51], v[48:49]
	v_fma_f64 v[46:47], -v[46:47], v[52:53], v[50:51]
	v_div_fmas_f64 v[46:47], v[46:47], v[48:49], v[52:53]
	v_div_fixup_f64 v[44:45], v[46:47], v[44:45], 1.0
	v_mul_f64 v[42:43], v[42:43], v[44:45]
	v_lshlrev_b64 v[44:45], 3, v[0:1]
	v_add_nc_u32_e32 v0, s2, v0
	v_add_co_u32 v46, vcc_lo, s10, v44
	v_add_co_ci_u32_e64 v47, null, s11, v45, vcc_lo
	v_add_co_u32 v44, vcc_lo, s12, v44
	v_add_co_ci_u32_e64 v45, null, s13, v45, vcc_lo
	global_load_dwordx2 v[46:47], v[46:47], off
	v_min_f64 v[42:43], v[42:43], s[0:1]
	s_waitcnt vmcnt(0)
	v_mul_f64 v[42:43], v[46:47], v[42:43]
	global_store_dwordx2 v[44:45], v[42:43], off
	v_div_scale_f64 v[44:45], null, v[22:23], v[22:23], 1.0
	v_mul_f64 v[42:43], v[18:19], v[34:35]
	v_mul_f64 v[34:35], v[40:41], v[34:35]
	v_rcp_f64_e32 v[46:47], v[44:45]
	v_fma_f64 v[48:49], -v[44:45], v[46:47], 1.0
	v_fma_f64 v[46:47], v[46:47], v[48:49], v[46:47]
	v_fma_f64 v[48:49], -v[44:45], v[46:47], 1.0
	v_fma_f64 v[46:47], v[46:47], v[48:49], v[46:47]
	v_div_scale_f64 v[48:49], vcc_lo, 1.0, v[22:23], 1.0
	v_mul_f64 v[50:51], v[48:49], v[46:47]
	v_fma_f64 v[44:45], -v[44:45], v[50:51], v[48:49]
	v_div_fmas_f64 v[44:45], v[44:45], v[46:47], v[50:51]
	v_div_fixup_f64 v[22:23], v[44:45], v[22:23], 1.0
	v_mul_f64 v[22:23], v[42:43], v[22:23]
	v_lshlrev_b64 v[42:43], 3, v[0:1]
	v_add_nc_u32_e32 v0, s2, v0
	v_add_co_u32 v44, vcc_lo, s10, v42
	v_add_co_ci_u32_e64 v45, null, s11, v43, vcc_lo
	v_add_co_u32 v42, vcc_lo, s12, v42
	v_add_co_ci_u32_e64 v43, null, s13, v43, vcc_lo
	global_load_dwordx2 v[44:45], v[44:45], off
	v_min_f64 v[22:23], v[22:23], s[0:1]
	s_waitcnt vmcnt(0)
	v_mul_f64 v[22:23], v[44:45], v[22:23]
	global_store_dwordx2 v[42:43], v[22:23], off
	global_load_dwordx2 v[22:23], v[30:31], off
	s_waitcnt vmcnt(0)
	v_mul_f64 v[30:31], v[22:23], v[36:37]
	v_div_scale_f64 v[36:37], null, v[30:31], v[30:31], 1.0
	v_rcp_f64_e32 v[42:43], v[36:37]
	v_fma_f64 v[44:45], -v[36:37], v[42:43], 1.0
	v_fma_f64 v[42:43], v[42:43], v[44:45], v[42:43]
	v_fma_f64 v[44:45], -v[36:37], v[42:43], 1.0
	v_fma_f64 v[42:43], v[42:43], v[44:45], v[42:43]
	v_div_scale_f64 v[44:45], vcc_lo, 1.0, v[30:31], 1.0
	v_mul_f64 v[46:47], v[44:45], v[42:43]
	v_fma_f64 v[36:37], -v[36:37], v[46:47], v[44:45]
	v_div_fmas_f64 v[36:37], v[36:37], v[42:43], v[46:47]
	v_div_fixup_f64 v[30:31], v[36:37], v[30:31], 1.0
	v_mul_f64 v[30:31], v[34:35], v[30:31]
	v_lshlrev_b64 v[34:35], 3, v[0:1]
	v_add_nc_u32_e32 v0, s2, v0
	v_add_co_u32 v36, vcc_lo, s10, v34
	v_add_co_ci_u32_e64 v37, null, s11, v35, vcc_lo
	v_add_co_u32 v34, vcc_lo, s12, v34
	v_add_co_ci_u32_e64 v35, null, s13, v35, vcc_lo
	global_load_dwordx2 v[36:37], v[36:37], off
	v_min_f64 v[30:31], v[30:31], s[0:1]
	s_waitcnt vmcnt(0)
	v_mul_f64 v[30:31], v[36:37], v[30:31]
	global_store_dwordx2 v[34:35], v[30:31], off
	global_load_dwordx2 v[30:31], v[32:33], off
	v_mul_f64 v[34:35], v[40:41], v[12:13]
	v_div_scale_f64 v[36:37], null, v[34:35], v[34:35], 1.0
	s_waitcnt vmcnt(0)
	v_mul_f64 v[32:33], v[38:39], v[30:31]
	v_rcp_f64_e32 v[38:39], v[36:37]
	v_fma_f64 v[40:41], -v[36:37], v[38:39], 1.0
	v_fma_f64 v[38:39], v[38:39], v[40:41], v[38:39]
	v_fma_f64 v[40:41], -v[36:37], v[38:39], 1.0
	v_fma_f64 v[38:39], v[38:39], v[40:41], v[38:39]
	v_div_scale_f64 v[40:41], vcc_lo, 1.0, v[34:35], 1.0
	v_mul_f64 v[42:43], v[40:41], v[38:39]
	v_fma_f64 v[36:37], -v[36:37], v[42:43], v[40:41]
	v_div_fmas_f64 v[36:37], v[36:37], v[38:39], v[42:43]
	v_div_fixup_f64 v[34:35], v[36:37], v[34:35], 1.0
	v_lshlrev_b64 v[36:37], 3, v[0:1]
	v_add_nc_u32_e32 v0, s2, v0
	v_add_co_u32 v38, vcc_lo, s10, v36
	v_add_co_ci_u32_e64 v39, null, s11, v37, vcc_lo
	v_add_co_u32 v36, vcc_lo, s12, v36
	v_add_co_ci_u32_e64 v37, null, s13, v37, vcc_lo
	global_load_dwordx2 v[38:39], v[38:39], off
	v_mul_f64 v[34:35], v[32:33], v[34:35]
	v_min_f64 v[34:35], v[34:35], s[0:1]
	s_waitcnt vmcnt(0)
	v_mul_f64 v[34:35], v[38:39], v[34:35]
	global_store_dwordx2 v[36:37], v[34:35], off
	s_clause 0x5
	global_load_dwordx2 v[34:35], v[24:25], off
	global_load_dwordx2 v[24:25], v[28:29], off
	;; [unrolled: 1-line block ×6, first 2 shown]
	s_waitcnt vmcnt(4)
	v_mul_f64 v[28:29], v[34:35], v[24:25]
	v_mul_f64 v[20:21], v[20:21], v[24:25]
	s_waitcnt vmcnt(2)
	v_mul_f64 v[26:27], v[26:27], v[30:31]
	s_waitcnt vmcnt(1)
	v_mul_f64 v[14:15], v[14:15], v[30:31]
	v_div_scale_f64 v[34:35], null, v[28:29], v[28:29], 1.0
	v_rcp_f64_e32 v[36:37], v[34:35]
	v_fma_f64 v[38:39], -v[34:35], v[36:37], 1.0
	v_fma_f64 v[36:37], v[36:37], v[38:39], v[36:37]
	v_fma_f64 v[38:39], -v[34:35], v[36:37], 1.0
	v_fma_f64 v[36:37], v[36:37], v[38:39], v[36:37]
	v_div_scale_f64 v[38:39], vcc_lo, 1.0, v[28:29], 1.0
	v_mul_f64 v[40:41], v[38:39], v[36:37]
	v_fma_f64 v[34:35], -v[34:35], v[40:41], v[38:39]
	v_div_fmas_f64 v[34:35], v[34:35], v[36:37], v[40:41]
	v_div_fixup_f64 v[28:29], v[34:35], v[28:29], 1.0
	v_mul_f64 v[28:29], v[32:33], v[28:29]
	v_lshlrev_b64 v[32:33], 3, v[0:1]
	v_add_nc_u32_e32 v0, s2, v0
	v_add_co_u32 v34, vcc_lo, s10, v32
	v_add_co_ci_u32_e64 v35, null, s11, v33, vcc_lo
	v_add_co_u32 v32, vcc_lo, s12, v32
	v_add_co_ci_u32_e64 v33, null, s13, v33, vcc_lo
	global_load_dwordx2 v[34:35], v[34:35], off
	v_min_f64 v[28:29], v[28:29], s[0:1]
	s_waitcnt vmcnt(0)
	v_mul_f64 v[28:29], v[34:35], v[28:29]
	global_store_dwordx2 v[32:33], v[28:29], off
	v_mul_f64 v[28:29], v[8:9], v[12:13]
	v_mul_f64 v[8:9], v[16:17], v[8:9]
	v_div_scale_f64 v[32:33], null, v[28:29], v[28:29], 1.0
	v_mul_f64 v[8:9], v[8:9], v[12:13]
	v_rcp_f64_e32 v[34:35], v[32:33]
	v_mul_f64 v[6:7], v[6:7], v[8:9]
	v_fma_f64 v[36:37], -v[32:33], v[34:35], 1.0
	v_div_scale_f64 v[8:9], null, v[6:7], v[6:7], 1.0
	v_fma_f64 v[34:35], v[34:35], v[36:37], v[34:35]
	v_fma_f64 v[36:37], -v[32:33], v[34:35], 1.0
	v_fma_f64 v[34:35], v[34:35], v[36:37], v[34:35]
	v_div_scale_f64 v[36:37], vcc_lo, 1.0, v[28:29], 1.0
	v_mul_f64 v[38:39], v[36:37], v[34:35]
	v_fma_f64 v[32:33], -v[32:33], v[38:39], v[36:37]
	v_div_fmas_f64 v[32:33], v[32:33], v[34:35], v[38:39]
	v_div_fixup_f64 v[28:29], v[32:33], v[28:29], 1.0
	v_mul_f64 v[26:27], v[26:27], v[28:29]
	v_lshlrev_b64 v[28:29], 3, v[0:1]
	v_add_nc_u32_e32 v0, s2, v0
	v_add_co_u32 v32, vcc_lo, s10, v28
	v_add_co_ci_u32_e64 v33, null, s11, v29, vcc_lo
	v_add_co_u32 v28, vcc_lo, s12, v28
	v_add_co_ci_u32_e64 v29, null, s13, v29, vcc_lo
	global_load_dwordx2 v[32:33], v[32:33], off
	v_min_f64 v[26:27], v[26:27], s[0:1]
	s_waitcnt vmcnt(0)
	v_mul_f64 v[26:27], v[32:33], v[26:27]
	global_store_dwordx2 v[28:29], v[26:27], off
	v_div_scale_f64 v[28:29], null, v[20:21], v[20:21], 1.0
	v_mul_f64 v[26:27], v[16:17], v[30:31]
	v_rcp_f64_e32 v[16:17], v[8:9]
	v_rcp_f64_e32 v[32:33], v[28:29]
	v_fma_f64 v[34:35], -v[28:29], v[32:33], 1.0
	v_fma_f64 v[32:33], v[32:33], v[34:35], v[32:33]
	v_fma_f64 v[34:35], -v[28:29], v[32:33], 1.0
	v_fma_f64 v[32:33], v[32:33], v[34:35], v[32:33]
	v_div_scale_f64 v[34:35], vcc_lo, 1.0, v[20:21], 1.0
	v_mul_f64 v[36:37], v[34:35], v[32:33]
	v_fma_f64 v[28:29], -v[28:29], v[36:37], v[34:35]
	v_div_fmas_f64 v[28:29], v[28:29], v[32:33], v[36:37]
	v_div_fixup_f64 v[20:21], v[28:29], v[20:21], 1.0
	v_mul_f64 v[20:21], v[26:27], v[20:21]
	v_lshlrev_b64 v[26:27], 3, v[0:1]
	v_add_nc_u32_e32 v0, s2, v0
	v_add_co_u32 v28, vcc_lo, s10, v26
	v_add_co_ci_u32_e64 v29, null, s11, v27, vcc_lo
	v_add_co_u32 v26, vcc_lo, s12, v26
	v_add_co_ci_u32_e64 v27, null, s13, v27, vcc_lo
	global_load_dwordx2 v[28:29], v[28:29], off
	v_min_f64 v[20:21], v[20:21], s[0:1]
	s_waitcnt vmcnt(0)
	v_mul_f64 v[20:21], v[28:29], v[20:21]
	global_store_dwordx2 v[26:27], v[20:21], off
	v_mul_f64 v[20:21], v[18:19], v[24:25]
	v_div_scale_f64 v[26:27], null, v[20:21], v[20:21], 1.0
	v_rcp_f64_e32 v[28:29], v[26:27]
	v_fma_f64 v[32:33], -v[26:27], v[28:29], 1.0
	v_fma_f64 v[28:29], v[28:29], v[32:33], v[28:29]
	v_fma_f64 v[32:33], -v[26:27], v[28:29], 1.0
	v_fma_f64 v[28:29], v[28:29], v[32:33], v[28:29]
	v_div_scale_f64 v[32:33], vcc_lo, 1.0, v[20:21], 1.0
	v_mul_f64 v[34:35], v[32:33], v[28:29]
	v_fma_f64 v[26:27], -v[26:27], v[34:35], v[32:33]
	v_div_fmas_f64 v[26:27], v[26:27], v[28:29], v[34:35]
	v_div_fixup_f64 v[20:21], v[26:27], v[20:21], 1.0
	v_mul_f64 v[14:15], v[14:15], v[20:21]
	v_lshlrev_b64 v[20:21], 3, v[0:1]
	v_add_nc_u32_e32 v0, s2, v0
	v_add_co_u32 v26, vcc_lo, s10, v20
	v_add_co_ci_u32_e64 v27, null, s11, v21, vcc_lo
	v_add_co_u32 v20, vcc_lo, s12, v20
	v_add_co_ci_u32_e64 v21, null, s13, v21, vcc_lo
	global_load_dwordx2 v[26:27], v[26:27], off
	v_min_f64 v[14:15], v[14:15], s[0:1]
	s_waitcnt vmcnt(0)
	v_mul_f64 v[14:15], v[26:27], v[14:15]
	global_store_dwordx2 v[20:21], v[14:15], off
	v_mul_f64 v[14:15], v[18:19], v[30:31]
	v_fma_f64 v[18:19], -v[8:9], v[16:17], 1.0
	v_fma_f64 v[16:17], v[16:17], v[18:19], v[16:17]
	v_fma_f64 v[18:19], -v[8:9], v[16:17], 1.0
	v_fma_f64 v[16:17], v[16:17], v[18:19], v[16:17]
	v_div_scale_f64 v[18:19], vcc_lo, 1.0, v[6:7], 1.0
	v_mul_f64 v[20:21], v[18:19], v[16:17]
	v_fma_f64 v[8:9], -v[8:9], v[20:21], v[18:19]
	v_div_fmas_f64 v[8:9], v[8:9], v[16:17], v[20:21]
	v_div_fixup_f64 v[6:7], v[8:9], v[6:7], 1.0
	v_lshlrev_b64 v[8:9], 3, v[0:1]
	v_add_nc_u32_e32 v0, s2, v0
	v_mul_f64 v[6:7], v[14:15], v[6:7]
	v_add_co_u32 v14, vcc_lo, s10, v8
	v_add_co_ci_u32_e64 v15, null, s11, v9, vcc_lo
	v_add_co_u32 v8, vcc_lo, s12, v8
	v_add_co_ci_u32_e64 v9, null, s13, v9, vcc_lo
	global_load_dwordx2 v[14:15], v[14:15], off
	v_min_f64 v[6:7], v[6:7], s[0:1]
	s_waitcnt vmcnt(0)
	v_mul_f64 v[6:7], v[14:15], v[6:7]
	global_store_dwordx2 v[8:9], v[6:7], off
	global_load_dwordx2 v[6:7], v[4:5], off
	v_mul_f64 v[8:9], v[22:23], v[24:25]
	v_div_scale_f64 v[14:15], null, v[8:9], v[8:9], 1.0
	v_rcp_f64_e32 v[16:17], v[14:15]
	v_fma_f64 v[18:19], -v[14:15], v[16:17], 1.0
	v_fma_f64 v[16:17], v[16:17], v[18:19], v[16:17]
	v_fma_f64 v[18:19], -v[14:15], v[16:17], 1.0
	v_fma_f64 v[16:17], v[16:17], v[18:19], v[16:17]
	v_div_scale_f64 v[18:19], vcc_lo, 1.0, v[8:9], 1.0
	v_mul_f64 v[20:21], v[18:19], v[16:17]
	v_fma_f64 v[14:15], -v[14:15], v[20:21], v[18:19]
	v_div_fmas_f64 v[14:15], v[14:15], v[16:17], v[20:21]
	v_div_fixup_f64 v[8:9], v[14:15], v[8:9], 1.0
	s_waitcnt vmcnt(0)
	v_mul_f64 v[4:5], v[6:7], v[30:31]
	v_mul_f64 v[2:3], v[6:7], v[2:3]
	;; [unrolled: 1-line block ×3, first 2 shown]
	v_lshlrev_b64 v[8:9], 3, v[0:1]
	v_div_scale_f64 v[6:7], null, v[2:3], v[2:3], 1.0
	v_add_nc_u32_e32 v0, s2, v0
	v_add_co_u32 v14, vcc_lo, s10, v8
	v_add_co_ci_u32_e64 v15, null, s11, v9, vcc_lo
	v_add_co_u32 v8, vcc_lo, s12, v8
	v_add_co_ci_u32_e64 v9, null, s13, v9, vcc_lo
	global_load_dwordx2 v[14:15], v[14:15], off
	v_lshlrev_b64 v[0:1], 3, v[0:1]
	v_min_f64 v[4:5], v[4:5], s[0:1]
	s_waitcnt vmcnt(0)
	v_mul_f64 v[4:5], v[14:15], v[4:5]
	global_store_dwordx2 v[8:9], v[4:5], off
	global_load_dwordx2 v[4:5], v[10:11], off
	v_rcp_f64_e32 v[8:9], v[6:7]
	v_fma_f64 v[10:11], -v[6:7], v[8:9], 1.0
	v_fma_f64 v[8:9], v[8:9], v[10:11], v[8:9]
	v_fma_f64 v[10:11], -v[6:7], v[8:9], 1.0
	v_fma_f64 v[8:9], v[8:9], v[10:11], v[8:9]
	v_div_scale_f64 v[10:11], vcc_lo, 1.0, v[2:3], 1.0
	s_waitcnt vmcnt(0)
	v_mul_f64 v[4:5], v[4:5], v[12:13]
	v_mul_f64 v[12:13], v[10:11], v[8:9]
	v_fma_f64 v[6:7], -v[6:7], v[12:13], v[10:11]
	v_div_fmas_f64 v[6:7], v[6:7], v[8:9], v[12:13]
	v_div_fixup_f64 v[2:3], v[6:7], v[2:3], 1.0
	v_mul_f64 v[2:3], v[4:5], v[2:3]
	v_add_co_u32 v4, vcc_lo, s10, v0
	v_add_co_ci_u32_e64 v5, null, s11, v1, vcc_lo
	v_add_co_u32 v0, vcc_lo, s12, v0
	v_add_co_ci_u32_e64 v1, null, s13, v1, vcc_lo
	global_load_dwordx2 v[4:5], v[4:5], off
	v_min_f64 v[2:3], v[2:3], s[0:1]
	s_waitcnt vmcnt(0)
	v_mul_f64 v[2:3], v[4:5], v[2:3]
	global_store_dwordx2 v[0:1], v[2:3], off
	s_endpgm
	.section	.rodata,"a",@progbits
	.p2align	6, 0x0
	.amdhsa_kernel _Z12ratt9_kernelIdEvPKT_S2_PS0_S2_S0_
		.amdhsa_group_segment_fixed_size 0
		.amdhsa_private_segment_fixed_size 0
		.amdhsa_kernarg_size 296
		.amdhsa_user_sgpr_count 6
		.amdhsa_user_sgpr_private_segment_buffer 1
		.amdhsa_user_sgpr_dispatch_ptr 0
		.amdhsa_user_sgpr_queue_ptr 0
		.amdhsa_user_sgpr_kernarg_segment_ptr 1
		.amdhsa_user_sgpr_dispatch_id 0
		.amdhsa_user_sgpr_flat_scratch_init 0
		.amdhsa_user_sgpr_private_segment_size 0
		.amdhsa_wavefront_size32 1
		.amdhsa_uses_dynamic_stack 0
		.amdhsa_system_sgpr_private_segment_wavefront_offset 0
		.amdhsa_system_sgpr_workgroup_id_x 1
		.amdhsa_system_sgpr_workgroup_id_y 0
		.amdhsa_system_sgpr_workgroup_id_z 0
		.amdhsa_system_sgpr_workgroup_info 0
		.amdhsa_system_vgpr_workitem_id 0
		.amdhsa_next_free_vgpr 66
		.amdhsa_next_free_sgpr 16
		.amdhsa_reserve_vcc 1
		.amdhsa_reserve_flat_scratch 0
		.amdhsa_float_round_mode_32 0
		.amdhsa_float_round_mode_16_64 0
		.amdhsa_float_denorm_mode_32 3
		.amdhsa_float_denorm_mode_16_64 3
		.amdhsa_dx10_clamp 1
		.amdhsa_ieee_mode 1
		.amdhsa_fp16_overflow 0
		.amdhsa_workgroup_processor_mode 1
		.amdhsa_memory_ordered 1
		.amdhsa_forward_progress 1
		.amdhsa_shared_vgpr_count 0
		.amdhsa_exception_fp_ieee_invalid_op 0
		.amdhsa_exception_fp_denorm_src 0
		.amdhsa_exception_fp_ieee_div_zero 0
		.amdhsa_exception_fp_ieee_overflow 0
		.amdhsa_exception_fp_ieee_underflow 0
		.amdhsa_exception_fp_ieee_inexact 0
		.amdhsa_exception_int_div_zero 0
	.end_amdhsa_kernel
	.section	.text._Z12ratt9_kernelIdEvPKT_S2_PS0_S2_S0_,"axG",@progbits,_Z12ratt9_kernelIdEvPKT_S2_PS0_S2_S0_,comdat
.Lfunc_end37:
	.size	_Z12ratt9_kernelIdEvPKT_S2_PS0_S2_S0_, .Lfunc_end37-_Z12ratt9_kernelIdEvPKT_S2_PS0_S2_S0_
                                        ; -- End function
	.set _Z12ratt9_kernelIdEvPKT_S2_PS0_S2_S0_.num_vgpr, 66
	.set _Z12ratt9_kernelIdEvPKT_S2_PS0_S2_S0_.num_agpr, 0
	.set _Z12ratt9_kernelIdEvPKT_S2_PS0_S2_S0_.numbered_sgpr, 16
	.set _Z12ratt9_kernelIdEvPKT_S2_PS0_S2_S0_.num_named_barrier, 0
	.set _Z12ratt9_kernelIdEvPKT_S2_PS0_S2_S0_.private_seg_size, 0
	.set _Z12ratt9_kernelIdEvPKT_S2_PS0_S2_S0_.uses_vcc, 1
	.set _Z12ratt9_kernelIdEvPKT_S2_PS0_S2_S0_.uses_flat_scratch, 0
	.set _Z12ratt9_kernelIdEvPKT_S2_PS0_S2_S0_.has_dyn_sized_stack, 0
	.set _Z12ratt9_kernelIdEvPKT_S2_PS0_S2_S0_.has_recursion, 0
	.set _Z12ratt9_kernelIdEvPKT_S2_PS0_S2_S0_.has_indirect_call, 0
	.section	.AMDGPU.csdata,"",@progbits
; Kernel info:
; codeLenInByte = 7556
; TotalNumSgprs: 18
; NumVgprs: 66
; ScratchSize: 0
; MemoryBound: 0
; FloatMode: 240
; IeeeMode: 1
; LDSByteSize: 0 bytes/workgroup (compile time only)
; SGPRBlocks: 0
; VGPRBlocks: 8
; NumSGPRsForWavesPerEU: 18
; NumVGPRsForWavesPerEU: 66
; Occupancy: 12
; WaveLimiterHint : 0
; COMPUTE_PGM_RSRC2:SCRATCH_EN: 0
; COMPUTE_PGM_RSRC2:USER_SGPR: 6
; COMPUTE_PGM_RSRC2:TRAP_HANDLER: 0
; COMPUTE_PGM_RSRC2:TGID_X_EN: 1
; COMPUTE_PGM_RSRC2:TGID_Y_EN: 0
; COMPUTE_PGM_RSRC2:TGID_Z_EN: 0
; COMPUTE_PGM_RSRC2:TIDIG_COMP_CNT: 0
	.section	.text._Z13ratt10_kernelIdEvPKT_PS0_S0_,"axG",@progbits,_Z13ratt10_kernelIdEvPKT_PS0_S0_,comdat
	.protected	_Z13ratt10_kernelIdEvPKT_PS0_S0_ ; -- Begin function _Z13ratt10_kernelIdEvPKT_PS0_S0_
	.globl	_Z13ratt10_kernelIdEvPKT_PS0_S0_
	.p2align	8
	.type	_Z13ratt10_kernelIdEvPKT_PS0_S0_,@function
_Z13ratt10_kernelIdEvPKT_PS0_S0_:       ; @_Z13ratt10_kernelIdEvPKT_PS0_S0_
; %bb.0:
	s_clause 0x3
	s_load_dwordx4 s[0:3], s[4:5], 0x0
	s_load_dwordx2 s[8:9], s[4:5], 0x10
	s_load_dword s30, s[4:5], 0x18
	s_load_dword s4, s[4:5], 0x24
	s_mov_b32 s10, 0xfca7ab0c
	s_mov_b32 s12, 0x6a5dcb37
	;; [unrolled: 1-line block ×19, first 2 shown]
	s_waitcnt lgkmcnt(0)
	s_and_b32 s31, s4, 0xffff
	s_mov_b32 s4, 0x6b47b09a
	v_mad_u64_u32 v[0:1], null, s6, s31, v[0:1]
	v_mov_b32_e32 v1, 0
	s_mov_b32 s6, 0xbf559e2b
	s_mov_b32 s5, 0x3fc38538
	;; [unrolled: 1-line block ×5, first 2 shown]
	v_lshlrev_b64 v[6:7], 3, v[0:1]
	s_mov_b32 s35, 0xc00b5c28
	s_mov_b32 s36, 0xcc5e120
	;; [unrolled: 1-line block ×5, first 2 shown]
	v_add_co_u32 v2, vcc_lo, s0, v6
	v_add_co_ci_u32_e64 v3, null, s1, v7, vcc_lo
	s_mov_b32 s1, 0x3fe55555
	s_mov_b32 s0, 0x55555555
	;; [unrolled: 1-line block ×3, first 2 shown]
	global_load_dwordx2 v[2:3], v[2:3], off
	s_mov_b32 s41, 0xc0130a3d
	s_waitcnt vmcnt(0)
	v_mul_f64 v[4:5], s[8:9], v[2:3]
	s_mov_b32 s8, 0xcccccccd
	s_mov_b32 s9, 0xbfeccccc
	v_frexp_mant_f64_e32 v[2:3], v[4:5]
	v_frexp_exp_i32_f64_e32 v8, v[4:5]
	v_cmp_gt_f64_e32 vcc_lo, s[0:1], v[2:3]
	s_mov_b32 s0, 0x55555780
	v_cndmask_b32_e64 v9, 0, 1, vcc_lo
	v_subrev_co_ci_u32_e64 v20, null, 0, v8, vcc_lo
	v_cmp_class_f64_e64 vcc_lo, v[4:5], 0x204
	v_ldexp_f64 v[2:3], v[2:3], v9
	v_add_f64 v[10:11], v[2:3], 1.0
	v_add_f64 v[8:9], v[2:3], -1.0
	v_add_f64 v[12:13], v[10:11], -1.0
	v_add_f64 v[2:3], v[2:3], -v[12:13]
	v_rcp_f64_e32 v[12:13], v[10:11]
	v_fma_f64 v[14:15], -v[10:11], v[12:13], 1.0
	v_fma_f64 v[12:13], v[14:15], v[12:13], v[12:13]
	v_fma_f64 v[14:15], -v[10:11], v[12:13], 1.0
	v_fma_f64 v[12:13], v[14:15], v[12:13], v[12:13]
	v_mul_f64 v[14:15], v[8:9], v[12:13]
	v_mul_f64 v[16:17], v[10:11], v[14:15]
	v_fma_f64 v[10:11], v[14:15], v[10:11], -v[16:17]
	v_fma_f64 v[2:3], v[14:15], v[2:3], v[10:11]
	v_add_f64 v[10:11], v[16:17], v[2:3]
	v_add_f64 v[18:19], v[8:9], -v[10:11]
	v_add_f64 v[16:17], v[10:11], -v[16:17]
	v_add_f64 v[8:9], v[8:9], -v[18:19]
	v_add_f64 v[2:3], v[16:17], -v[2:3]
	v_add_f64 v[8:9], v[8:9], -v[10:11]
	v_add_f64 v[2:3], v[2:3], v[8:9]
	v_add_f64 v[2:3], v[18:19], v[2:3]
	v_mul_f64 v[2:3], v[12:13], v[2:3]
	v_add_f64 v[8:9], v[14:15], v[2:3]
	v_add_f64 v[10:11], v[8:9], -v[14:15]
	v_ldexp_f64 v[14:15], v[8:9], 1
	v_add_f64 v[2:3], v[2:3], -v[10:11]
	v_mul_f64 v[10:11], v[8:9], v[8:9]
	v_ldexp_f64 v[2:3], v[2:3], 1
	v_fma_f64 v[12:13], v[10:11], s[6:7], s[4:5]
	s_mov_b32 s4, 0xd7f4df2e
	s_mov_b32 s5, 0x3fc7474d
	v_mul_f64 v[8:9], v[8:9], v[10:11]
	s_mov_b32 s7, 0x3c7abc9e
	s_mov_b32 s6, 0x3b39803f
	v_fma_f64 v[12:13], v[10:11], v[12:13], s[4:5]
	s_mov_b32 s4, 0x16291751
	s_mov_b32 s5, 0x3fcc71c0
	v_fma_f64 v[12:13], v[10:11], v[12:13], s[4:5]
	;; [unrolled: 3-line block ×5, first 2 shown]
	s_mov_b32 s0, 0xb7549584
	s_mov_b32 s1, 0x404523c4
	v_mul_f64 v[8:9], v[8:9], v[12:13]
	v_add_f64 v[10:11], v[14:15], v[8:9]
	v_add_f64 v[12:13], v[10:11], -v[14:15]
	v_add_f64 v[8:9], v[8:9], -v[12:13]
	v_add_f64 v[2:3], v[2:3], v[8:9]
	v_add_f64 v[8:9], v[10:11], v[2:3]
	v_add_f64 v[10:11], v[8:9], -v[10:11]
	v_add_f64 v[2:3], v[2:3], -v[10:11]
	v_cvt_f64_i32_e32 v[10:11], v20
	v_mul_f64 v[12:13], v[10:11], s[4:5]
	v_fma_f64 v[14:15], v[10:11], s[4:5], -v[12:13]
	s_mov_b32 s5, 0xbfe62e42
	v_fma_f64 v[10:11], v[10:11], s[6:7], v[14:15]
	s_mov_b32 s7, 0xbc7abc9e
	v_add_f64 v[14:15], v[12:13], v[10:11]
	v_add_f64 v[12:13], v[14:15], -v[12:13]
	v_add_f64 v[10:11], v[10:11], -v[12:13]
	v_add_f64 v[12:13], v[14:15], v[8:9]
	v_add_f64 v[16:17], v[12:13], -v[14:15]
	v_add_f64 v[18:19], v[12:13], -v[16:17]
	;; [unrolled: 1-line block ×4, first 2 shown]
	v_add_f64 v[8:9], v[8:9], v[14:15]
	v_add_f64 v[14:15], v[10:11], v[2:3]
	v_add_f64 v[16:17], v[14:15], -v[10:11]
	v_add_f64 v[8:9], v[14:15], v[8:9]
	v_add_f64 v[18:19], v[14:15], -v[16:17]
	v_add_f64 v[2:3], v[2:3], -v[16:17]
	;; [unrolled: 1-line block ×3, first 2 shown]
	v_add_f64 v[2:3], v[2:3], v[10:11]
	v_add_f64 v[10:11], v[12:13], v[8:9]
	v_add_f64 v[12:13], v[10:11], -v[12:13]
	v_add_f64 v[8:9], v[8:9], -v[12:13]
	v_add_f64 v[2:3], v[2:3], v[8:9]
	v_add_f64 v[2:3], v[10:11], v[2:3]
	v_div_scale_f64 v[10:11], null, v[4:5], v[4:5], 1.0
	v_cndmask_b32_e32 v2, v2, v4, vcc_lo
	v_rcp_f64_e32 v[12:13], v[10:11]
	v_cndmask_b32_e32 v3, v3, v5, vcc_lo
	v_cmp_ngt_f64_e32 vcc_lo, 0, v[4:5]
	v_cndmask_b32_e32 v3, 0x7ff80000, v3, vcc_lo
	v_fma_f64 v[14:15], -v[10:11], v[12:13], 1.0
	v_cmp_nge_f64_e32 vcc_lo, 0, v[4:5]
	v_fma_f64 v[12:13], v[12:13], v[14:15], v[12:13]
	v_cndmask_b32_e32 v2, 0, v2, vcc_lo
	v_cmp_neq_f64_e32 vcc_lo, 0, v[4:5]
	v_fma_f64 v[14:15], -v[10:11], v[12:13], 1.0
	v_cndmask_b32_e32 v3, 0xfff00000, v3, vcc_lo
	v_fma_f64 v[8:9], v[2:3], s[8:9], s[0:1]
	s_mov_b32 s0, 0x266ba494
	s_mov_b32 s1, 0x408abbbf
	;; [unrolled: 1-line block ×4, first 2 shown]
	v_fma_f64 v[12:13], v[12:13], v[14:15], v[12:13]
	v_div_scale_f64 v[14:15], vcc_lo, 1.0, v[4:5], 1.0
	v_mul_f64 v[16:17], v[14:15], v[12:13]
	v_fma_f64 v[10:11], -v[10:11], v[16:17], v[14:15]
	v_div_fmas_f64 v[10:11], v[10:11], v[12:13], v[16:17]
	v_div_fixup_f64 v[4:5], v[10:11], v[4:5], 1.0
	v_fma_f64 v[8:9], v[4:5], s[0:1], v[8:9]
	v_mul_f64 v[10:11], v[8:9], s[8:9]
	v_cmp_nlt_f64_e32 vcc_lo, 0x40900000, v[8:9]
	v_cmp_ngt_f64_e64 s0, 0xc090cc00, v[8:9]
	v_rndne_f64_e32 v[10:11], v[10:11]
	v_fma_f64 v[12:13], v[10:11], s[4:5], v[8:9]
	v_fma_f64 v[12:13], v[10:11], s[6:7], v[12:13]
	v_cvt_i32_f64_e32 v10, v[10:11]
	v_fma_f64 v[14:15], v[12:13], s[12:13], s[10:11]
	v_fma_f64 v[14:15], v[12:13], v[14:15], s[14:15]
	;; [unrolled: 1-line block ×9, first 2 shown]
	v_fma_f64 v[14:15], v[12:13], v[14:15], 1.0
	v_fma_f64 v[12:13], v[12:13], v[14:15], 1.0
	v_ldexp_f64 v[10:11], v[12:13], v10
	v_cndmask_b32_e32 v11, 0x7ff00000, v11, vcc_lo
	s_and_b32 vcc_lo, s0, vcc_lo
	v_cndmask_b32_e32 v8, 0, v10, vcc_lo
	v_add_co_u32 v6, vcc_lo, s2, v6
	v_cndmask_b32_e64 v9, 0, v11, s0
	v_add_co_ci_u32_e64 v7, null, s3, v7, vcc_lo
	s_mov_b32 s0, 0x8e49da3f
	s_mov_b32 s1, 0x404fe585
	global_store_dwordx2 v[6:7], v[8:9], off
	v_fma_f64 v[6:7], v[2:3], s[34:35], s[0:1]
	s_mov_b32 s0, 0x6dc5d639
	s_mov_b32 s1, 0xc0e4b9ca
	;; [unrolled: 1-line block ×4, first 2 shown]
	v_fma_f64 v[6:7], v[4:5], s[0:1], v[6:7]
	s_mul_i32 s1, s30, s31
	s_mov_b32 s30, 0x28d78f9e
	v_add_nc_u32_e32 v0, s1, v0
	s_mov_b32 s31, 0x40505d90
	v_mul_f64 v[8:9], v[6:7], s[8:9]
	v_cmp_nlt_f64_e32 vcc_lo, 0x40900000, v[6:7]
	v_cmp_ngt_f64_e64 s0, 0xc090cc00, v[6:7]
	v_rndne_f64_e32 v[8:9], v[8:9]
	v_fma_f64 v[10:11], v[8:9], s[4:5], v[6:7]
	v_fma_f64 v[10:11], v[8:9], s[6:7], v[10:11]
	v_cvt_i32_f64_e32 v8, v[8:9]
	v_fma_f64 v[12:13], v[10:11], s[12:13], s[10:11]
	v_fma_f64 v[12:13], v[10:11], v[12:13], s[14:15]
	;; [unrolled: 1-line block ×9, first 2 shown]
	v_fma_f64 v[12:13], v[10:11], v[12:13], 1.0
	v_fma_f64 v[10:11], v[10:11], v[12:13], 1.0
	v_ldexp_f64 v[8:9], v[10:11], v8
	v_cndmask_b32_e32 v9, 0x7ff00000, v9, vcc_lo
	s_and_b32 vcc_lo, s0, vcc_lo
	v_cndmask_b32_e32 v6, 0, v8, vcc_lo
	v_cndmask_b32_e64 v7, 0, v9, s0
	v_lshlrev_b64 v[8:9], 3, v[0:1]
	v_add_nc_u32_e32 v0, s1, v0
	v_add_co_u32 v8, vcc_lo, s2, v8
	v_add_co_ci_u32_e64 v9, null, s3, v9, vcc_lo
	global_store_dwordx2 v[8:9], v[6:7], off
	v_fma_f64 v[6:7], v[2:3], s[34:35], s[30:31]
	s_mov_b32 s30, 0xdb445ed5
	s_mov_b32 s31, 0xc08e71d1
	;; [unrolled: 1-line block ×4, first 2 shown]
	v_fma_f64 v[6:7], v[4:5], s[30:31], v[6:7]
	s_mov_b32 s30, 0x6d24c689
	s_mov_b32 s31, 0x404bc7f4
	v_mul_f64 v[8:9], v[6:7], s[8:9]
	v_cmp_nlt_f64_e32 vcc_lo, 0x40900000, v[6:7]
	v_cmp_ngt_f64_e64 s0, 0xc090cc00, v[6:7]
	v_rndne_f64_e32 v[8:9], v[8:9]
	v_fma_f64 v[10:11], v[8:9], s[4:5], v[6:7]
	v_fma_f64 v[10:11], v[8:9], s[6:7], v[10:11]
	v_cvt_i32_f64_e32 v8, v[8:9]
	v_fma_f64 v[12:13], v[10:11], s[12:13], s[10:11]
	v_fma_f64 v[12:13], v[10:11], v[12:13], s[14:15]
	v_fma_f64 v[12:13], v[10:11], v[12:13], s[16:17]
	v_fma_f64 v[12:13], v[10:11], v[12:13], s[18:19]
	v_fma_f64 v[12:13], v[10:11], v[12:13], s[20:21]
	v_fma_f64 v[12:13], v[10:11], v[12:13], s[22:23]
	v_fma_f64 v[12:13], v[10:11], v[12:13], s[24:25]
	v_fma_f64 v[12:13], v[10:11], v[12:13], s[26:27]
	v_fma_f64 v[12:13], v[10:11], v[12:13], s[28:29]
	v_fma_f64 v[12:13], v[10:11], v[12:13], 1.0
	v_fma_f64 v[10:11], v[10:11], v[12:13], 1.0
	v_ldexp_f64 v[8:9], v[10:11], v8
	v_cndmask_b32_e32 v9, 0x7ff00000, v9, vcc_lo
	s_and_b32 vcc_lo, s0, vcc_lo
	v_cndmask_b32_e32 v6, 0, v8, vcc_lo
	v_cndmask_b32_e64 v7, 0, v9, s0
	v_lshlrev_b64 v[8:9], 3, v[0:1]
	v_add_nc_u32_e32 v0, s1, v0
	v_add_co_u32 v8, vcc_lo, s2, v8
	v_add_co_ci_u32_e64 v9, null, s3, v9, vcc_lo
	global_store_dwordx2 v[8:9], v[6:7], off
	v_fma_f64 v[6:7], v[2:3], s[34:35], s[30:31]
	s_mov_b32 s30, 0x85a4f00f
	s_mov_b32 s31, 0xc08668ab
	s_mov_b32 s35, 0xc01e8f5c
	v_fma_f64 v[6:7], v[4:5], s[30:31], v[6:7]
	s_mov_b32 s31, 0xc0091eb8
	s_mov_b32 s30, 0x51eb851f
	v_mul_f64 v[8:9], v[6:7], s[8:9]
	v_cmp_nlt_f64_e32 vcc_lo, 0x40900000, v[6:7]
	v_cmp_ngt_f64_e64 s0, 0xc090cc00, v[6:7]
	v_rndne_f64_e32 v[8:9], v[8:9]
	v_fma_f64 v[10:11], v[8:9], s[4:5], v[6:7]
	v_fma_f64 v[10:11], v[8:9], s[6:7], v[10:11]
	v_cvt_i32_f64_e32 v8, v[8:9]
	v_fma_f64 v[12:13], v[10:11], s[12:13], s[10:11]
	v_fma_f64 v[12:13], v[10:11], v[12:13], s[14:15]
	v_fma_f64 v[12:13], v[10:11], v[12:13], s[16:17]
	v_fma_f64 v[12:13], v[10:11], v[12:13], s[18:19]
	v_fma_f64 v[12:13], v[10:11], v[12:13], s[20:21]
	v_fma_f64 v[12:13], v[10:11], v[12:13], s[22:23]
	v_fma_f64 v[12:13], v[10:11], v[12:13], s[24:25]
	v_fma_f64 v[12:13], v[10:11], v[12:13], s[26:27]
	v_fma_f64 v[12:13], v[10:11], v[12:13], s[28:29]
	v_fma_f64 v[12:13], v[10:11], v[12:13], 1.0
	v_fma_f64 v[10:11], v[10:11], v[12:13], 1.0
	v_ldexp_f64 v[8:9], v[10:11], v8
	v_cndmask_b32_e32 v9, 0x7ff00000, v9, vcc_lo
	s_and_b32 vcc_lo, s0, vcc_lo
	v_cndmask_b32_e32 v6, 0, v8, vcc_lo
	v_cndmask_b32_e64 v7, 0, v9, s0
	v_lshlrev_b64 v[8:9], 3, v[0:1]
	v_add_nc_u32_e32 v0, s1, v0
	v_add_co_u32 v8, vcc_lo, s2, v8
	v_add_co_ci_u32_e64 v9, null, s3, v9, vcc_lo
	global_store_dwordx2 v[8:9], v[6:7], off
	v_fma_f64 v[6:7], v[2:3], s[30:31], s[36:37]
	s_mov_b32 s36, 0xe9ff0cbb
	s_mov_b32 s37, 0xc08357a6
	s_mov_b32 s31, 0xc0229eb8
	;; [unrolled: 35-line block ×3, first 2 shown]
	s_mov_b32 s38, 0x33333333
	v_fma_f64 v[6:7], v[4:5], s[36:37], v[6:7]
	s_mov_b32 s36, 0xb60bc028
	s_mov_b32 s37, 0x4051776c
	v_mul_f64 v[8:9], v[6:7], s[8:9]
	v_cmp_nlt_f64_e32 vcc_lo, 0x40900000, v[6:7]
	v_cmp_ngt_f64_e64 s0, 0xc090cc00, v[6:7]
	v_rndne_f64_e32 v[8:9], v[8:9]
	v_fma_f64 v[10:11], v[8:9], s[4:5], v[6:7]
	v_fma_f64 v[10:11], v[8:9], s[6:7], v[10:11]
	v_cvt_i32_f64_e32 v8, v[8:9]
	v_fma_f64 v[12:13], v[10:11], s[12:13], s[10:11]
	v_fma_f64 v[12:13], v[10:11], v[12:13], s[14:15]
	;; [unrolled: 1-line block ×9, first 2 shown]
	v_fma_f64 v[12:13], v[10:11], v[12:13], 1.0
	v_fma_f64 v[10:11], v[10:11], v[12:13], 1.0
	v_ldexp_f64 v[8:9], v[10:11], v8
	v_cndmask_b32_e32 v9, 0x7ff00000, v9, vcc_lo
	s_and_b32 vcc_lo, s0, vcc_lo
	v_cndmask_b32_e32 v6, 0, v8, vcc_lo
	v_cndmask_b32_e64 v7, 0, v9, s0
	v_lshlrev_b64 v[8:9], 3, v[0:1]
	v_add_nc_u32_e32 v0, s1, v0
	v_add_co_u32 v8, vcc_lo, s2, v8
	v_add_co_ci_u32_e64 v9, null, s3, v9, vcc_lo
	global_store_dwordx2 v[8:9], v[6:7], off
	v_fma_f64 v[6:7], v[2:3], s[38:39], s[36:37]
	s_mov_b32 s36, 0xf3775b81
	s_mov_b32 s37, 0xc0a5dbc4
	s_mov_b32 s39, 0xc00b3333
	v_fma_f64 v[6:7], v[4:5], s[36:37], v[6:7]
	s_mov_b32 s36, 0x5d2dd880
	s_mov_b32 s37, 0x4053391c
	v_mul_f64 v[8:9], v[6:7], s[8:9]
	v_cmp_nlt_f64_e32 vcc_lo, 0x40900000, v[6:7]
	v_cmp_ngt_f64_e64 s0, 0xc090cc00, v[6:7]
	v_rndne_f64_e32 v[8:9], v[8:9]
	v_fma_f64 v[10:11], v[8:9], s[4:5], v[6:7]
	v_fma_f64 v[10:11], v[8:9], s[6:7], v[10:11]
	v_cvt_i32_f64_e32 v8, v[8:9]
	v_fma_f64 v[12:13], v[10:11], s[12:13], s[10:11]
	v_fma_f64 v[12:13], v[10:11], v[12:13], s[14:15]
	v_fma_f64 v[12:13], v[10:11], v[12:13], s[16:17]
	v_fma_f64 v[12:13], v[10:11], v[12:13], s[18:19]
	v_fma_f64 v[12:13], v[10:11], v[12:13], s[20:21]
	v_fma_f64 v[12:13], v[10:11], v[12:13], s[22:23]
	v_fma_f64 v[12:13], v[10:11], v[12:13], s[24:25]
	v_fma_f64 v[12:13], v[10:11], v[12:13], s[26:27]
	v_fma_f64 v[12:13], v[10:11], v[12:13], s[28:29]
	v_fma_f64 v[12:13], v[10:11], v[12:13], 1.0
	v_fma_f64 v[10:11], v[10:11], v[12:13], 1.0
	v_ldexp_f64 v[8:9], v[10:11], v8
	v_cndmask_b32_e32 v9, 0x7ff00000, v9, vcc_lo
	s_and_b32 vcc_lo, s0, vcc_lo
	v_cndmask_b32_e32 v6, 0, v8, vcc_lo
	v_cndmask_b32_e64 v7, 0, v9, s0
	v_lshlrev_b64 v[8:9], 3, v[0:1]
	v_add_nc_u32_e32 v0, s1, v0
	v_add_co_u32 v8, vcc_lo, s2, v8
	v_add_co_ci_u32_e64 v9, null, s3, v9, vcc_lo
	global_store_dwordx2 v[8:9], v[6:7], off
	v_fma_f64 v[6:7], v[2:3], s[40:41], s[36:37]
	s_mov_b32 s36, 0x9bf9c63
	s_mov_b32 s37, 0xc0932f65
	s_mov_b32 s40, 0x56041893
	s_mov_b32 s41, 0xc0232d0e
	v_fma_f64 v[6:7], v[4:5], s[36:37], v[6:7]
	s_mov_b32 s36, 0xb0292817
	s_mov_b32 s37, 0x405bd400
	v_mul_f64 v[8:9], v[6:7], s[8:9]
	v_cmp_nlt_f64_e32 vcc_lo, 0x40900000, v[6:7]
	v_cmp_ngt_f64_e64 s0, 0xc090cc00, v[6:7]
	v_rndne_f64_e32 v[8:9], v[8:9]
	v_fma_f64 v[10:11], v[8:9], s[4:5], v[6:7]
	v_fma_f64 v[10:11], v[8:9], s[6:7], v[10:11]
	v_cvt_i32_f64_e32 v8, v[8:9]
	v_fma_f64 v[12:13], v[10:11], s[12:13], s[10:11]
	v_fma_f64 v[12:13], v[10:11], v[12:13], s[14:15]
	v_fma_f64 v[12:13], v[10:11], v[12:13], s[16:17]
	v_fma_f64 v[12:13], v[10:11], v[12:13], s[18:19]
	v_fma_f64 v[12:13], v[10:11], v[12:13], s[20:21]
	v_fma_f64 v[12:13], v[10:11], v[12:13], s[22:23]
	v_fma_f64 v[12:13], v[10:11], v[12:13], s[24:25]
	v_fma_f64 v[12:13], v[10:11], v[12:13], s[26:27]
	v_fma_f64 v[12:13], v[10:11], v[12:13], s[28:29]
	v_fma_f64 v[12:13], v[10:11], v[12:13], 1.0
	v_fma_f64 v[10:11], v[10:11], v[12:13], 1.0
	v_ldexp_f64 v[8:9], v[10:11], v8
	v_cndmask_b32_e32 v9, 0x7ff00000, v9, vcc_lo
	s_and_b32 vcc_lo, s0, vcc_lo
	v_cndmask_b32_e32 v6, 0, v8, vcc_lo
	v_cndmask_b32_e64 v7, 0, v9, s0
	v_lshlrev_b64 v[8:9], 3, v[0:1]
	v_add_nc_u32_e32 v0, s1, v0
	v_add_co_u32 v8, vcc_lo, s2, v8
	v_add_co_ci_u32_e64 v9, null, s3, v9, vcc_lo
	global_store_dwordx2 v[8:9], v[6:7], off
	v_fma_f64 v[6:7], v[2:3], s[40:41], s[36:37]
	s_mov_b32 s36, 0x5c28f5c3
	;; [unrolled: 36-line block ×4, first 2 shown]
	s_mov_b32 s41, 0xc0d86c77
	s_mov_b32 s37, 0xc01e7ae1
	v_fma_f64 v[6:7], v[4:5], s[40:41], v[6:7]
	s_mov_b32 s40, 0x54690de
	s_mov_b32 s41, 0x404f8e4e
	v_mul_f64 v[8:9], v[6:7], s[8:9]
	v_cmp_nlt_f64_e32 vcc_lo, 0x40900000, v[6:7]
	v_cmp_ngt_f64_e64 s0, 0xc090cc00, v[6:7]
	v_rndne_f64_e32 v[8:9], v[8:9]
	v_fma_f64 v[10:11], v[8:9], s[4:5], v[6:7]
	v_fma_f64 v[10:11], v[8:9], s[6:7], v[10:11]
	v_cvt_i32_f64_e32 v8, v[8:9]
	v_fma_f64 v[12:13], v[10:11], s[12:13], s[10:11]
	v_fma_f64 v[12:13], v[10:11], v[12:13], s[14:15]
	;; [unrolled: 1-line block ×9, first 2 shown]
	v_fma_f64 v[12:13], v[10:11], v[12:13], 1.0
	v_fma_f64 v[10:11], v[10:11], v[12:13], 1.0
	v_ldexp_f64 v[8:9], v[10:11], v8
	v_cndmask_b32_e32 v9, 0x7ff00000, v9, vcc_lo
	s_and_b32 vcc_lo, s0, vcc_lo
	v_cndmask_b32_e32 v6, 0, v8, vcc_lo
	v_cndmask_b32_e64 v7, 0, v9, s0
	v_lshlrev_b64 v[8:9], 3, v[0:1]
	v_add_nc_u32_e32 v0, s1, v0
	v_add_co_u32 v8, vcc_lo, s2, v8
	v_add_co_ci_u32_e64 v9, null, s3, v9, vcc_lo
	global_store_dwordx2 v[8:9], v[6:7], off
	v_fma_f64 v[6:7], v[2:3], s[38:39], s[40:41]
	s_mov_b32 s38, 0xce703afb
	s_mov_b32 s39, 0xc0d197a0
	v_fma_f64 v[6:7], v[4:5], s[38:39], v[6:7]
	s_mov_b32 s38, 0x60e6caa5
	s_mov_b32 s39, 0x4057ef6c
	v_mul_f64 v[8:9], v[6:7], s[8:9]
	v_cmp_nlt_f64_e32 vcc_lo, 0x40900000, v[6:7]
	v_cmp_ngt_f64_e64 s0, 0xc090cc00, v[6:7]
	v_rndne_f64_e32 v[8:9], v[8:9]
	v_fma_f64 v[10:11], v[8:9], s[4:5], v[6:7]
	v_fma_f64 v[10:11], v[8:9], s[6:7], v[10:11]
	v_cvt_i32_f64_e32 v8, v[8:9]
	v_fma_f64 v[12:13], v[10:11], s[12:13], s[10:11]
	v_fma_f64 v[12:13], v[10:11], v[12:13], s[14:15]
	;; [unrolled: 1-line block ×9, first 2 shown]
	v_fma_f64 v[12:13], v[10:11], v[12:13], 1.0
	v_fma_f64 v[10:11], v[10:11], v[12:13], 1.0
	v_ldexp_f64 v[8:9], v[10:11], v8
	v_cndmask_b32_e32 v9, 0x7ff00000, v9, vcc_lo
	s_and_b32 vcc_lo, s0, vcc_lo
	v_cndmask_b32_e32 v6, 0, v8, vcc_lo
	v_cndmask_b32_e64 v7, 0, v9, s0
	v_lshlrev_b64 v[8:9], 3, v[0:1]
	v_add_nc_u32_e32 v0, s1, v0
	v_add_co_u32 v8, vcc_lo, s2, v8
	v_add_co_ci_u32_e64 v9, null, s3, v9, vcc_lo
	global_store_dwordx2 v[8:9], v[6:7], off
	v_fma_f64 v[6:7], v[2:3], s[34:35], s[38:39]
	s_mov_b32 s34, 0x414a4d2b
	s_mov_b32 s35, 0xc0b76447
	;; [unrolled: 1-line block ×4, first 2 shown]
	v_fma_f64 v[6:7], v[4:5], s[34:35], v[6:7]
	s_mov_b32 s34, 0x62b6ae7d
	s_mov_b32 s35, 0x40515a7f
	v_mul_f64 v[8:9], v[6:7], s[8:9]
	v_cmp_nlt_f64_e32 vcc_lo, 0x40900000, v[6:7]
	v_cmp_ngt_f64_e64 s0, 0xc090cc00, v[6:7]
	v_rndne_f64_e32 v[8:9], v[8:9]
	v_fma_f64 v[10:11], v[8:9], s[4:5], v[6:7]
	v_fma_f64 v[10:11], v[8:9], s[6:7], v[10:11]
	v_cvt_i32_f64_e32 v8, v[8:9]
	v_fma_f64 v[12:13], v[10:11], s[12:13], s[10:11]
	v_fma_f64 v[12:13], v[10:11], v[12:13], s[14:15]
	;; [unrolled: 1-line block ×9, first 2 shown]
	v_fma_f64 v[12:13], v[10:11], v[12:13], 1.0
	v_fma_f64 v[10:11], v[10:11], v[12:13], 1.0
	v_ldexp_f64 v[8:9], v[10:11], v8
	v_cndmask_b32_e32 v9, 0x7ff00000, v9, vcc_lo
	s_and_b32 vcc_lo, s0, vcc_lo
	v_cndmask_b32_e32 v6, 0, v8, vcc_lo
	v_cndmask_b32_e64 v7, 0, v9, s0
	v_lshlrev_b64 v[8:9], 3, v[0:1]
	v_add_nc_u32_e32 v0, s1, v0
	v_add_co_u32 v8, vcc_lo, s2, v8
	v_add_co_ci_u32_e64 v9, null, s3, v9, vcc_lo
	global_store_dwordx2 v[8:9], v[6:7], off
	v_fma_f64 v[6:7], v[2:3], s[38:39], s[34:35]
	s_mov_b32 s34, 0xa4e7ab75
	s_mov_b32 s35, 0xc09a1ab7
	s_mov_b32 s39, 0xc027e147
	v_fma_f64 v[6:7], v[4:5], s[34:35], v[6:7]
	s_mov_b32 s34, 0xb07d0aee
	s_mov_b32 s35, 0x4060e00c
	v_mul_f64 v[8:9], v[6:7], s[8:9]
	v_cmp_nlt_f64_e32 vcc_lo, 0x40900000, v[6:7]
	v_cmp_ngt_f64_e64 s0, 0xc090cc00, v[6:7]
	v_rndne_f64_e32 v[8:9], v[8:9]
	v_fma_f64 v[10:11], v[8:9], s[4:5], v[6:7]
	v_fma_f64 v[10:11], v[8:9], s[6:7], v[10:11]
	v_cvt_i32_f64_e32 v8, v[8:9]
	v_fma_f64 v[12:13], v[10:11], s[12:13], s[10:11]
	v_fma_f64 v[12:13], v[10:11], v[12:13], s[14:15]
	;; [unrolled: 1-line block ×9, first 2 shown]
	v_fma_f64 v[12:13], v[10:11], v[12:13], 1.0
	v_fma_f64 v[10:11], v[10:11], v[12:13], 1.0
	v_ldexp_f64 v[8:9], v[10:11], v8
	v_cndmask_b32_e32 v9, 0x7ff00000, v9, vcc_lo
	s_and_b32 vcc_lo, s0, vcc_lo
	v_cndmask_b32_e32 v6, 0, v8, vcc_lo
	v_cndmask_b32_e64 v7, 0, v9, s0
	v_lshlrev_b64 v[8:9], 3, v[0:1]
	v_add_nc_u32_e32 v0, s1, v0
	v_add_co_u32 v8, vcc_lo, s2, v8
	v_add_co_ci_u32_e64 v9, null, s3, v9, vcc_lo
	global_store_dwordx2 v[8:9], v[6:7], off
	v_fma_f64 v[6:7], v[2:3], s[38:39], s[34:35]
	s_mov_b32 s34, 0x81d7dbf5
	s_mov_b32 s35, 0xc0b33453
	;; [unrolled: 1-line block ×4, first 2 shown]
	v_fma_f64 v[6:7], v[4:5], s[34:35], v[6:7]
	s_mov_b32 s34, 0x3c6ff2d7
	s_mov_b32 s35, 0x4056dcc4
	v_mul_f64 v[8:9], v[6:7], s[8:9]
	v_cmp_nlt_f64_e32 vcc_lo, 0x40900000, v[6:7]
	v_cmp_ngt_f64_e64 s0, 0xc090cc00, v[6:7]
	v_rndne_f64_e32 v[8:9], v[8:9]
	v_fma_f64 v[10:11], v[8:9], s[4:5], v[6:7]
	v_fma_f64 v[10:11], v[8:9], s[6:7], v[10:11]
	v_cvt_i32_f64_e32 v8, v[8:9]
	v_fma_f64 v[12:13], v[10:11], s[12:13], s[10:11]
	v_fma_f64 v[12:13], v[10:11], v[12:13], s[14:15]
	v_fma_f64 v[12:13], v[10:11], v[12:13], s[16:17]
	v_fma_f64 v[12:13], v[10:11], v[12:13], s[18:19]
	v_fma_f64 v[12:13], v[10:11], v[12:13], s[20:21]
	v_fma_f64 v[12:13], v[10:11], v[12:13], s[22:23]
	v_fma_f64 v[12:13], v[10:11], v[12:13], s[24:25]
	v_fma_f64 v[12:13], v[10:11], v[12:13], s[26:27]
	v_fma_f64 v[12:13], v[10:11], v[12:13], s[28:29]
	v_fma_f64 v[12:13], v[10:11], v[12:13], 1.0
	v_fma_f64 v[10:11], v[10:11], v[12:13], 1.0
	v_ldexp_f64 v[8:9], v[10:11], v8
	v_cndmask_b32_e32 v9, 0x7ff00000, v9, vcc_lo
	s_and_b32 vcc_lo, s0, vcc_lo
	v_cndmask_b32_e32 v6, 0, v8, vcc_lo
	v_cndmask_b32_e64 v7, 0, v9, s0
	v_lshlrev_b64 v[8:9], 3, v[0:1]
	v_add_nc_u32_e32 v0, s1, v0
	v_add_co_u32 v8, vcc_lo, s2, v8
	v_add_co_ci_u32_e64 v9, null, s3, v9, vcc_lo
	global_store_dwordx2 v[8:9], v[6:7], off
	v_fma_f64 v[6:7], v[2:3], s[38:39], s[34:35]
	s_mov_b32 s34, 0x970f7b9e
	s_mov_b32 s35, 0xc0a27a3c
	v_fma_f64 v[6:7], v[4:5], s[34:35], v[6:7]
	s_mov_b32 s34, 0x80dc3372
	s_mov_b32 s35, 0x405d44cf
	v_mul_f64 v[8:9], v[6:7], s[8:9]
	v_cmp_nlt_f64_e32 vcc_lo, 0x40900000, v[6:7]
	v_cmp_ngt_f64_e64 s0, 0xc090cc00, v[6:7]
	v_rndne_f64_e32 v[8:9], v[8:9]
	v_fma_f64 v[10:11], v[8:9], s[4:5], v[6:7]
	v_fma_f64 v[10:11], v[8:9], s[6:7], v[10:11]
	v_cvt_i32_f64_e32 v8, v[8:9]
	v_fma_f64 v[12:13], v[10:11], s[12:13], s[10:11]
	v_fma_f64 v[12:13], v[10:11], v[12:13], s[14:15]
	;; [unrolled: 1-line block ×9, first 2 shown]
	v_fma_f64 v[12:13], v[10:11], v[12:13], 1.0
	v_fma_f64 v[10:11], v[10:11], v[12:13], 1.0
	v_ldexp_f64 v[8:9], v[10:11], v8
	v_cndmask_b32_e32 v9, 0x7ff00000, v9, vcc_lo
	s_and_b32 vcc_lo, s0, vcc_lo
	v_cndmask_b32_e32 v6, 0, v8, vcc_lo
	v_cndmask_b32_e64 v7, 0, v9, s0
	v_lshlrev_b64 v[8:9], 3, v[0:1]
	v_add_nc_u32_e32 v0, s1, v0
	v_add_co_u32 v8, vcc_lo, s2, v8
	v_add_co_ci_u32_e64 v9, null, s3, v9, vcc_lo
	global_store_dwordx2 v[8:9], v[6:7], off
	v_fma_f64 v[6:7], v[2:3], s[30:31], s[34:35]
	s_mov_b32 s30, 0xecbfb15b
	s_mov_b32 s31, 0xc0e88966
	;; [unrolled: 1-line block ×4, first 2 shown]
	v_fma_f64 v[6:7], v[4:5], s[30:31], v[6:7]
	s_mov_b32 s30, 0x6e8f29d4
	s_mov_b32 s31, 0x40583904
	v_mul_f64 v[8:9], v[6:7], s[8:9]
	v_cmp_nlt_f64_e32 vcc_lo, 0x40900000, v[6:7]
	v_cmp_ngt_f64_e64 s0, 0xc090cc00, v[6:7]
	v_rndne_f64_e32 v[8:9], v[8:9]
	v_fma_f64 v[10:11], v[8:9], s[4:5], v[6:7]
	v_fma_f64 v[10:11], v[8:9], s[6:7], v[10:11]
	v_cvt_i32_f64_e32 v8, v[8:9]
	v_fma_f64 v[12:13], v[10:11], s[12:13], s[10:11]
	v_fma_f64 v[12:13], v[10:11], v[12:13], s[14:15]
	;; [unrolled: 1-line block ×9, first 2 shown]
	v_fma_f64 v[12:13], v[10:11], v[12:13], 1.0
	v_fma_f64 v[10:11], v[10:11], v[12:13], 1.0
	v_ldexp_f64 v[8:9], v[10:11], v8
	v_cndmask_b32_e32 v9, 0x7ff00000, v9, vcc_lo
	s_and_b32 vcc_lo, s0, vcc_lo
	v_cndmask_b32_e32 v6, 0, v8, vcc_lo
	v_cndmask_b32_e64 v7, 0, v9, s0
	v_lshlrev_b64 v[8:9], 3, v[0:1]
	v_add_nc_u32_e32 v0, s1, v0
	v_add_co_u32 v8, vcc_lo, s2, v8
	v_add_co_ci_u32_e64 v9, null, s3, v9, vcc_lo
	global_store_dwordx2 v[8:9], v[6:7], off
	v_fma_f64 v[6:7], v[2:3], s[36:37], s[30:31]
	s_mov_b32 s30, 0x2085b185
	s_mov_b32 s31, 0xc0ab66d7
	v_fma_f64 v[6:7], v[4:5], s[30:31], v[6:7]
	s_mov_b32 s30, 0x1e92923e
	s_mov_b32 s31, 0x4057c606
	v_mul_f64 v[8:9], v[6:7], s[8:9]
	v_cmp_nlt_f64_e32 vcc_lo, 0x40900000, v[6:7]
	v_cmp_ngt_f64_e64 s0, 0xc090cc00, v[6:7]
	v_rndne_f64_e32 v[8:9], v[8:9]
	v_fma_f64 v[10:11], v[8:9], s[4:5], v[6:7]
	v_fma_f64 v[10:11], v[8:9], s[6:7], v[10:11]
	v_cvt_i32_f64_e32 v8, v[8:9]
	v_fma_f64 v[12:13], v[10:11], s[12:13], s[10:11]
	v_fma_f64 v[12:13], v[10:11], v[12:13], s[14:15]
	v_fma_f64 v[12:13], v[10:11], v[12:13], s[16:17]
	v_fma_f64 v[12:13], v[10:11], v[12:13], s[18:19]
	v_fma_f64 v[12:13], v[10:11], v[12:13], s[20:21]
	v_fma_f64 v[12:13], v[10:11], v[12:13], s[22:23]
	v_fma_f64 v[12:13], v[10:11], v[12:13], s[24:25]
	v_fma_f64 v[12:13], v[10:11], v[12:13], s[26:27]
	v_fma_f64 v[12:13], v[10:11], v[12:13], s[28:29]
	v_fma_f64 v[12:13], v[10:11], v[12:13], 1.0
	v_fma_f64 v[10:11], v[10:11], v[12:13], 1.0
	v_ldexp_f64 v[8:9], v[10:11], v8
	v_cndmask_b32_e32 v9, 0x7ff00000, v9, vcc_lo
	s_and_b32 vcc_lo, s0, vcc_lo
	v_cndmask_b32_e32 v6, 0, v8, vcc_lo
	v_cndmask_b32_e64 v7, 0, v9, s0
	v_lshlrev_b64 v[8:9], 3, v[0:1]
	v_add_nc_u32_e32 v0, s1, v0
	v_add_co_u32 v8, vcc_lo, s2, v8
	v_add_co_ci_u32_e64 v9, null, s3, v9, vcc_lo
	global_store_dwordx2 v[8:9], v[6:7], off
	v_fma_f64 v[6:7], v[2:3], s[34:35], s[30:31]
	s_mov_b32 s30, 0xc044284e
	s_mov_b32 s31, 0xc0aa4801
	;; [unrolled: 1-line block ×4, first 2 shown]
	v_fma_f64 v[6:7], v[4:5], s[30:31], v[6:7]
	s_mov_b32 s30, 0xd0917d6b
	s_mov_b32 s31, 0x40614e16
	v_mul_f64 v[8:9], v[6:7], s[8:9]
	v_cmp_nlt_f64_e32 vcc_lo, 0x40900000, v[6:7]
	v_cmp_ngt_f64_e64 s0, 0xc090cc00, v[6:7]
	v_rndne_f64_e32 v[8:9], v[8:9]
	v_fma_f64 v[10:11], v[8:9], s[4:5], v[6:7]
	v_fma_f64 v[10:11], v[8:9], s[6:7], v[10:11]
	v_cvt_i32_f64_e32 v8, v[8:9]
	v_fma_f64 v[12:13], v[10:11], s[12:13], s[10:11]
	v_fma_f64 v[12:13], v[10:11], v[12:13], s[14:15]
	v_fma_f64 v[12:13], v[10:11], v[12:13], s[16:17]
	v_fma_f64 v[12:13], v[10:11], v[12:13], s[18:19]
	v_fma_f64 v[12:13], v[10:11], v[12:13], s[20:21]
	v_fma_f64 v[12:13], v[10:11], v[12:13], s[22:23]
	v_fma_f64 v[12:13], v[10:11], v[12:13], s[24:25]
	v_fma_f64 v[12:13], v[10:11], v[12:13], s[26:27]
	v_fma_f64 v[12:13], v[10:11], v[12:13], s[28:29]
	v_fma_f64 v[12:13], v[10:11], v[12:13], 1.0
	v_fma_f64 v[10:11], v[10:11], v[12:13], 1.0
	v_ldexp_f64 v[8:9], v[10:11], v8
	v_cndmask_b32_e32 v9, 0x7ff00000, v9, vcc_lo
	s_and_b32 vcc_lo, s0, vcc_lo
	v_cndmask_b32_e32 v6, 0, v8, vcc_lo
	v_cndmask_b32_e64 v7, 0, v9, s0
	v_lshlrev_b64 v[8:9], 3, v[0:1]
	v_add_nc_u32_e32 v0, s1, v0
	v_add_co_u32 v8, vcc_lo, s2, v8
	v_add_co_ci_u32_e64 v9, null, s3, v9, vcc_lo
	global_store_dwordx2 v[8:9], v[6:7], off
	v_fma_f64 v[6:7], 0xc0280000, v[2:3], s[30:31]
	s_mov_b32 s30, 0x5f45e0b5
	s_mov_b32 s31, 0xc0a77631
	v_fma_f64 v[6:7], v[4:5], s[30:31], v[6:7]
	s_mov_b32 s30, 0x441c8f83
	s_mov_b32 s31, 0x40565546
	;; [unrolled: 3-line block ×3, first 2 shown]
	v_mul_f64 v[8:9], v[6:7], s[8:9]
	v_cmp_nlt_f64_e32 vcc_lo, 0x40900000, v[6:7]
	v_cmp_ngt_f64_e64 s0, 0xc090cc00, v[6:7]
	v_fma_f64 v[2:3], v[4:5], s[30:31], v[2:3]
	v_rndne_f64_e32 v[8:9], v[8:9]
	v_mul_f64 v[4:5], v[2:3], s[8:9]
	v_fma_f64 v[10:11], v[8:9], s[4:5], v[6:7]
	v_rndne_f64_e32 v[4:5], v[4:5]
	v_fma_f64 v[10:11], v[8:9], s[6:7], v[10:11]
	v_cvt_i32_f64_e32 v8, v[8:9]
	v_fma_f64 v[12:13], v[10:11], s[12:13], s[10:11]
	v_fma_f64 v[12:13], v[10:11], v[12:13], s[14:15]
	;; [unrolled: 1-line block ×9, first 2 shown]
	v_fma_f64 v[12:13], v[10:11], v[12:13], 1.0
	v_fma_f64 v[10:11], v[10:11], v[12:13], 1.0
	v_ldexp_f64 v[8:9], v[10:11], v8
	v_cndmask_b32_e32 v9, 0x7ff00000, v9, vcc_lo
	s_and_b32 vcc_lo, s0, vcc_lo
	v_cndmask_b32_e32 v6, 0, v8, vcc_lo
	v_cndmask_b32_e64 v7, 0, v9, s0
	v_lshlrev_b64 v[8:9], 3, v[0:1]
	v_cmp_ngt_f64_e64 s0, 0xc090cc00, v[2:3]
	v_add_nc_u32_e32 v0, s1, v0
	v_add_co_u32 v8, vcc_lo, s2, v8
	v_add_co_ci_u32_e64 v9, null, s3, v9, vcc_lo
	v_cmp_nlt_f64_e32 vcc_lo, 0x40900000, v[2:3]
	v_lshlrev_b64 v[0:1], 3, v[0:1]
	global_store_dwordx2 v[8:9], v[6:7], off
	v_fma_f64 v[6:7], v[4:5], s[4:5], v[2:3]
	v_fma_f64 v[6:7], v[4:5], s[6:7], v[6:7]
	v_cvt_i32_f64_e32 v4, v[4:5]
	v_fma_f64 v[8:9], v[6:7], s[12:13], s[10:11]
	v_fma_f64 v[8:9], v[6:7], v[8:9], s[14:15]
	;; [unrolled: 1-line block ×9, first 2 shown]
	v_fma_f64 v[8:9], v[6:7], v[8:9], 1.0
	v_fma_f64 v[6:7], v[6:7], v[8:9], 1.0
	v_ldexp_f64 v[4:5], v[6:7], v4
	v_cndmask_b32_e32 v5, 0x7ff00000, v5, vcc_lo
	s_and_b32 vcc_lo, s0, vcc_lo
	v_cndmask_b32_e32 v2, 0, v4, vcc_lo
	v_add_co_u32 v0, vcc_lo, s2, v0
	v_cndmask_b32_e64 v3, 0, v5, s0
	v_add_co_ci_u32_e64 v1, null, s3, v1, vcc_lo
	global_store_dwordx2 v[0:1], v[2:3], off
	s_endpgm
	.section	.rodata,"a",@progbits
	.p2align	6, 0x0
	.amdhsa_kernel _Z13ratt10_kernelIdEvPKT_PS0_S0_
		.amdhsa_group_segment_fixed_size 0
		.amdhsa_private_segment_fixed_size 0
		.amdhsa_kernarg_size 280
		.amdhsa_user_sgpr_count 6
		.amdhsa_user_sgpr_private_segment_buffer 1
		.amdhsa_user_sgpr_dispatch_ptr 0
		.amdhsa_user_sgpr_queue_ptr 0
		.amdhsa_user_sgpr_kernarg_segment_ptr 1
		.amdhsa_user_sgpr_dispatch_id 0
		.amdhsa_user_sgpr_flat_scratch_init 0
		.amdhsa_user_sgpr_private_segment_size 0
		.amdhsa_wavefront_size32 1
		.amdhsa_uses_dynamic_stack 0
		.amdhsa_system_sgpr_private_segment_wavefront_offset 0
		.amdhsa_system_sgpr_workgroup_id_x 1
		.amdhsa_system_sgpr_workgroup_id_y 0
		.amdhsa_system_sgpr_workgroup_id_z 0
		.amdhsa_system_sgpr_workgroup_info 0
		.amdhsa_system_vgpr_workitem_id 0
		.amdhsa_next_free_vgpr 21
		.amdhsa_next_free_sgpr 42
		.amdhsa_reserve_vcc 1
		.amdhsa_reserve_flat_scratch 0
		.amdhsa_float_round_mode_32 0
		.amdhsa_float_round_mode_16_64 0
		.amdhsa_float_denorm_mode_32 3
		.amdhsa_float_denorm_mode_16_64 3
		.amdhsa_dx10_clamp 1
		.amdhsa_ieee_mode 1
		.amdhsa_fp16_overflow 0
		.amdhsa_workgroup_processor_mode 1
		.amdhsa_memory_ordered 1
		.amdhsa_forward_progress 1
		.amdhsa_shared_vgpr_count 0
		.amdhsa_exception_fp_ieee_invalid_op 0
		.amdhsa_exception_fp_denorm_src 0
		.amdhsa_exception_fp_ieee_div_zero 0
		.amdhsa_exception_fp_ieee_overflow 0
		.amdhsa_exception_fp_ieee_underflow 0
		.amdhsa_exception_fp_ieee_inexact 0
		.amdhsa_exception_int_div_zero 0
	.end_amdhsa_kernel
	.section	.text._Z13ratt10_kernelIdEvPKT_PS0_S0_,"axG",@progbits,_Z13ratt10_kernelIdEvPKT_PS0_S0_,comdat
.Lfunc_end38:
	.size	_Z13ratt10_kernelIdEvPKT_PS0_S0_, .Lfunc_end38-_Z13ratt10_kernelIdEvPKT_PS0_S0_
                                        ; -- End function
	.set _Z13ratt10_kernelIdEvPKT_PS0_S0_.num_vgpr, 21
	.set _Z13ratt10_kernelIdEvPKT_PS0_S0_.num_agpr, 0
	.set _Z13ratt10_kernelIdEvPKT_PS0_S0_.numbered_sgpr, 42
	.set _Z13ratt10_kernelIdEvPKT_PS0_S0_.num_named_barrier, 0
	.set _Z13ratt10_kernelIdEvPKT_PS0_S0_.private_seg_size, 0
	.set _Z13ratt10_kernelIdEvPKT_PS0_S0_.uses_vcc, 1
	.set _Z13ratt10_kernelIdEvPKT_PS0_S0_.uses_flat_scratch, 0
	.set _Z13ratt10_kernelIdEvPKT_PS0_S0_.has_dyn_sized_stack, 0
	.set _Z13ratt10_kernelIdEvPKT_PS0_S0_.has_recursion, 0
	.set _Z13ratt10_kernelIdEvPKT_PS0_S0_.has_indirect_call, 0
	.section	.AMDGPU.csdata,"",@progbits
; Kernel info:
; codeLenInByte = 6808
; TotalNumSgprs: 44
; NumVgprs: 21
; ScratchSize: 0
; MemoryBound: 0
; FloatMode: 240
; IeeeMode: 1
; LDSByteSize: 0 bytes/workgroup (compile time only)
; SGPRBlocks: 0
; VGPRBlocks: 2
; NumSGPRsForWavesPerEU: 44
; NumVGPRsForWavesPerEU: 21
; Occupancy: 16
; WaveLimiterHint : 0
; COMPUTE_PGM_RSRC2:SCRATCH_EN: 0
; COMPUTE_PGM_RSRC2:USER_SGPR: 6
; COMPUTE_PGM_RSRC2:TRAP_HANDLER: 0
; COMPUTE_PGM_RSRC2:TGID_X_EN: 1
; COMPUTE_PGM_RSRC2:TGID_Y_EN: 0
; COMPUTE_PGM_RSRC2:TGID_Z_EN: 0
; COMPUTE_PGM_RSRC2:TIDIG_COMP_CNT: 0
	.section	.text._Z11ratx_kernelIdEvPKT_S2_PS0_S3_S2_S0_,"axG",@progbits,_Z11ratx_kernelIdEvPKT_S2_PS0_S3_S2_S0_,comdat
	.protected	_Z11ratx_kernelIdEvPKT_S2_PS0_S3_S2_S0_ ; -- Begin function _Z11ratx_kernelIdEvPKT_S2_PS0_S3_S2_S0_
	.globl	_Z11ratx_kernelIdEvPKT_S2_PS0_S3_S2_S0_
	.p2align	8
	.type	_Z11ratx_kernelIdEvPKT_S2_PS0_S3_S2_S0_,@function
_Z11ratx_kernelIdEvPKT_S2_PS0_S3_S2_S0_: ; @_Z11ratx_kernelIdEvPKT_S2_PS0_S3_S2_S0_
; %bb.0:
	s_clause 0x3
	s_load_dwordx8 s[8:15], s[4:5], 0x0
	s_load_dwordx4 s[16:19], s[4:5], 0x20
	s_load_dword s33, s[4:5], 0x30
	s_load_dword s0, s[4:5], 0x3c
	s_mov_b32 s40, 0x55555555
	s_mov_b32 s41, 0x3fe55555
	;; [unrolled: 1-line block ×19, first 2 shown]
	s_waitcnt lgkmcnt(0)
	s_and_b32 s0, s0, 0xffff
	s_mov_b32 s57, 0xbfe62e42
	v_mad_u64_u32 v[2:3], null, s6, s0, v[0:1]
	v_mov_b32_e32 v3, 0
	s_mul_i32 s33, s33, s0
	s_mov_b32 s6, 0x509f79ff
	s_mov_b32 s7, 0x3fd34413
	;; [unrolled: 1-line block ×4, first 2 shown]
	v_lshlrev_b64 v[12:13], 3, v[2:3]
	v_add_nc_u32_e32 v2, s33, v2
	s_mov_b32 s58, 0x3b39803f
	s_mov_b32 s59, 0xbc7abc9e
	;; [unrolled: 1-line block ×4, first 2 shown]
	v_add_co_u32 v0, vcc_lo, s8, v12
	v_add_co_ci_u32_e64 v1, null, s9, v13, vcc_lo
	v_add_co_u32 v4, vcc_lo, s10, v12
	v_add_co_ci_u32_e64 v5, null, s11, v13, vcc_lo
	v_lshlrev_b64 v[26:27], 3, v[2:3]
	v_add_nc_u32_e32 v2, s33, v2
	global_load_dwordx2 v[0:1], v[0:1], off
	global_load_dwordx2 v[8:9], v[4:5], off
	s_mov_b32 s8, 0xa994fd21
	s_mov_b32 s9, 0xbc49dc1d
	v_add_co_u32 v6, vcc_lo, s10, v26
	v_add_co_ci_u32_e64 v7, null, s11, v27, vcc_lo
	s_mov_b32 s31, 0x3e928af3
	s_mov_b32 s35, 0x3e5ade15
	;; [unrolled: 1-line block ×3, first 2 shown]
	global_load_dwordx2 v[6:7], v[6:7], off
	s_mov_b32 s37, 0x3ec71dee
	s_mov_b32 s38, 0x7c89e6b0
	s_mov_b32 s39, 0x3efa0199
	s_mov_b32 s42, 0x14761f6e
	s_mov_b32 s43, 0x3f2a01a0
	s_mov_b32 s44, 0x1852b7b0
	s_mov_b32 s45, 0x3f56c16c
	s_mov_b32 s46, 0x11122322
	s_mov_b32 s47, 0x3f811111
	s_mov_b32 s48, 0x555502a1
	s_mov_b32 s49, 0x3fa55555
	s_mov_b32 s50, 0x55555511
	s_mov_b32 s51, 0x3fc55555
	s_mov_b32 s52, 11
	s_mov_b32 s53, 0x3fe00000
	s_mov_b32 s68, 0xd70a3d71
	s_mov_b32 s64, 0x9999999a
	s_mov_b32 s65, s27
	s_mov_b32 s69, 0x3fe570a3
	s_mov_b32 s60, 0x851eb852
	s_mov_b32 s61, 0xbff451eb
	s_mov_b32 s76, 0x1eb851ec
	s_mov_b32 s77, 0xbfc1eb85
	s_mov_b32 s62, 0x979a371
	s_mov_b32 s63, 0x400a934f
	s_mov_b32 s67, 0xbfd34413
	s_mov_b32 s66, s6
	s_mov_b32 s71, 0x3c49dc1d
	s_mov_b32 s70, s8
	s_mov_b32 s72, 0x494ea3e9
	s_mov_b32 s73, 0xbcaf48ad
	s_mov_b32 s74, 0xbbb55516
	s_mov_b32 s75, 0x40026bb1
	s_waitcnt vmcnt(2)
	v_mul_f64 v[0:1], s[18:19], v[0:1]
	s_waitcnt vmcnt(1)
	v_add_f64 v[4:5], v[8:9], 0
	s_mov_b32 s18, 0xbf559e2b
	s_mov_b32 s19, 0x3fc3ab76
	s_waitcnt vmcnt(0)
	v_add_f64 v[4:5], v[4:5], v[6:7]
	v_lshlrev_b64 v[6:7], 3, v[2:3]
	v_add_nc_u32_e32 v2, s33, v2
	v_lshlrev_b64 v[24:25], 3, v[2:3]
	v_add_co_u32 v6, vcc_lo, s10, v6
	v_add_co_ci_u32_e64 v7, null, s11, v7, vcc_lo
	v_add_nc_u32_e32 v2, s33, v2
	global_load_dwordx2 v[6:7], v[6:7], off
	s_waitcnt vmcnt(0)
	v_add_f64 v[4:5], v[4:5], v[6:7]
	v_add_co_u32 v6, vcc_lo, s10, v24
	v_add_co_ci_u32_e64 v7, null, s11, v25, vcc_lo
	global_load_dwordx2 v[6:7], v[6:7], off
	s_waitcnt vmcnt(0)
	v_add_f64 v[4:5], v[4:5], v[6:7]
	v_lshlrev_b64 v[6:7], 3, v[2:3]
	v_add_nc_u32_e32 v2, s33, v2
	v_add_co_u32 v6, vcc_lo, s10, v6
	v_add_co_ci_u32_e64 v7, null, s11, v7, vcc_lo
	v_lshlrev_b64 v[22:23], 3, v[2:3]
	v_add_nc_u32_e32 v2, s33, v2
	global_load_dwordx2 v[6:7], v[6:7], off
	v_lshlrev_b64 v[18:19], 3, v[2:3]
	v_add_nc_u32_e32 v2, s33, v2
	v_lshlrev_b64 v[16:17], 3, v[2:3]
	v_add_nc_u32_e32 v2, s33, v2
	s_waitcnt vmcnt(0)
	v_add_f64 v[4:5], v[4:5], v[6:7]
	v_add_co_u32 v6, vcc_lo, s10, v22
	v_add_co_ci_u32_e64 v7, null, s11, v23, vcc_lo
	global_load_dwordx2 v[10:11], v[6:7], off
	v_add_co_u32 v6, vcc_lo, s10, v18
	v_add_co_ci_u32_e64 v7, null, s11, v19, vcc_lo
	global_load_dwordx2 v[6:7], v[6:7], off
	s_waitcnt vmcnt(1)
	v_add_f64 v[4:5], v[4:5], v[10:11]
	s_waitcnt vmcnt(0)
	v_add_f64 v[4:5], v[4:5], v[6:7]
	v_add_co_u32 v6, vcc_lo, s10, v16
	v_add_co_ci_u32_e64 v7, null, s11, v17, vcc_lo
	global_load_dwordx2 v[6:7], v[6:7], off
	s_waitcnt vmcnt(0)
	v_add_f64 v[4:5], v[4:5], v[6:7]
	v_lshlrev_b64 v[6:7], 3, v[2:3]
	v_add_nc_u32_e32 v2, s33, v2
	v_add_co_u32 v6, vcc_lo, s10, v6
	v_add_co_ci_u32_e64 v7, null, s11, v7, vcc_lo
	v_lshlrev_b64 v[14:15], 3, v[2:3]
	v_add_nc_u32_e32 v2, s33, v2
	global_load_dwordx2 v[6:7], v[6:7], off
	s_waitcnt vmcnt(0)
	v_add_f64 v[4:5], v[4:5], v[6:7]
	v_add_co_u32 v6, vcc_lo, s10, v14
	v_add_co_ci_u32_e64 v7, null, s11, v15, vcc_lo
	global_load_dwordx2 v[20:21], v[6:7], off
	v_lshlrev_b64 v[6:7], 3, v[2:3]
	v_add_nc_u32_e32 v2, s33, v2
	v_add_co_u32 v28, vcc_lo, s10, v6
	v_add_co_ci_u32_e64 v29, null, s11, v7, vcc_lo
	global_load_dwordx2 v[30:31], v[28:29], off
	s_waitcnt vmcnt(1)
	v_add_f64 v[4:5], v[4:5], v[20:21]
	s_waitcnt vmcnt(0)
	v_add_f64 v[28:29], v[4:5], v[30:31]
	v_lshlrev_b64 v[4:5], 3, v[2:3]
	v_add_nc_u32_e32 v2, s33, v2
	v_add_co_u32 v32, vcc_lo, s10, v4
	v_add_co_ci_u32_e64 v33, null, s11, v5, vcc_lo
	v_lshlrev_b64 v[34:35], 3, v[2:3]
	v_add_nc_u32_e32 v2, s33, v2
	global_load_dwordx2 v[32:33], v[32:33], off
	v_add_co_u32 v34, vcc_lo, s10, v34
	v_add_co_ci_u32_e64 v35, null, s11, v35, vcc_lo
	global_load_dwordx2 v[34:35], v[34:35], off
	s_waitcnt vmcnt(1)
	v_add_f64 v[28:29], v[28:29], v[32:33]
	s_waitcnt vmcnt(0)
	v_add_f64 v[28:29], v[28:29], v[34:35]
	v_lshlrev_b64 v[34:35], 3, v[2:3]
	v_add_nc_u32_e32 v2, s33, v2
	v_add_co_u32 v34, vcc_lo, s10, v34
	v_add_co_ci_u32_e64 v35, null, s11, v35, vcc_lo
	v_lshlrev_b64 v[36:37], 3, v[2:3]
	v_add_nc_u32_e32 v2, s33, v2
	global_load_dwordx2 v[34:35], v[34:35], off
	;; [unrolled: 14-line block ×3, first 2 shown]
	v_add_co_u32 v42, vcc_lo, s10, v42
	v_add_co_ci_u32_e64 v43, null, s11, v43, vcc_lo
	global_load_dwordx2 v[42:43], v[42:43], off
	s_waitcnt vmcnt(1)
	v_add_f64 v[38:39], v[38:39], v[40:41]
	s_waitcnt vmcnt(0)
	v_add_f64 v[38:39], v[38:39], v[42:43]
	v_lshlrev_b64 v[42:43], 3, v[2:3]
	v_add_nc_u32_e32 v2, s33, v2
	v_add_co_u32 v42, vcc_lo, s10, v42
	v_add_co_ci_u32_e64 v43, null, s11, v43, vcc_lo
	global_load_dwordx2 v[42:43], v[42:43], off
	s_waitcnt vmcnt(0)
	v_add_f64 v[38:39], v[38:39], v[42:43]
	v_lshlrev_b64 v[42:43], 3, v[2:3]
	v_add_nc_u32_e32 v2, s33, v2
	v_add_co_u32 v42, vcc_lo, s10, v42
	v_add_co_ci_u32_e64 v43, null, s11, v43, vcc_lo
	global_load_dwordx2 v[42:43], v[42:43], off
	;; [unrolled: 7-line block ×4, first 2 shown]
	s_waitcnt vmcnt(0)
	v_add_f64 v[38:39], v[38:39], v[42:43]
	v_lshlrev_b64 v[42:43], 3, v[2:3]
	v_add_co_u32 v42, vcc_lo, s10, v42
	v_add_co_ci_u32_e64 v43, null, s11, v43, vcc_lo
	v_add_co_u32 v12, vcc_lo, s16, v12
	v_add_co_ci_u32_e64 v13, null, s17, v13, vcc_lo
	global_load_dwordx2 v[42:43], v[42:43], off
	s_mov_b32 s10, 0x6b47b09a
	s_mov_b32 s11, 0x3fc38538
	global_load_dwordx2 v[12:13], v[12:13], off
	s_waitcnt vmcnt(1)
	v_add_f64 v[38:39], v[38:39], v[42:43]
	v_add_f64 v[8:9], v[38:39], v[8:9]
	v_fma_f64 v[8:9], 0x40140000, v[10:11], v[8:9]
	v_add_f64 v[8:9], v[20:21], v[8:9]
	v_fma_f64 v[8:9], v[30:31], 0.5, v[8:9]
	v_add_co_u32 v30, vcc_lo, s12, v28
	v_add_co_ci_u32_e64 v31, null, s13, v29, vcc_lo
	v_add_f64 v[8:9], v[32:33], v[8:9]
	global_load_dwordx2 v[32:33], v[30:31], off
	v_fma_f64 v[10:11], v[40:41], 2.0, v[8:9]
	v_fma_f64 v[8:9], v[34:35], 2.0, v[10:11]
	v_fma_f64 v[10:11], 0x3ff80000, v[34:35], v[10:11]
	v_fma_f64 v[8:9], v[36:37], 2.0, v[8:9]
	v_fma_f64 v[10:11], 0x3ff80000, v[36:37], v[10:11]
	s_waitcnt vmcnt(0)
	v_div_scale_f64 v[20:21], null, v[32:33], v[32:33], 1.0
	v_rcp_f64_e32 v[34:35], v[20:21]
	v_fma_f64 v[36:37], -v[20:21], v[34:35], 1.0
	v_fma_f64 v[34:35], v[34:35], v[36:37], v[34:35]
	v_fma_f64 v[36:37], -v[20:21], v[34:35], 1.0
	v_fma_f64 v[34:35], v[34:35], v[36:37], v[34:35]
	v_div_scale_f64 v[36:37], vcc_lo, 1.0, v[32:33], 1.0
	v_mul_f64 v[38:39], v[36:37], v[34:35]
	v_fma_f64 v[20:21], -v[20:21], v[38:39], v[36:37]
	v_div_fmas_f64 v[20:21], v[20:21], v[34:35], v[38:39]
	v_div_fixup_f64 v[20:21], v[20:21], v[32:33], 1.0
	v_mul_f64 v[20:21], v[8:9], v[20:21]
	v_mul_f64 v[36:37], v[12:13], v[20:21]
	v_fma_f64 v[12:13], v[12:13], v[20:21], 1.0
	v_div_scale_f64 v[20:21], null, v[12:13], v[12:13], 1.0
	v_rcp_f64_e32 v[34:35], v[20:21]
	v_fma_f64 v[38:39], -v[20:21], v[34:35], 1.0
	v_fma_f64 v[34:35], v[34:35], v[38:39], v[34:35]
	v_fma_f64 v[38:39], -v[20:21], v[34:35], 1.0
	v_fma_f64 v[34:35], v[34:35], v[38:39], v[34:35]
	v_div_scale_f64 v[38:39], vcc_lo, 1.0, v[12:13], 1.0
	v_mul_f64 v[40:41], v[38:39], v[34:35]
	v_fma_f64 v[20:21], -v[20:21], v[40:41], v[38:39]
	v_div_fmas_f64 v[20:21], v[20:21], v[34:35], v[40:41]
	v_div_fixup_f64 v[12:13], v[20:21], v[12:13], 1.0
	v_mul_f64 v[34:35], v[36:37], v[12:13]
	v_max_f64 v[12:13], 0x38100000, v[36:37]
	v_frexp_mant_f64_e32 v[20:21], v[12:13]
	v_frexp_exp_i32_f64_e32 v36, v[12:13]
	v_cmp_gt_f64_e32 vcc_lo, s[40:41], v[20:21]
	v_cndmask_b32_e64 v37, 0, 1, vcc_lo
	v_subrev_co_ci_u32_e64 v48, null, 0, v36, vcc_lo
	v_cmp_neq_f64_e32 vcc_lo, 0x7ff00000, v[12:13]
	v_mul_f64 v[12:13], v[0:1], s[0:1]
	v_ldexp_f64 v[20:21], v[20:21], v37
	v_cmp_ngt_f64_e64 s0, 0xc090cc00, v[12:13]
	v_add_f64 v[38:39], v[20:21], 1.0
	v_add_f64 v[36:37], v[20:21], -1.0
	v_add_f64 v[40:41], v[38:39], -1.0
	v_add_f64 v[20:21], v[20:21], -v[40:41]
	v_rcp_f64_e32 v[40:41], v[38:39]
	v_fma_f64 v[42:43], -v[38:39], v[40:41], 1.0
	v_fma_f64 v[40:41], v[42:43], v[40:41], v[40:41]
	v_fma_f64 v[42:43], -v[38:39], v[40:41], 1.0
	v_fma_f64 v[40:41], v[42:43], v[40:41], v[40:41]
	v_mul_f64 v[42:43], v[36:37], v[40:41]
	v_mul_f64 v[44:45], v[38:39], v[42:43]
	v_fma_f64 v[38:39], v[42:43], v[38:39], -v[44:45]
	v_fma_f64 v[20:21], v[42:43], v[20:21], v[38:39]
	v_add_f64 v[38:39], v[44:45], v[20:21]
	v_add_f64 v[46:47], v[36:37], -v[38:39]
	v_add_f64 v[44:45], v[38:39], -v[44:45]
	;; [unrolled: 1-line block ×5, first 2 shown]
	v_add_f64 v[20:21], v[20:21], v[36:37]
	v_add_f64 v[20:21], v[46:47], v[20:21]
	v_mul_f64 v[20:21], v[40:41], v[20:21]
	v_add_f64 v[36:37], v[42:43], v[20:21]
	v_add_f64 v[38:39], v[36:37], -v[42:43]
	v_ldexp_f64 v[42:43], v[36:37], 1
	v_add_f64 v[20:21], v[20:21], -v[38:39]
	v_mul_f64 v[38:39], v[36:37], v[36:37]
	v_ldexp_f64 v[20:21], v[20:21], 1
	v_fma_f64 v[40:41], v[38:39], s[18:19], s[10:11]
	v_mul_f64 v[36:37], v[36:37], v[38:39]
	v_fma_f64 v[40:41], v[38:39], v[40:41], s[20:21]
	v_fma_f64 v[40:41], v[38:39], v[40:41], s[22:23]
	;; [unrolled: 1-line block ×5, first 2 shown]
	v_mul_f64 v[36:37], v[36:37], v[40:41]
	v_add_f64 v[38:39], v[42:43], v[36:37]
	v_add_f64 v[40:41], v[38:39], -v[42:43]
	v_add_f64 v[36:37], v[36:37], -v[40:41]
	v_add_f64 v[20:21], v[20:21], v[36:37]
	v_add_f64 v[36:37], v[38:39], v[20:21]
	v_add_f64 v[38:39], v[36:37], -v[38:39]
	v_add_f64 v[20:21], v[20:21], -v[38:39]
	v_cvt_f64_i32_e32 v[38:39], v48
	v_mul_f64 v[40:41], v[38:39], s[6:7]
	v_fma_f64 v[42:43], v[38:39], s[6:7], -v[40:41]
	v_fma_f64 v[38:39], v[38:39], s[8:9], v[42:43]
	v_add_f64 v[42:43], v[40:41], v[38:39]
	v_add_f64 v[40:41], v[42:43], -v[40:41]
	v_add_f64 v[38:39], v[38:39], -v[40:41]
	v_mul_f64 v[40:41], v[36:37], s[2:3]
	v_fma_f64 v[44:45], v[36:37], s[2:3], -v[40:41]
	v_fma_f64 v[20:21], v[20:21], s[2:3], v[44:45]
	v_fma_f64 v[20:21], v[36:37], s[4:5], v[20:21]
	v_add_f64 v[36:37], v[40:41], v[20:21]
	v_add_f64 v[40:41], v[36:37], -v[40:41]
	v_add_f64 v[20:21], v[20:21], -v[40:41]
	v_add_f64 v[40:41], v[42:43], v[36:37]
	v_add_f64 v[44:45], v[40:41], -v[42:43]
	v_add_f64 v[46:47], v[40:41], -v[44:45]
	;; [unrolled: 1-line block ×4, first 2 shown]
	v_add_f64 v[36:37], v[36:37], v[42:43]
	v_add_f64 v[42:43], v[38:39], v[20:21]
	v_add_f64 v[44:45], v[42:43], -v[38:39]
	v_add_f64 v[36:37], v[42:43], v[36:37]
	v_add_f64 v[46:47], v[42:43], -v[44:45]
	v_add_f64 v[20:21], v[20:21], -v[44:45]
	v_add_f64 v[38:39], v[38:39], -v[46:47]
	v_add_f64 v[20:21], v[20:21], v[38:39]
	v_add_f64 v[38:39], v[40:41], v[36:37]
	v_add_f64 v[40:41], v[38:39], -v[40:41]
	v_add_f64 v[36:37], v[36:37], -v[40:41]
	v_add_f64 v[20:21], v[20:21], v[36:37]
	v_add_f64 v[20:21], v[38:39], v[20:21]
	v_cndmask_b32_e32 v37, 0x7ff00000, v21, vcc_lo
	v_cndmask_b32_e32 v36, 0, v20, vcc_lo
	v_mul_f64 v[20:21], v[12:13], s[54:55]
	v_cmp_nlt_f64_e32 vcc_lo, 0x40900000, v[12:13]
	v_rndne_f64_e32 v[20:21], v[20:21]
	v_fma_f64 v[38:39], v[20:21], s[56:57], v[12:13]
	v_fma_f64 v[38:39], v[20:21], s[58:59], v[38:39]
	v_cvt_i32_f64_e32 v20, v[20:21]
	v_fma_f64 v[40:41], v[38:39], s[34:35], s[30:31]
	v_fma_f64 v[40:41], v[38:39], v[40:41], s[36:37]
	;; [unrolled: 1-line block ×9, first 2 shown]
	v_fma_f64 v[40:41], v[38:39], v[40:41], 1.0
	v_fma_f64 v[38:39], v[38:39], v[40:41], 1.0
	v_ldexp_f64 v[20:21], v[38:39], v20
	v_cndmask_b32_e32 v21, 0x7ff00000, v21, vcc_lo
	s_and_b32 vcc_lo, s0, vcc_lo
	v_cndmask_b32_e32 v20, 0, v20, vcc_lo
	v_cndmask_b32_e64 v21, 0, v21, s0
	s_mov_b32 s0, 0x92f3c105
	s_mov_b32 s1, 0xbf42a91c
	v_mul_f64 v[12:13], v[0:1], s[0:1]
	s_mov_b32 s0, 0xdbf487fd
	s_mov_b32 s1, 0x3fe781d7
	v_mul_f64 v[38:39], v[12:13], s[54:55]
	v_cmp_nlt_f64_e32 vcc_lo, 0x40900000, v[12:13]
	v_rndne_f64_e32 v[38:39], v[38:39]
	v_fma_f64 v[40:41], v[38:39], s[56:57], v[12:13]
	v_fma_f64 v[40:41], v[38:39], s[58:59], v[40:41]
	v_cvt_i32_f64_e32 v38, v[38:39]
	v_fma_f64 v[42:43], v[40:41], s[34:35], s[30:31]
	v_fma_f64 v[42:43], v[40:41], v[42:43], s[36:37]
	;; [unrolled: 1-line block ×9, first 2 shown]
	v_fma_f64 v[42:43], v[40:41], v[42:43], 1.0
	v_fma_f64 v[40:41], v[40:41], v[42:43], 1.0
	v_ldexp_f64 v[38:39], v[40:41], v38
	v_mul_f64 v[38:39], v[38:39], s[0:1]
	v_cmp_ngt_f64_e64 s0, 0xc090cc00, v[12:13]
	v_cndmask_b32_e32 v39, 0x7ff00000, v39, vcc_lo
	s_and_b32 vcc_lo, s0, vcc_lo
	v_cndmask_b32_e32 v12, 0, v38, vcc_lo
	v_cndmask_b32_e64 v13, 0, v39, s0
	s_mov_b32 s0, 0x4816f007
	s_mov_b32 s1, 0x3fd0fc50
	v_fma_f64 v[38:39], v[20:21], s[0:1], v[12:13]
	v_div_scale_f64 v[12:13], null, v[0:1], v[0:1], 1.0
	v_rcp_f64_e32 v[40:41], v[12:13]
	v_fma_f64 v[42:43], -v[12:13], v[40:41], 1.0
	v_fma_f64 v[40:41], v[40:41], v[42:43], v[40:41]
	v_fma_f64 v[42:43], -v[12:13], v[40:41], 1.0
	v_fma_f64 v[40:41], v[40:41], v[42:43], v[40:41]
	v_div_scale_f64 v[42:43], vcc_lo, 1.0, v[0:1], 1.0
	v_mul_f64 v[44:45], v[42:43], v[40:41]
	v_fma_f64 v[12:13], -v[12:13], v[44:45], v[42:43]
	v_div_fmas_f64 v[12:13], v[12:13], v[40:41], v[44:45]
	v_div_fixup_f64 v[12:13], v[12:13], v[0:1], 1.0
	v_mul_f64 v[40:41], 0xc0b43e00, v[12:13]
	v_mul_f64 v[42:43], v[40:41], s[54:55]
	v_cmp_nlt_f64_e32 vcc_lo, 0x40900000, v[40:41]
	v_cmp_ngt_f64_e64 s0, 0xc090cc00, v[40:41]
	v_rndne_f64_e32 v[42:43], v[42:43]
	v_fma_f64 v[44:45], v[42:43], s[56:57], v[40:41]
	v_fma_f64 v[44:45], v[42:43], s[58:59], v[44:45]
	v_cvt_i32_f64_e32 v42, v[42:43]
	v_fma_f64 v[46:47], v[44:45], s[34:35], s[30:31]
	v_fma_f64 v[46:47], v[44:45], v[46:47], s[36:37]
	;; [unrolled: 1-line block ×9, first 2 shown]
	v_fma_f64 v[46:47], v[44:45], v[46:47], 1.0
	v_fma_f64 v[44:45], v[44:45], v[46:47], 1.0
	v_ldexp_f64 v[42:43], v[44:45], v42
	v_cndmask_b32_e32 v43, 0x7ff00000, v43, vcc_lo
	s_and_b32 vcc_lo, s0, vcc_lo
	v_cndmask_b32_e32 v40, 0, v42, vcc_lo
	v_cndmask_b32_e64 v41, 0, v43, s0
	v_add_f64 v[38:39], v[40:41], v[38:39]
	v_max_f64 v[38:39], 0x38100000, v[38:39]
	v_frexp_mant_f64_e32 v[40:41], v[38:39]
	v_frexp_exp_i32_f64_e32 v42, v[38:39]
	v_cmp_gt_f64_e32 vcc_lo, s[40:41], v[40:41]
	v_cndmask_b32_e64 v43, 0, 1, vcc_lo
	v_subrev_co_ci_u32_e64 v54, null, 0, v42, vcc_lo
	v_cmp_neq_f64_e32 vcc_lo, 0x7ff00000, v[38:39]
	v_ldexp_f64 v[40:41], v[40:41], v43
	v_add_f64 v[44:45], v[40:41], 1.0
	v_add_f64 v[42:43], v[40:41], -1.0
	v_add_f64 v[46:47], v[44:45], -1.0
	v_add_f64 v[40:41], v[40:41], -v[46:47]
	v_rcp_f64_e32 v[46:47], v[44:45]
	v_fma_f64 v[48:49], -v[44:45], v[46:47], 1.0
	v_fma_f64 v[46:47], v[48:49], v[46:47], v[46:47]
	v_fma_f64 v[48:49], -v[44:45], v[46:47], 1.0
	v_fma_f64 v[46:47], v[48:49], v[46:47], v[46:47]
	v_mul_f64 v[48:49], v[42:43], v[46:47]
	v_mul_f64 v[50:51], v[44:45], v[48:49]
	v_fma_f64 v[44:45], v[48:49], v[44:45], -v[50:51]
	v_fma_f64 v[40:41], v[48:49], v[40:41], v[44:45]
	v_add_f64 v[44:45], v[50:51], v[40:41]
	v_add_f64 v[52:53], v[42:43], -v[44:45]
	v_add_f64 v[50:51], v[44:45], -v[50:51]
	;; [unrolled: 1-line block ×5, first 2 shown]
	v_add_f64 v[40:41], v[40:41], v[42:43]
	v_add_f64 v[40:41], v[52:53], v[40:41]
	v_mul_f64 v[40:41], v[46:47], v[40:41]
	v_add_f64 v[42:43], v[48:49], v[40:41]
	v_add_f64 v[44:45], v[42:43], -v[48:49]
	v_ldexp_f64 v[48:49], v[42:43], 1
	v_add_f64 v[40:41], v[40:41], -v[44:45]
	v_mul_f64 v[44:45], v[42:43], v[42:43]
	v_ldexp_f64 v[40:41], v[40:41], 1
	v_fma_f64 v[46:47], v[44:45], s[18:19], s[10:11]
	v_mul_f64 v[42:43], v[42:43], v[44:45]
	v_fma_f64 v[46:47], v[44:45], v[46:47], s[20:21]
	v_fma_f64 v[46:47], v[44:45], v[46:47], s[22:23]
	;; [unrolled: 1-line block ×5, first 2 shown]
	v_mul_f64 v[42:43], v[42:43], v[46:47]
	v_add_f64 v[44:45], v[48:49], v[42:43]
	v_add_f64 v[46:47], v[44:45], -v[48:49]
	v_add_f64 v[42:43], v[42:43], -v[46:47]
	v_add_f64 v[40:41], v[40:41], v[42:43]
	v_add_f64 v[42:43], v[44:45], v[40:41]
	v_add_f64 v[44:45], v[42:43], -v[44:45]
	v_add_f64 v[40:41], v[40:41], -v[44:45]
	v_cvt_f64_i32_e32 v[44:45], v54
	v_mul_f64 v[46:47], v[44:45], s[6:7]
	v_fma_f64 v[48:49], v[44:45], s[6:7], -v[46:47]
	v_fma_f64 v[44:45], v[44:45], s[8:9], v[48:49]
	v_add_f64 v[48:49], v[46:47], v[44:45]
	v_add_f64 v[46:47], v[48:49], -v[46:47]
	v_add_f64 v[44:45], v[44:45], -v[46:47]
	v_mul_f64 v[46:47], v[42:43], s[2:3]
	v_fma_f64 v[50:51], v[42:43], s[2:3], -v[46:47]
	v_fma_f64 v[40:41], v[40:41], s[2:3], v[50:51]
	v_fma_f64 v[40:41], v[42:43], s[4:5], v[40:41]
	v_add_f64 v[42:43], v[46:47], v[40:41]
	v_add_f64 v[46:47], v[42:43], -v[46:47]
	v_add_f64 v[40:41], v[40:41], -v[46:47]
	v_add_f64 v[46:47], v[48:49], v[42:43]
	v_add_f64 v[50:51], v[46:47], -v[48:49]
	v_add_f64 v[52:53], v[46:47], -v[50:51]
	;; [unrolled: 1-line block ×4, first 2 shown]
	v_add_f64 v[42:43], v[42:43], v[48:49]
	v_add_f64 v[48:49], v[44:45], v[40:41]
	v_add_f64 v[50:51], v[48:49], -v[44:45]
	v_add_f64 v[42:43], v[48:49], v[42:43]
	v_add_f64 v[52:53], v[48:49], -v[50:51]
	v_add_f64 v[40:41], v[40:41], -v[50:51]
	;; [unrolled: 1-line block ×3, first 2 shown]
	v_add_f64 v[40:41], v[40:41], v[44:45]
	v_add_f64 v[44:45], v[46:47], v[42:43]
	v_add_f64 v[46:47], v[44:45], -v[46:47]
	v_add_f64 v[42:43], v[42:43], -v[46:47]
	v_add_f64 v[40:41], v[40:41], v[42:43]
	v_add_f64 v[40:41], v[44:45], v[40:41]
	v_cndmask_b32_e32 v39, 0x7ff00000, v41, vcc_lo
	v_cndmask_b32_e32 v38, 0, v40, vcc_lo
	v_fma_f64 v[42:43], v[38:39], s[68:69], s[64:65]
	v_fma_f64 v[40:41], v[38:39], s[60:61], 0x3fe80000
	v_add_f64 v[36:37], v[36:37], -v[42:43]
	v_fma_f64 v[40:41], v[36:37], s[76:77], v[40:41]
	v_div_scale_f64 v[42:43], null, v[40:41], v[40:41], 1.0
	v_rcp_f64_e32 v[44:45], v[42:43]
	v_fma_f64 v[46:47], -v[42:43], v[44:45], 1.0
	v_fma_f64 v[44:45], v[44:45], v[46:47], v[44:45]
	v_fma_f64 v[46:47], -v[42:43], v[44:45], 1.0
	v_fma_f64 v[44:45], v[44:45], v[46:47], v[44:45]
	v_div_scale_f64 v[46:47], vcc_lo, 1.0, v[40:41], 1.0
	v_mul_f64 v[48:49], v[46:47], v[44:45]
	v_fma_f64 v[42:43], -v[42:43], v[48:49], v[46:47]
	v_div_fmas_f64 v[42:43], v[42:43], v[44:45], v[48:49]
	v_div_fixup_f64 v[40:41], v[42:43], v[40:41], 1.0
	v_mul_f64 v[36:37], v[36:37], v[40:41]
	v_fma_f64 v[36:37], v[36:37], v[36:37], 1.0
	v_div_scale_f64 v[40:41], null, v[36:37], v[36:37], 1.0
	v_rcp_f64_e32 v[42:43], v[40:41]
	v_fma_f64 v[44:45], -v[40:41], v[42:43], 1.0
	v_fma_f64 v[42:43], v[42:43], v[44:45], v[42:43]
	v_fma_f64 v[44:45], -v[40:41], v[42:43], 1.0
	v_fma_f64 v[42:43], v[42:43], v[44:45], v[42:43]
	v_div_scale_f64 v[44:45], vcc_lo, 1.0, v[36:37], 1.0
	v_mul_f64 v[46:47], v[44:45], v[42:43]
	v_fma_f64 v[40:41], -v[40:41], v[46:47], v[44:45]
	v_div_fmas_f64 v[40:41], v[40:41], v[42:43], v[46:47]
	v_div_fixup_f64 v[36:37], v[40:41], v[36:37], 1.0
	v_mul_f64 v[36:37], v[38:39], v[36:37]
	v_mul_f64 v[38:39], v[36:37], s[62:63]
	v_cmp_nlt_f64_e32 vcc_lo, 0x40900000, v[36:37]
	v_cmp_ngt_f64_e64 s0, 0xc090cc00, v[36:37]
	v_rndne_f64_e32 v[38:39], v[38:39]
	v_fma_f64 v[40:41], v[38:39], s[66:67], v[36:37]
	v_fma_f64 v[40:41], v[38:39], s[70:71], v[40:41]
	v_cvt_i32_f64_e32 v38, v[38:39]
	v_mul_f64 v[42:43], v[40:41], s[72:73]
	v_fma_f64 v[40:41], v[40:41], s[74:75], v[42:43]
	v_fma_f64 v[42:43], v[40:41], s[34:35], s[30:31]
	;; [unrolled: 1-line block ×10, first 2 shown]
	v_fma_f64 v[42:43], v[40:41], v[42:43], 1.0
	v_fma_f64 v[40:41], v[40:41], v[42:43], 1.0
	v_ldexp_f64 v[38:39], v[40:41], v38
	v_cndmask_b32_e32 v39, 0x7ff00000, v39, vcc_lo
	s_and_b32 vcc_lo, s0, vcc_lo
	v_cndmask_b32_e32 v36, 0, v38, vcc_lo
	v_add_co_u32 v28, vcc_lo, s14, v28
	v_cndmask_b32_e64 v37, 0, v39, s0
	v_add_co_ci_u32_e64 v29, null, s15, v29, vcc_lo
	v_add_co_u32 v26, vcc_lo, s16, v26
	v_mul_f64 v[34:35], v[34:35], v[36:37]
	v_add_co_ci_u32_e64 v27, null, s17, v27, vcc_lo
	s_mov_b32 s0, 0x8725af6e
	s_mov_b32 s1, 0xbf74cab8
	v_mul_f64 v[32:33], v[32:33], v[34:35]
	global_store_dwordx2 v[30:31], v[32:33], off
	global_load_dwordx2 v[30:31], v[28:29], off
	s_waitcnt vmcnt(0)
	v_mul_f64 v[30:31], v[30:31], v[34:35]
	global_load_dwordx2 v[33:34], v[26:27], off
	v_mad_u64_u32 v[26:27], null, s33, 9, v[2:3]
	v_mov_b32_e32 v27, v3
	global_store_dwordx2 v[28:29], v[30:31], off
	v_lshlrev_b64 v[27:28], 3, v[26:27]
	v_add_co_u32 v29, vcc_lo, s12, v27
	v_add_co_ci_u32_e64 v30, null, s13, v28, vcc_lo
	global_load_dwordx2 v[31:32], v[29:30], off
	s_waitcnt vmcnt(0)
	v_div_scale_f64 v[35:36], null, v[31:32], v[31:32], 1.0
	v_rcp_f64_e32 v[37:38], v[35:36]
	v_fma_f64 v[39:40], -v[35:36], v[37:38], 1.0
	v_fma_f64 v[37:38], v[37:38], v[39:40], v[37:38]
	v_fma_f64 v[39:40], -v[35:36], v[37:38], 1.0
	v_fma_f64 v[37:38], v[37:38], v[39:40], v[37:38]
	v_div_scale_f64 v[39:40], vcc_lo, 1.0, v[31:32], 1.0
	v_mul_f64 v[41:42], v[39:40], v[37:38]
	v_fma_f64 v[35:36], -v[35:36], v[41:42], v[39:40]
	v_div_fmas_f64 v[35:36], v[35:36], v[37:38], v[41:42]
	v_div_fixup_f64 v[35:36], v[35:36], v[31:32], 1.0
	v_mul_f64 v[35:36], v[8:9], v[35:36]
	v_mul_f64 v[37:38], v[33:34], v[35:36]
	v_fma_f64 v[33:34], v[33:34], v[35:36], 1.0
	v_div_scale_f64 v[35:36], null, v[33:34], v[33:34], 1.0
	v_rcp_f64_e32 v[39:40], v[35:36]
	v_fma_f64 v[41:42], -v[35:36], v[39:40], 1.0
	v_fma_f64 v[39:40], v[39:40], v[41:42], v[39:40]
	v_fma_f64 v[41:42], -v[35:36], v[39:40], 1.0
	v_fma_f64 v[39:40], v[39:40], v[41:42], v[39:40]
	v_div_scale_f64 v[41:42], vcc_lo, 1.0, v[33:34], 1.0
	v_mul_f64 v[43:44], v[41:42], v[39:40]
	v_fma_f64 v[35:36], -v[35:36], v[43:44], v[41:42]
	v_div_fmas_f64 v[35:36], v[35:36], v[39:40], v[43:44]
	v_div_fixup_f64 v[33:34], v[35:36], v[33:34], 1.0
	v_max_f64 v[35:36], 0x38100000, v[37:38]
	v_mul_f64 v[33:34], v[37:38], v[33:34]
	v_frexp_mant_f64_e32 v[37:38], v[35:36]
	v_frexp_exp_i32_f64_e32 v2, v[35:36]
	v_cmp_gt_f64_e32 vcc_lo, s[40:41], v[37:38]
	v_cndmask_b32_e64 v39, 0, 1, vcc_lo
	v_subrev_co_ci_u32_e64 v2, null, 0, v2, vcc_lo
	v_cmp_neq_f64_e32 vcc_lo, 0x7ff00000, v[35:36]
	v_ldexp_f64 v[37:38], v[37:38], v39
	v_add_f64 v[41:42], v[37:38], 1.0
	v_add_f64 v[39:40], v[37:38], -1.0
	v_add_f64 v[43:44], v[41:42], -1.0
	v_add_f64 v[37:38], v[37:38], -v[43:44]
	v_rcp_f64_e32 v[43:44], v[41:42]
	v_fma_f64 v[45:46], -v[41:42], v[43:44], 1.0
	v_fma_f64 v[43:44], v[45:46], v[43:44], v[43:44]
	v_fma_f64 v[45:46], -v[41:42], v[43:44], 1.0
	v_fma_f64 v[43:44], v[45:46], v[43:44], v[43:44]
	v_mul_f64 v[45:46], v[39:40], v[43:44]
	v_mul_f64 v[47:48], v[41:42], v[45:46]
	v_fma_f64 v[41:42], v[45:46], v[41:42], -v[47:48]
	v_fma_f64 v[37:38], v[45:46], v[37:38], v[41:42]
	v_add_f64 v[41:42], v[47:48], v[37:38]
	v_add_f64 v[49:50], v[39:40], -v[41:42]
	v_add_f64 v[47:48], v[41:42], -v[47:48]
	;; [unrolled: 1-line block ×5, first 2 shown]
	v_add_f64 v[37:38], v[37:38], v[39:40]
	v_add_f64 v[37:38], v[49:50], v[37:38]
	v_mul_f64 v[37:38], v[43:44], v[37:38]
	v_add_f64 v[39:40], v[45:46], v[37:38]
	v_add_f64 v[41:42], v[39:40], -v[45:46]
	v_ldexp_f64 v[45:46], v[39:40], 1
	v_add_f64 v[37:38], v[37:38], -v[41:42]
	v_mul_f64 v[41:42], v[39:40], v[39:40]
	v_ldexp_f64 v[37:38], v[37:38], 1
	v_fma_f64 v[43:44], v[41:42], s[18:19], s[10:11]
	v_mul_f64 v[39:40], v[39:40], v[41:42]
	v_fma_f64 v[43:44], v[41:42], v[43:44], s[20:21]
	v_fma_f64 v[43:44], v[41:42], v[43:44], s[22:23]
	;; [unrolled: 1-line block ×5, first 2 shown]
	v_mul_f64 v[39:40], v[39:40], v[43:44]
	v_add_f64 v[41:42], v[45:46], v[39:40]
	v_add_f64 v[43:44], v[41:42], -v[45:46]
	v_add_f64 v[39:40], v[39:40], -v[43:44]
	v_add_f64 v[37:38], v[37:38], v[39:40]
	v_add_f64 v[39:40], v[41:42], v[37:38]
	v_add_f64 v[41:42], v[39:40], -v[41:42]
	v_add_f64 v[37:38], v[37:38], -v[41:42]
	v_cvt_f64_i32_e32 v[41:42], v2
	v_mul_f64 v[43:44], v[41:42], s[6:7]
	v_fma_f64 v[45:46], v[41:42], s[6:7], -v[43:44]
	v_fma_f64 v[41:42], v[41:42], s[8:9], v[45:46]
	v_add_f64 v[45:46], v[43:44], v[41:42]
	v_add_f64 v[43:44], v[45:46], -v[43:44]
	v_add_f64 v[41:42], v[41:42], -v[43:44]
	v_mul_f64 v[43:44], v[39:40], s[2:3]
	v_fma_f64 v[47:48], v[39:40], s[2:3], -v[43:44]
	v_fma_f64 v[37:38], v[37:38], s[2:3], v[47:48]
	v_fma_f64 v[37:38], v[39:40], s[4:5], v[37:38]
	v_add_f64 v[39:40], v[43:44], v[37:38]
	v_add_f64 v[43:44], v[39:40], -v[43:44]
	v_add_f64 v[37:38], v[37:38], -v[43:44]
	v_add_f64 v[43:44], v[45:46], v[39:40]
	v_add_f64 v[47:48], v[43:44], -v[45:46]
	v_add_f64 v[49:50], v[43:44], -v[47:48]
	;; [unrolled: 1-line block ×4, first 2 shown]
	v_add_f64 v[39:40], v[39:40], v[45:46]
	v_add_f64 v[45:46], v[41:42], v[37:38]
	v_add_f64 v[47:48], v[45:46], -v[41:42]
	v_add_f64 v[39:40], v[45:46], v[39:40]
	v_add_f64 v[49:50], v[45:46], -v[47:48]
	v_add_f64 v[37:38], v[37:38], -v[47:48]
	;; [unrolled: 1-line block ×3, first 2 shown]
	v_add_f64 v[37:38], v[37:38], v[41:42]
	v_add_f64 v[41:42], v[43:44], v[39:40]
	v_add_f64 v[43:44], v[41:42], -v[43:44]
	v_add_f64 v[39:40], v[39:40], -v[43:44]
	v_add_f64 v[37:38], v[37:38], v[39:40]
	v_add_f64 v[37:38], v[41:42], v[37:38]
	v_cndmask_b32_e32 v36, 0x7ff00000, v38, vcc_lo
	v_cndmask_b32_e32 v35, 0, v37, vcc_lo
	v_mul_f64 v[37:38], v[0:1], s[0:1]
	s_mov_b32 s0, 0xb020c49c
	s_mov_b32 s1, 0x3fb16872
	v_mul_f64 v[39:40], v[37:38], s[54:55]
	v_cmp_nlt_f64_e32 vcc_lo, 0x40900000, v[37:38]
	v_rndne_f64_e32 v[39:40], v[39:40]
	v_fma_f64 v[41:42], v[39:40], s[56:57], v[37:38]
	v_cvt_i32_f64_e32 v2, v[39:40]
	v_fma_f64 v[41:42], v[39:40], s[58:59], v[41:42]
	v_fma_f64 v[43:44], v[41:42], s[34:35], s[30:31]
	;; [unrolled: 1-line block ×10, first 2 shown]
	v_fma_f64 v[43:44], v[41:42], v[43:44], 1.0
	v_fma_f64 v[41:42], v[41:42], v[43:44], 1.0
	v_ldexp_f64 v[39:40], v[41:42], v2
	v_mul_f64 v[39:40], v[39:40], s[0:1]
	v_cmp_ngt_f64_e64 s0, 0xc090cc00, v[37:38]
	v_cndmask_b32_e32 v2, 0x7ff00000, v40, vcc_lo
	s_and_b32 vcc_lo, s0, vcc_lo
	v_cndmask_b32_e32 v37, 0, v39, vcc_lo
	v_cndmask_b32_e64 v38, 0, v2, s0
	s_mov_b32 s0, 0xe6bb82fe
	s_mov_b32 s1, 0xbf454725
	v_mul_f64 v[39:40], v[0:1], s[0:1]
	s_mov_b32 s0, 0xa9fbe76d
	s_mov_b32 s1, 0x3fedd2f1
	v_mul_f64 v[41:42], v[39:40], s[54:55]
	v_cmp_nlt_f64_e32 vcc_lo, 0x40900000, v[39:40]
	v_rndne_f64_e32 v[41:42], v[41:42]
	v_fma_f64 v[43:44], v[41:42], s[56:57], v[39:40]
	v_cvt_i32_f64_e32 v2, v[41:42]
	v_fma_f64 v[43:44], v[41:42], s[58:59], v[43:44]
	v_fma_f64 v[45:46], v[43:44], s[34:35], s[30:31]
	;; [unrolled: 1-line block ×10, first 2 shown]
	v_fma_f64 v[45:46], v[43:44], v[45:46], 1.0
	v_fma_f64 v[43:44], v[43:44], v[45:46], 1.0
	v_ldexp_f64 v[41:42], v[43:44], v2
	v_mul_f64 v[41:42], v[41:42], s[0:1]
	v_cmp_ngt_f64_e64 s0, 0xc090cc00, v[39:40]
	v_cndmask_b32_e32 v2, 0x7ff00000, v42, vcc_lo
	s_and_b32 vcc_lo, s0, vcc_lo
	v_cndmask_b32_e32 v39, 0, v41, vcc_lo
	v_cndmask_b32_e64 v40, 0, v2, s0
	v_add_f64 v[37:38], v[37:38], v[39:40]
	v_mul_f64 v[39:40], 0xc0c41e00, v[12:13]
	v_mul_f64 v[41:42], v[39:40], s[54:55]
	v_cmp_nlt_f64_e32 vcc_lo, 0x40900000, v[39:40]
	v_cmp_ngt_f64_e64 s0, 0xc090cc00, v[39:40]
	v_rndne_f64_e32 v[41:42], v[41:42]
	v_fma_f64 v[43:44], v[41:42], s[56:57], v[39:40]
	v_cvt_i32_f64_e32 v2, v[41:42]
	v_fma_f64 v[43:44], v[41:42], s[58:59], v[43:44]
	v_fma_f64 v[45:46], v[43:44], s[34:35], s[30:31]
	;; [unrolled: 1-line block ×10, first 2 shown]
	v_fma_f64 v[45:46], v[43:44], v[45:46], 1.0
	v_fma_f64 v[43:44], v[43:44], v[45:46], 1.0
	v_ldexp_f64 v[41:42], v[43:44], v2
	v_cndmask_b32_e32 v2, 0x7ff00000, v42, vcc_lo
	s_and_b32 vcc_lo, s0, vcc_lo
	v_cndmask_b32_e32 v39, 0, v41, vcc_lo
	v_cndmask_b32_e64 v40, 0, v2, s0
	v_add_f64 v[37:38], v[39:40], v[37:38]
	v_max_f64 v[37:38], 0x38100000, v[37:38]
	v_frexp_mant_f64_e32 v[39:40], v[37:38]
	v_frexp_exp_i32_f64_e32 v2, v[37:38]
	v_cmp_gt_f64_e32 vcc_lo, s[40:41], v[39:40]
	v_cndmask_b32_e64 v41, 0, 1, vcc_lo
	v_subrev_co_ci_u32_e64 v2, null, 0, v2, vcc_lo
	v_cmp_neq_f64_e32 vcc_lo, 0x7ff00000, v[37:38]
	v_ldexp_f64 v[39:40], v[39:40], v41
	v_add_f64 v[43:44], v[39:40], 1.0
	v_add_f64 v[41:42], v[39:40], -1.0
	v_add_f64 v[45:46], v[43:44], -1.0
	v_add_f64 v[39:40], v[39:40], -v[45:46]
	v_rcp_f64_e32 v[45:46], v[43:44]
	v_fma_f64 v[47:48], -v[43:44], v[45:46], 1.0
	v_fma_f64 v[45:46], v[47:48], v[45:46], v[45:46]
	v_fma_f64 v[47:48], -v[43:44], v[45:46], 1.0
	v_fma_f64 v[45:46], v[47:48], v[45:46], v[45:46]
	v_mul_f64 v[47:48], v[41:42], v[45:46]
	v_mul_f64 v[49:50], v[43:44], v[47:48]
	v_fma_f64 v[43:44], v[47:48], v[43:44], -v[49:50]
	v_fma_f64 v[39:40], v[47:48], v[39:40], v[43:44]
	v_add_f64 v[43:44], v[49:50], v[39:40]
	v_add_f64 v[51:52], v[41:42], -v[43:44]
	v_add_f64 v[49:50], v[43:44], -v[49:50]
	;; [unrolled: 1-line block ×5, first 2 shown]
	v_add_f64 v[39:40], v[39:40], v[41:42]
	v_add_f64 v[39:40], v[51:52], v[39:40]
	v_mul_f64 v[39:40], v[45:46], v[39:40]
	v_add_f64 v[41:42], v[47:48], v[39:40]
	v_add_f64 v[43:44], v[41:42], -v[47:48]
	v_ldexp_f64 v[47:48], v[41:42], 1
	v_add_f64 v[39:40], v[39:40], -v[43:44]
	v_mul_f64 v[43:44], v[41:42], v[41:42]
	v_ldexp_f64 v[39:40], v[39:40], 1
	v_fma_f64 v[45:46], v[43:44], s[18:19], s[10:11]
	v_mul_f64 v[41:42], v[41:42], v[43:44]
	v_fma_f64 v[45:46], v[43:44], v[45:46], s[20:21]
	v_fma_f64 v[45:46], v[43:44], v[45:46], s[22:23]
	;; [unrolled: 1-line block ×5, first 2 shown]
	v_mul_f64 v[41:42], v[41:42], v[45:46]
	v_add_f64 v[43:44], v[47:48], v[41:42]
	v_add_f64 v[45:46], v[43:44], -v[47:48]
	v_add_f64 v[41:42], v[41:42], -v[45:46]
	v_add_f64 v[39:40], v[39:40], v[41:42]
	v_add_f64 v[41:42], v[43:44], v[39:40]
	v_add_f64 v[43:44], v[41:42], -v[43:44]
	v_add_f64 v[39:40], v[39:40], -v[43:44]
	v_cvt_f64_i32_e32 v[43:44], v2
	v_mul_f64 v[45:46], v[43:44], s[6:7]
	v_fma_f64 v[47:48], v[43:44], s[6:7], -v[45:46]
	v_fma_f64 v[43:44], v[43:44], s[8:9], v[47:48]
	v_add_f64 v[47:48], v[45:46], v[43:44]
	v_add_f64 v[45:46], v[47:48], -v[45:46]
	v_add_f64 v[43:44], v[43:44], -v[45:46]
	v_mul_f64 v[45:46], v[41:42], s[2:3]
	v_fma_f64 v[49:50], v[41:42], s[2:3], -v[45:46]
	v_fma_f64 v[39:40], v[39:40], s[2:3], v[49:50]
	v_fma_f64 v[39:40], v[41:42], s[4:5], v[39:40]
	v_add_f64 v[41:42], v[45:46], v[39:40]
	v_add_f64 v[45:46], v[41:42], -v[45:46]
	v_add_f64 v[39:40], v[39:40], -v[45:46]
	v_add_f64 v[45:46], v[47:48], v[41:42]
	v_add_f64 v[49:50], v[45:46], -v[47:48]
	v_add_f64 v[51:52], v[45:46], -v[49:50]
	;; [unrolled: 1-line block ×4, first 2 shown]
	v_add_f64 v[41:42], v[41:42], v[47:48]
	v_add_f64 v[47:48], v[43:44], v[39:40]
	v_add_f64 v[49:50], v[47:48], -v[43:44]
	v_add_f64 v[41:42], v[47:48], v[41:42]
	v_add_f64 v[51:52], v[47:48], -v[49:50]
	v_add_f64 v[39:40], v[39:40], -v[49:50]
	;; [unrolled: 1-line block ×3, first 2 shown]
	v_add_f64 v[39:40], v[39:40], v[43:44]
	v_add_f64 v[43:44], v[45:46], v[41:42]
	v_add_f64 v[45:46], v[43:44], -v[45:46]
	v_add_f64 v[41:42], v[41:42], -v[45:46]
	v_add_f64 v[39:40], v[39:40], v[41:42]
	v_add_f64 v[39:40], v[43:44], v[39:40]
	v_cndmask_b32_e32 v38, 0x7ff00000, v40, vcc_lo
	v_cndmask_b32_e32 v37, 0, v39, vcc_lo
	v_fma_f64 v[41:42], v[37:38], s[68:69], s[64:65]
	v_fma_f64 v[39:40], v[37:38], s[60:61], 0x3fe80000
	v_add_f64 v[35:36], v[35:36], -v[41:42]
	v_fma_f64 v[39:40], v[35:36], s[76:77], v[39:40]
	v_div_scale_f64 v[41:42], null, v[39:40], v[39:40], 1.0
	v_rcp_f64_e32 v[43:44], v[41:42]
	v_fma_f64 v[45:46], -v[41:42], v[43:44], 1.0
	v_fma_f64 v[43:44], v[43:44], v[45:46], v[43:44]
	v_fma_f64 v[45:46], -v[41:42], v[43:44], 1.0
	v_fma_f64 v[43:44], v[43:44], v[45:46], v[43:44]
	v_div_scale_f64 v[45:46], vcc_lo, 1.0, v[39:40], 1.0
	v_mul_f64 v[47:48], v[45:46], v[43:44]
	v_fma_f64 v[41:42], -v[41:42], v[47:48], v[45:46]
	v_div_fmas_f64 v[41:42], v[41:42], v[43:44], v[47:48]
	v_div_fixup_f64 v[39:40], v[41:42], v[39:40], 1.0
	v_mul_f64 v[35:36], v[35:36], v[39:40]
	v_fma_f64 v[35:36], v[35:36], v[35:36], 1.0
	v_div_scale_f64 v[39:40], null, v[35:36], v[35:36], 1.0
	v_rcp_f64_e32 v[41:42], v[39:40]
	v_fma_f64 v[43:44], -v[39:40], v[41:42], 1.0
	v_fma_f64 v[41:42], v[41:42], v[43:44], v[41:42]
	v_fma_f64 v[43:44], -v[39:40], v[41:42], 1.0
	v_fma_f64 v[41:42], v[41:42], v[43:44], v[41:42]
	v_div_scale_f64 v[43:44], vcc_lo, 1.0, v[35:36], 1.0
	v_mul_f64 v[45:46], v[43:44], v[41:42]
	v_fma_f64 v[39:40], -v[39:40], v[45:46], v[43:44]
	v_div_fmas_f64 v[39:40], v[39:40], v[41:42], v[45:46]
	v_div_fixup_f64 v[35:36], v[39:40], v[35:36], 1.0
	v_mul_f64 v[35:36], v[37:38], v[35:36]
	v_mul_f64 v[37:38], v[35:36], s[62:63]
	v_cmp_nlt_f64_e32 vcc_lo, 0x40900000, v[35:36]
	v_cmp_ngt_f64_e64 s0, 0xc090cc00, v[35:36]
	v_rndne_f64_e32 v[37:38], v[37:38]
	v_fma_f64 v[39:40], v[37:38], s[66:67], v[35:36]
	v_cvt_i32_f64_e32 v2, v[37:38]
	v_fma_f64 v[39:40], v[37:38], s[70:71], v[39:40]
	v_mul_f64 v[41:42], v[39:40], s[72:73]
	v_fma_f64 v[39:40], v[39:40], s[74:75], v[41:42]
	v_fma_f64 v[41:42], v[39:40], s[34:35], s[30:31]
	;; [unrolled: 1-line block ×10, first 2 shown]
	v_fma_f64 v[41:42], v[39:40], v[41:42], 1.0
	v_fma_f64 v[39:40], v[39:40], v[41:42], 1.0
	v_ldexp_f64 v[37:38], v[39:40], v2
	v_cndmask_b32_e32 v2, 0x7ff00000, v38, vcc_lo
	s_and_b32 vcc_lo, s0, vcc_lo
	v_cndmask_b32_e32 v35, 0, v37, vcc_lo
	v_add_co_u32 v27, vcc_lo, s14, v27
	v_cndmask_b32_e64 v36, 0, v2, s0
	v_add_co_ci_u32_e64 v28, null, s15, v28, vcc_lo
	s_mov_b32 s0, 0xe0acd3b
	s_mov_b32 s1, 0xbf71485f
	v_mul_f64 v[33:34], v[33:34], v[35:36]
	v_mul_f64 v[31:32], v[31:32], v[33:34]
	global_store_dwordx2 v[29:30], v[31:32], off
	global_load_dwordx2 v[29:30], v[27:28], off
	s_waitcnt vmcnt(0)
	v_mul_f64 v[29:30], v[29:30], v[33:34]
	global_store_dwordx2 v[27:28], v[29:30], off
	v_mad_u64_u32 v[26:27], null, 0xffffffe4, s33, v[26:27]
	v_mov_b32_e32 v27, v3
	v_lshlrev_b64 v[28:29], 3, v[26:27]
	v_mad_u64_u32 v[26:27], null, s33, 36, v[26:27]
	v_mov_b32_e32 v27, v3
	v_add_co_u32 v28, vcc_lo, s16, v28
	v_add_co_ci_u32_e64 v29, null, s17, v29, vcc_lo
	global_load_dwordx2 v[33:34], v[28:29], off
	v_lshlrev_b64 v[27:28], 3, v[26:27]
	v_add_co_u32 v29, vcc_lo, s12, v27
	v_add_co_ci_u32_e64 v30, null, s13, v28, vcc_lo
	global_load_dwordx2 v[31:32], v[29:30], off
	s_waitcnt vmcnt(0)
	v_div_scale_f64 v[35:36], null, v[31:32], v[31:32], 1.0
	v_rcp_f64_e32 v[37:38], v[35:36]
	v_fma_f64 v[39:40], -v[35:36], v[37:38], 1.0
	v_fma_f64 v[37:38], v[37:38], v[39:40], v[37:38]
	v_fma_f64 v[39:40], -v[35:36], v[37:38], 1.0
	v_fma_f64 v[37:38], v[37:38], v[39:40], v[37:38]
	v_div_scale_f64 v[39:40], vcc_lo, 1.0, v[31:32], 1.0
	v_mul_f64 v[41:42], v[39:40], v[37:38]
	v_fma_f64 v[35:36], -v[35:36], v[41:42], v[39:40]
	v_div_fmas_f64 v[35:36], v[35:36], v[37:38], v[41:42]
	v_div_fixup_f64 v[35:36], v[35:36], v[31:32], 1.0
	v_mul_f64 v[35:36], v[8:9], v[35:36]
	v_mul_f64 v[37:38], v[33:34], v[35:36]
	v_fma_f64 v[33:34], v[33:34], v[35:36], 1.0
	v_div_scale_f64 v[35:36], null, v[33:34], v[33:34], 1.0
	v_rcp_f64_e32 v[39:40], v[35:36]
	v_fma_f64 v[41:42], -v[35:36], v[39:40], 1.0
	v_fma_f64 v[39:40], v[39:40], v[41:42], v[39:40]
	v_fma_f64 v[41:42], -v[35:36], v[39:40], 1.0
	v_fma_f64 v[39:40], v[39:40], v[41:42], v[39:40]
	v_div_scale_f64 v[41:42], vcc_lo, 1.0, v[33:34], 1.0
	v_mul_f64 v[43:44], v[41:42], v[39:40]
	v_fma_f64 v[35:36], -v[35:36], v[43:44], v[41:42]
	v_div_fmas_f64 v[35:36], v[35:36], v[39:40], v[43:44]
	v_div_fixup_f64 v[33:34], v[35:36], v[33:34], 1.0
	v_max_f64 v[35:36], 0x38100000, v[37:38]
	v_mul_f64 v[33:34], v[37:38], v[33:34]
	v_frexp_mant_f64_e32 v[37:38], v[35:36]
	v_frexp_exp_i32_f64_e32 v2, v[35:36]
	v_cmp_gt_f64_e32 vcc_lo, s[40:41], v[37:38]
	v_cndmask_b32_e64 v39, 0, 1, vcc_lo
	v_subrev_co_ci_u32_e64 v2, null, 0, v2, vcc_lo
	v_cmp_neq_f64_e32 vcc_lo, 0x7ff00000, v[35:36]
	v_ldexp_f64 v[37:38], v[37:38], v39
	v_add_f64 v[41:42], v[37:38], 1.0
	v_add_f64 v[39:40], v[37:38], -1.0
	v_add_f64 v[43:44], v[41:42], -1.0
	v_add_f64 v[37:38], v[37:38], -v[43:44]
	v_rcp_f64_e32 v[43:44], v[41:42]
	v_fma_f64 v[45:46], -v[41:42], v[43:44], 1.0
	v_fma_f64 v[43:44], v[45:46], v[43:44], v[43:44]
	v_fma_f64 v[45:46], -v[41:42], v[43:44], 1.0
	v_fma_f64 v[43:44], v[45:46], v[43:44], v[43:44]
	v_mul_f64 v[45:46], v[39:40], v[43:44]
	v_mul_f64 v[47:48], v[41:42], v[45:46]
	v_fma_f64 v[41:42], v[45:46], v[41:42], -v[47:48]
	v_fma_f64 v[37:38], v[45:46], v[37:38], v[41:42]
	v_add_f64 v[41:42], v[47:48], v[37:38]
	v_add_f64 v[49:50], v[39:40], -v[41:42]
	v_add_f64 v[47:48], v[41:42], -v[47:48]
	;; [unrolled: 1-line block ×5, first 2 shown]
	v_add_f64 v[37:38], v[37:38], v[39:40]
	v_add_f64 v[37:38], v[49:50], v[37:38]
	v_mul_f64 v[37:38], v[43:44], v[37:38]
	v_add_f64 v[39:40], v[45:46], v[37:38]
	v_add_f64 v[41:42], v[39:40], -v[45:46]
	v_ldexp_f64 v[45:46], v[39:40], 1
	v_add_f64 v[37:38], v[37:38], -v[41:42]
	v_mul_f64 v[41:42], v[39:40], v[39:40]
	v_ldexp_f64 v[37:38], v[37:38], 1
	v_fma_f64 v[43:44], v[41:42], s[18:19], s[10:11]
	v_mul_f64 v[39:40], v[39:40], v[41:42]
	v_fma_f64 v[43:44], v[41:42], v[43:44], s[20:21]
	v_fma_f64 v[43:44], v[41:42], v[43:44], s[22:23]
	;; [unrolled: 1-line block ×5, first 2 shown]
	v_mul_f64 v[39:40], v[39:40], v[43:44]
	v_add_f64 v[41:42], v[45:46], v[39:40]
	v_add_f64 v[43:44], v[41:42], -v[45:46]
	v_add_f64 v[39:40], v[39:40], -v[43:44]
	v_add_f64 v[37:38], v[37:38], v[39:40]
	v_add_f64 v[39:40], v[41:42], v[37:38]
	v_add_f64 v[41:42], v[39:40], -v[41:42]
	v_add_f64 v[37:38], v[37:38], -v[41:42]
	v_cvt_f64_i32_e32 v[41:42], v2
	v_mul_f64 v[43:44], v[41:42], s[6:7]
	v_fma_f64 v[45:46], v[41:42], s[6:7], -v[43:44]
	v_fma_f64 v[41:42], v[41:42], s[8:9], v[45:46]
	v_add_f64 v[45:46], v[43:44], v[41:42]
	v_add_f64 v[43:44], v[45:46], -v[43:44]
	v_add_f64 v[41:42], v[41:42], -v[43:44]
	v_mul_f64 v[43:44], v[39:40], s[2:3]
	v_fma_f64 v[47:48], v[39:40], s[2:3], -v[43:44]
	v_fma_f64 v[37:38], v[37:38], s[2:3], v[47:48]
	v_fma_f64 v[37:38], v[39:40], s[4:5], v[37:38]
	v_add_f64 v[39:40], v[43:44], v[37:38]
	v_add_f64 v[43:44], v[39:40], -v[43:44]
	v_add_f64 v[37:38], v[37:38], -v[43:44]
	v_add_f64 v[43:44], v[45:46], v[39:40]
	v_add_f64 v[47:48], v[43:44], -v[45:46]
	v_add_f64 v[49:50], v[43:44], -v[47:48]
	;; [unrolled: 1-line block ×4, first 2 shown]
	v_add_f64 v[39:40], v[39:40], v[45:46]
	v_add_f64 v[45:46], v[41:42], v[37:38]
	v_add_f64 v[47:48], v[45:46], -v[41:42]
	v_add_f64 v[39:40], v[45:46], v[39:40]
	v_add_f64 v[49:50], v[45:46], -v[47:48]
	v_add_f64 v[37:38], v[37:38], -v[47:48]
	;; [unrolled: 1-line block ×3, first 2 shown]
	v_add_f64 v[37:38], v[37:38], v[41:42]
	v_add_f64 v[41:42], v[43:44], v[39:40]
	v_add_f64 v[43:44], v[41:42], -v[43:44]
	v_add_f64 v[39:40], v[39:40], -v[43:44]
	v_add_f64 v[37:38], v[37:38], v[39:40]
	v_add_f64 v[37:38], v[41:42], v[37:38]
	v_cndmask_b32_e32 v36, 0x7ff00000, v38, vcc_lo
	v_cndmask_b32_e32 v35, 0, v37, vcc_lo
	v_mul_f64 v[37:38], v[0:1], s[0:1]
	s_mov_b32 s0, 0x2fec56d6
	s_mov_b32 s1, 0x3fdb27bb
	v_mul_f64 v[39:40], v[37:38], s[54:55]
	v_cmp_nlt_f64_e32 vcc_lo, 0x40900000, v[37:38]
	v_rndne_f64_e32 v[39:40], v[39:40]
	v_fma_f64 v[41:42], v[39:40], s[56:57], v[37:38]
	v_cvt_i32_f64_e32 v2, v[39:40]
	v_fma_f64 v[41:42], v[39:40], s[58:59], v[41:42]
	v_fma_f64 v[43:44], v[41:42], s[34:35], s[30:31]
	;; [unrolled: 1-line block ×10, first 2 shown]
	v_fma_f64 v[43:44], v[41:42], v[43:44], 1.0
	v_fma_f64 v[41:42], v[41:42], v[43:44], 1.0
	v_ldexp_f64 v[39:40], v[41:42], v2
	v_mul_f64 v[39:40], v[39:40], s[0:1]
	v_cmp_ngt_f64_e64 s0, 0xc090cc00, v[37:38]
	v_cndmask_b32_e32 v2, 0x7ff00000, v40, vcc_lo
	s_and_b32 vcc_lo, s0, vcc_lo
	v_cndmask_b32_e32 v37, 0, v39, vcc_lo
	v_cndmask_b32_e64 v38, 0, v2, s0
	s_mov_b32 s0, 0x91aa75c6
	s_mov_b32 s1, 0xbf43d5d9
	v_mul_f64 v[39:40], v[0:1], s[0:1]
	s_mov_b32 s0, 0x6809d495
	s_mov_b32 s1, 0x3fe26c22
	v_mul_f64 v[41:42], v[39:40], s[54:55]
	v_cmp_nlt_f64_e32 vcc_lo, 0x40900000, v[39:40]
	v_rndne_f64_e32 v[41:42], v[41:42]
	v_fma_f64 v[43:44], v[41:42], s[56:57], v[39:40]
	v_cvt_i32_f64_e32 v2, v[41:42]
	v_fma_f64 v[43:44], v[41:42], s[58:59], v[43:44]
	v_fma_f64 v[45:46], v[43:44], s[34:35], s[30:31]
	;; [unrolled: 1-line block ×10, first 2 shown]
	v_fma_f64 v[45:46], v[43:44], v[45:46], 1.0
	v_fma_f64 v[43:44], v[43:44], v[45:46], 1.0
	v_ldexp_f64 v[41:42], v[43:44], v2
	v_mul_f64 v[41:42], v[41:42], s[0:1]
	v_cmp_ngt_f64_e64 s0, 0xc090cc00, v[39:40]
	v_cndmask_b32_e32 v2, 0x7ff00000, v42, vcc_lo
	s_and_b32 vcc_lo, s0, vcc_lo
	v_cndmask_b32_e32 v39, 0, v41, vcc_lo
	v_cndmask_b32_e64 v40, 0, v2, s0
	v_add_f64 v[37:38], v[37:38], v[39:40]
	v_mul_f64 v[39:40], 0xc0b3cd00, v[12:13]
	v_mul_f64 v[41:42], v[39:40], s[54:55]
	v_cmp_nlt_f64_e32 vcc_lo, 0x40900000, v[39:40]
	v_cmp_ngt_f64_e64 s0, 0xc090cc00, v[39:40]
	v_rndne_f64_e32 v[41:42], v[41:42]
	v_fma_f64 v[43:44], v[41:42], s[56:57], v[39:40]
	v_cvt_i32_f64_e32 v2, v[41:42]
	v_fma_f64 v[43:44], v[41:42], s[58:59], v[43:44]
	v_fma_f64 v[45:46], v[43:44], s[34:35], s[30:31]
	;; [unrolled: 1-line block ×10, first 2 shown]
	v_fma_f64 v[45:46], v[43:44], v[45:46], 1.0
	v_fma_f64 v[43:44], v[43:44], v[45:46], 1.0
	v_ldexp_f64 v[41:42], v[43:44], v2
	v_cndmask_b32_e32 v2, 0x7ff00000, v42, vcc_lo
	s_and_b32 vcc_lo, s0, vcc_lo
	v_cndmask_b32_e32 v39, 0, v41, vcc_lo
	v_cndmask_b32_e64 v40, 0, v2, s0
	v_add_f64 v[37:38], v[39:40], v[37:38]
	v_max_f64 v[37:38], 0x38100000, v[37:38]
	v_frexp_mant_f64_e32 v[39:40], v[37:38]
	v_frexp_exp_i32_f64_e32 v2, v[37:38]
	v_cmp_gt_f64_e32 vcc_lo, s[40:41], v[39:40]
	v_cndmask_b32_e64 v41, 0, 1, vcc_lo
	v_subrev_co_ci_u32_e64 v2, null, 0, v2, vcc_lo
	v_cmp_neq_f64_e32 vcc_lo, 0x7ff00000, v[37:38]
	v_ldexp_f64 v[39:40], v[39:40], v41
	v_add_f64 v[43:44], v[39:40], 1.0
	v_add_f64 v[41:42], v[39:40], -1.0
	v_add_f64 v[45:46], v[43:44], -1.0
	v_add_f64 v[39:40], v[39:40], -v[45:46]
	v_rcp_f64_e32 v[45:46], v[43:44]
	v_fma_f64 v[47:48], -v[43:44], v[45:46], 1.0
	v_fma_f64 v[45:46], v[47:48], v[45:46], v[45:46]
	v_fma_f64 v[47:48], -v[43:44], v[45:46], 1.0
	v_fma_f64 v[45:46], v[47:48], v[45:46], v[45:46]
	v_mul_f64 v[47:48], v[41:42], v[45:46]
	v_mul_f64 v[49:50], v[43:44], v[47:48]
	v_fma_f64 v[43:44], v[47:48], v[43:44], -v[49:50]
	v_fma_f64 v[39:40], v[47:48], v[39:40], v[43:44]
	v_add_f64 v[43:44], v[49:50], v[39:40]
	v_add_f64 v[51:52], v[41:42], -v[43:44]
	v_add_f64 v[49:50], v[43:44], -v[49:50]
	;; [unrolled: 1-line block ×5, first 2 shown]
	v_add_f64 v[39:40], v[39:40], v[41:42]
	v_add_f64 v[39:40], v[51:52], v[39:40]
	v_mul_f64 v[39:40], v[45:46], v[39:40]
	v_add_f64 v[41:42], v[47:48], v[39:40]
	v_add_f64 v[43:44], v[41:42], -v[47:48]
	v_ldexp_f64 v[47:48], v[41:42], 1
	v_add_f64 v[39:40], v[39:40], -v[43:44]
	v_mul_f64 v[43:44], v[41:42], v[41:42]
	v_ldexp_f64 v[39:40], v[39:40], 1
	v_fma_f64 v[45:46], v[43:44], s[18:19], s[10:11]
	v_mul_f64 v[41:42], v[41:42], v[43:44]
	v_fma_f64 v[45:46], v[43:44], v[45:46], s[20:21]
	v_fma_f64 v[45:46], v[43:44], v[45:46], s[22:23]
	v_fma_f64 v[45:46], v[43:44], v[45:46], s[24:25]
	v_fma_f64 v[45:46], v[43:44], v[45:46], s[26:27]
	v_fma_f64 v[45:46], v[43:44], v[45:46], s[28:29]
	v_mul_f64 v[41:42], v[41:42], v[45:46]
	v_add_f64 v[43:44], v[47:48], v[41:42]
	v_add_f64 v[45:46], v[43:44], -v[47:48]
	v_add_f64 v[41:42], v[41:42], -v[45:46]
	v_add_f64 v[39:40], v[39:40], v[41:42]
	v_add_f64 v[41:42], v[43:44], v[39:40]
	v_add_f64 v[43:44], v[41:42], -v[43:44]
	v_add_f64 v[39:40], v[39:40], -v[43:44]
	v_cvt_f64_i32_e32 v[43:44], v2
	v_mul_f64 v[45:46], v[43:44], s[6:7]
	v_fma_f64 v[47:48], v[43:44], s[6:7], -v[45:46]
	v_fma_f64 v[43:44], v[43:44], s[8:9], v[47:48]
	v_add_f64 v[47:48], v[45:46], v[43:44]
	v_add_f64 v[45:46], v[47:48], -v[45:46]
	v_add_f64 v[43:44], v[43:44], -v[45:46]
	v_mul_f64 v[45:46], v[41:42], s[2:3]
	v_fma_f64 v[49:50], v[41:42], s[2:3], -v[45:46]
	v_fma_f64 v[39:40], v[39:40], s[2:3], v[49:50]
	v_fma_f64 v[39:40], v[41:42], s[4:5], v[39:40]
	v_add_f64 v[41:42], v[45:46], v[39:40]
	v_add_f64 v[45:46], v[41:42], -v[45:46]
	v_add_f64 v[39:40], v[39:40], -v[45:46]
	v_add_f64 v[45:46], v[47:48], v[41:42]
	v_add_f64 v[49:50], v[45:46], -v[47:48]
	v_add_f64 v[51:52], v[45:46], -v[49:50]
	;; [unrolled: 1-line block ×4, first 2 shown]
	v_add_f64 v[41:42], v[41:42], v[47:48]
	v_add_f64 v[47:48], v[43:44], v[39:40]
	v_add_f64 v[49:50], v[47:48], -v[43:44]
	v_add_f64 v[41:42], v[47:48], v[41:42]
	v_add_f64 v[51:52], v[47:48], -v[49:50]
	v_add_f64 v[39:40], v[39:40], -v[49:50]
	;; [unrolled: 1-line block ×3, first 2 shown]
	v_add_f64 v[39:40], v[39:40], v[43:44]
	v_add_f64 v[43:44], v[45:46], v[41:42]
	v_add_f64 v[45:46], v[43:44], -v[45:46]
	v_add_f64 v[41:42], v[41:42], -v[45:46]
	v_add_f64 v[39:40], v[39:40], v[41:42]
	v_add_f64 v[39:40], v[43:44], v[39:40]
	v_cndmask_b32_e32 v38, 0x7ff00000, v40, vcc_lo
	v_cndmask_b32_e32 v37, 0, v39, vcc_lo
	v_fma_f64 v[41:42], v[37:38], s[68:69], s[64:65]
	v_fma_f64 v[39:40], v[37:38], s[60:61], 0x3fe80000
	v_add_f64 v[35:36], v[35:36], -v[41:42]
	v_fma_f64 v[39:40], v[35:36], s[76:77], v[39:40]
	v_div_scale_f64 v[41:42], null, v[39:40], v[39:40], 1.0
	v_rcp_f64_e32 v[43:44], v[41:42]
	v_fma_f64 v[45:46], -v[41:42], v[43:44], 1.0
	v_fma_f64 v[43:44], v[43:44], v[45:46], v[43:44]
	v_fma_f64 v[45:46], -v[41:42], v[43:44], 1.0
	v_fma_f64 v[43:44], v[43:44], v[45:46], v[43:44]
	v_div_scale_f64 v[45:46], vcc_lo, 1.0, v[39:40], 1.0
	v_mul_f64 v[47:48], v[45:46], v[43:44]
	v_fma_f64 v[41:42], -v[41:42], v[47:48], v[45:46]
	v_div_fmas_f64 v[41:42], v[41:42], v[43:44], v[47:48]
	v_div_fixup_f64 v[39:40], v[41:42], v[39:40], 1.0
	v_mul_f64 v[35:36], v[35:36], v[39:40]
	v_fma_f64 v[35:36], v[35:36], v[35:36], 1.0
	v_div_scale_f64 v[39:40], null, v[35:36], v[35:36], 1.0
	v_rcp_f64_e32 v[41:42], v[39:40]
	v_fma_f64 v[43:44], -v[39:40], v[41:42], 1.0
	v_fma_f64 v[41:42], v[41:42], v[43:44], v[41:42]
	v_fma_f64 v[43:44], -v[39:40], v[41:42], 1.0
	v_fma_f64 v[41:42], v[41:42], v[43:44], v[41:42]
	v_div_scale_f64 v[43:44], vcc_lo, 1.0, v[35:36], 1.0
	v_mul_f64 v[45:46], v[43:44], v[41:42]
	v_fma_f64 v[39:40], -v[39:40], v[45:46], v[43:44]
	v_div_fmas_f64 v[39:40], v[39:40], v[41:42], v[45:46]
	v_div_fixup_f64 v[35:36], v[39:40], v[35:36], 1.0
	v_mul_f64 v[35:36], v[37:38], v[35:36]
	v_mul_f64 v[37:38], v[35:36], s[62:63]
	v_cmp_nlt_f64_e32 vcc_lo, 0x40900000, v[35:36]
	v_cmp_ngt_f64_e64 s0, 0xc090cc00, v[35:36]
	v_rndne_f64_e32 v[37:38], v[37:38]
	v_fma_f64 v[39:40], v[37:38], s[66:67], v[35:36]
	v_cvt_i32_f64_e32 v2, v[37:38]
	v_fma_f64 v[39:40], v[37:38], s[70:71], v[39:40]
	v_mul_f64 v[41:42], v[39:40], s[72:73]
	v_fma_f64 v[39:40], v[39:40], s[74:75], v[41:42]
	v_fma_f64 v[41:42], v[39:40], s[34:35], s[30:31]
	v_fma_f64 v[41:42], v[39:40], v[41:42], s[36:37]
	v_fma_f64 v[41:42], v[39:40], v[41:42], s[38:39]
	v_fma_f64 v[41:42], v[39:40], v[41:42], s[42:43]
	v_fma_f64 v[41:42], v[39:40], v[41:42], s[44:45]
	v_fma_f64 v[41:42], v[39:40], v[41:42], s[46:47]
	v_fma_f64 v[41:42], v[39:40], v[41:42], s[48:49]
	v_fma_f64 v[41:42], v[39:40], v[41:42], s[50:51]
	v_fma_f64 v[41:42], v[39:40], v[41:42], s[52:53]
	v_fma_f64 v[41:42], v[39:40], v[41:42], 1.0
	v_fma_f64 v[39:40], v[39:40], v[41:42], 1.0
	v_ldexp_f64 v[37:38], v[39:40], v2
	v_cndmask_b32_e32 v2, 0x7ff00000, v38, vcc_lo
	s_and_b32 vcc_lo, s0, vcc_lo
	v_cndmask_b32_e32 v35, 0, v37, vcc_lo
	v_add_co_u32 v27, vcc_lo, s14, v27
	v_cndmask_b32_e64 v36, 0, v2, s0
	v_add_co_ci_u32_e64 v28, null, s15, v28, vcc_lo
	v_add_co_u32 v24, vcc_lo, s16, v24
	v_mul_f64 v[33:34], v[33:34], v[35:36]
	v_add_co_ci_u32_e64 v25, null, s17, v25, vcc_lo
	v_lshl_add_u32 v2, s33, 1, v26
	s_mov_b32 s0, 0x79dc1a73
	s_mov_b32 s1, 0xbf6e3a91
	v_mul_f64 v[31:32], v[31:32], v[33:34]
	global_store_dwordx2 v[29:30], v[31:32], off
	global_load_dwordx2 v[29:30], v[27:28], off
	s_waitcnt vmcnt(0)
	v_mul_f64 v[29:30], v[29:30], v[33:34]
	global_store_dwordx2 v[27:28], v[29:30], off
	global_load_dwordx2 v[30:31], v[24:25], off
	v_lshlrev_b64 v[24:25], 3, v[2:3]
	v_add_co_u32 v26, vcc_lo, s12, v24
	v_add_co_ci_u32_e64 v27, null, s13, v25, vcc_lo
	global_load_dwordx2 v[28:29], v[26:27], off
	s_waitcnt vmcnt(0)
	v_div_scale_f64 v[32:33], null, v[28:29], v[28:29], 1.0
	v_rcp_f64_e32 v[34:35], v[32:33]
	v_fma_f64 v[36:37], -v[32:33], v[34:35], 1.0
	v_fma_f64 v[34:35], v[34:35], v[36:37], v[34:35]
	v_fma_f64 v[36:37], -v[32:33], v[34:35], 1.0
	v_fma_f64 v[34:35], v[34:35], v[36:37], v[34:35]
	v_div_scale_f64 v[36:37], vcc_lo, 1.0, v[28:29], 1.0
	v_mul_f64 v[38:39], v[36:37], v[34:35]
	v_fma_f64 v[32:33], -v[32:33], v[38:39], v[36:37]
	v_div_fmas_f64 v[32:33], v[32:33], v[34:35], v[38:39]
	v_div_fixup_f64 v[32:33], v[32:33], v[28:29], 1.0
	v_mul_f64 v[32:33], v[8:9], v[32:33]
	v_mul_f64 v[34:35], v[30:31], v[32:33]
	v_fma_f64 v[30:31], v[30:31], v[32:33], 1.0
	v_div_scale_f64 v[32:33], null, v[30:31], v[30:31], 1.0
	v_rcp_f64_e32 v[36:37], v[32:33]
	v_fma_f64 v[38:39], -v[32:33], v[36:37], 1.0
	v_fma_f64 v[36:37], v[36:37], v[38:39], v[36:37]
	v_fma_f64 v[38:39], -v[32:33], v[36:37], 1.0
	v_fma_f64 v[36:37], v[36:37], v[38:39], v[36:37]
	v_div_scale_f64 v[38:39], vcc_lo, 1.0, v[30:31], 1.0
	v_mul_f64 v[40:41], v[38:39], v[36:37]
	v_fma_f64 v[32:33], -v[32:33], v[40:41], v[38:39]
	v_div_fmas_f64 v[32:33], v[32:33], v[36:37], v[40:41]
	v_div_fixup_f64 v[30:31], v[32:33], v[30:31], 1.0
	v_max_f64 v[32:33], 0x38100000, v[34:35]
	v_mul_f64 v[30:31], v[34:35], v[30:31]
	v_frexp_mant_f64_e32 v[34:35], v[32:33]
	v_frexp_exp_i32_f64_e32 v36, v[32:33]
	v_cmp_gt_f64_e32 vcc_lo, s[40:41], v[34:35]
	v_cndmask_b32_e64 v37, 0, 1, vcc_lo
	v_subrev_co_ci_u32_e64 v48, null, 0, v36, vcc_lo
	v_cmp_neq_f64_e32 vcc_lo, 0x7ff00000, v[32:33]
	v_ldexp_f64 v[34:35], v[34:35], v37
	v_add_f64 v[38:39], v[34:35], 1.0
	v_add_f64 v[36:37], v[34:35], -1.0
	v_add_f64 v[40:41], v[38:39], -1.0
	v_add_f64 v[34:35], v[34:35], -v[40:41]
	v_rcp_f64_e32 v[40:41], v[38:39]
	v_fma_f64 v[42:43], -v[38:39], v[40:41], 1.0
	v_fma_f64 v[40:41], v[42:43], v[40:41], v[40:41]
	v_fma_f64 v[42:43], -v[38:39], v[40:41], 1.0
	v_fma_f64 v[40:41], v[42:43], v[40:41], v[40:41]
	v_mul_f64 v[42:43], v[36:37], v[40:41]
	v_mul_f64 v[44:45], v[38:39], v[42:43]
	v_fma_f64 v[38:39], v[42:43], v[38:39], -v[44:45]
	v_fma_f64 v[34:35], v[42:43], v[34:35], v[38:39]
	v_add_f64 v[38:39], v[44:45], v[34:35]
	v_add_f64 v[46:47], v[36:37], -v[38:39]
	v_add_f64 v[44:45], v[38:39], -v[44:45]
	;; [unrolled: 1-line block ×5, first 2 shown]
	v_add_f64 v[34:35], v[34:35], v[36:37]
	v_add_f64 v[34:35], v[46:47], v[34:35]
	v_mul_f64 v[34:35], v[40:41], v[34:35]
	v_add_f64 v[36:37], v[42:43], v[34:35]
	v_add_f64 v[38:39], v[36:37], -v[42:43]
	v_ldexp_f64 v[42:43], v[36:37], 1
	v_add_f64 v[34:35], v[34:35], -v[38:39]
	v_mul_f64 v[38:39], v[36:37], v[36:37]
	v_ldexp_f64 v[34:35], v[34:35], 1
	v_fma_f64 v[40:41], v[38:39], s[18:19], s[10:11]
	v_mul_f64 v[36:37], v[36:37], v[38:39]
	v_fma_f64 v[40:41], v[38:39], v[40:41], s[20:21]
	v_fma_f64 v[40:41], v[38:39], v[40:41], s[22:23]
	;; [unrolled: 1-line block ×5, first 2 shown]
	v_mul_f64 v[36:37], v[36:37], v[40:41]
	v_add_f64 v[38:39], v[42:43], v[36:37]
	v_add_f64 v[40:41], v[38:39], -v[42:43]
	v_add_f64 v[36:37], v[36:37], -v[40:41]
	v_add_f64 v[34:35], v[34:35], v[36:37]
	v_add_f64 v[36:37], v[38:39], v[34:35]
	v_add_f64 v[38:39], v[36:37], -v[38:39]
	v_add_f64 v[34:35], v[34:35], -v[38:39]
	v_cvt_f64_i32_e32 v[38:39], v48
	v_mul_f64 v[40:41], v[38:39], s[6:7]
	v_fma_f64 v[42:43], v[38:39], s[6:7], -v[40:41]
	v_fma_f64 v[38:39], v[38:39], s[8:9], v[42:43]
	v_add_f64 v[42:43], v[40:41], v[38:39]
	v_add_f64 v[40:41], v[42:43], -v[40:41]
	v_add_f64 v[38:39], v[38:39], -v[40:41]
	v_mul_f64 v[40:41], v[36:37], s[2:3]
	v_fma_f64 v[44:45], v[36:37], s[2:3], -v[40:41]
	v_fma_f64 v[34:35], v[34:35], s[2:3], v[44:45]
	v_fma_f64 v[34:35], v[36:37], s[4:5], v[34:35]
	v_add_f64 v[36:37], v[40:41], v[34:35]
	v_add_f64 v[40:41], v[36:37], -v[40:41]
	v_add_f64 v[34:35], v[34:35], -v[40:41]
	v_add_f64 v[40:41], v[42:43], v[36:37]
	v_add_f64 v[44:45], v[40:41], -v[42:43]
	v_add_f64 v[46:47], v[40:41], -v[44:45]
	;; [unrolled: 1-line block ×4, first 2 shown]
	v_add_f64 v[36:37], v[36:37], v[42:43]
	v_add_f64 v[42:43], v[38:39], v[34:35]
	v_add_f64 v[44:45], v[42:43], -v[38:39]
	v_add_f64 v[36:37], v[42:43], v[36:37]
	v_add_f64 v[46:47], v[42:43], -v[44:45]
	v_add_f64 v[34:35], v[34:35], -v[44:45]
	;; [unrolled: 1-line block ×3, first 2 shown]
	v_add_f64 v[34:35], v[34:35], v[38:39]
	v_add_f64 v[38:39], v[40:41], v[36:37]
	v_add_f64 v[40:41], v[38:39], -v[40:41]
	v_add_f64 v[36:37], v[36:37], -v[40:41]
	v_add_f64 v[34:35], v[34:35], v[36:37]
	v_add_f64 v[34:35], v[38:39], v[34:35]
	v_cndmask_b32_e32 v33, 0x7ff00000, v35, vcc_lo
	v_cndmask_b32_e32 v32, 0, v34, vcc_lo
	v_mul_f64 v[34:35], v[0:1], s[0:1]
	s_mov_b32 s0, 0x19ce075f
	s_mov_b32 s1, 0x3fcbda51
	v_mul_f64 v[36:37], v[34:35], s[54:55]
	v_cmp_nlt_f64_e32 vcc_lo, 0x40900000, v[34:35]
	v_rndne_f64_e32 v[36:37], v[36:37]
	v_fma_f64 v[38:39], v[36:37], s[56:57], v[34:35]
	v_fma_f64 v[38:39], v[36:37], s[58:59], v[38:39]
	v_cvt_i32_f64_e32 v36, v[36:37]
	v_fma_f64 v[40:41], v[38:39], s[34:35], s[30:31]
	v_fma_f64 v[40:41], v[38:39], v[40:41], s[36:37]
	;; [unrolled: 1-line block ×9, first 2 shown]
	v_fma_f64 v[40:41], v[38:39], v[40:41], 1.0
	v_fma_f64 v[38:39], v[38:39], v[40:41], 1.0
	v_ldexp_f64 v[36:37], v[38:39], v36
	v_mul_f64 v[36:37], v[36:37], s[0:1]
	v_cmp_ngt_f64_e64 s0, 0xc090cc00, v[34:35]
	v_cndmask_b32_e32 v37, 0x7ff00000, v37, vcc_lo
	s_and_b32 vcc_lo, s0, vcc_lo
	v_cndmask_b32_e32 v34, 0, v36, vcc_lo
	v_cndmask_b32_e64 v35, 0, v37, s0
	s_mov_b32 s0, 0xcb978e43
	s_mov_b32 s1, 0xbf37c9bb
	v_mul_f64 v[36:37], v[0:1], s[0:1]
	s_mov_b32 s0, 0xb98c7e28
	s_mov_b32 s1, 0x3fe9096b
	v_mul_f64 v[38:39], v[36:37], s[54:55]
	v_cmp_nlt_f64_e32 vcc_lo, 0x40900000, v[36:37]
	v_rndne_f64_e32 v[38:39], v[38:39]
	v_fma_f64 v[40:41], v[38:39], s[56:57], v[36:37]
	v_fma_f64 v[40:41], v[38:39], s[58:59], v[40:41]
	v_cvt_i32_f64_e32 v38, v[38:39]
	v_fma_f64 v[42:43], v[40:41], s[34:35], s[30:31]
	v_fma_f64 v[42:43], v[40:41], v[42:43], s[36:37]
	;; [unrolled: 1-line block ×9, first 2 shown]
	v_fma_f64 v[42:43], v[40:41], v[42:43], 1.0
	v_fma_f64 v[40:41], v[40:41], v[42:43], 1.0
	v_ldexp_f64 v[38:39], v[40:41], v38
	v_mul_f64 v[38:39], v[38:39], s[0:1]
	v_cmp_ngt_f64_e64 s0, 0xc090cc00, v[36:37]
	v_cndmask_b32_e32 v39, 0x7ff00000, v39, vcc_lo
	s_and_b32 vcc_lo, s0, vcc_lo
	v_cndmask_b32_e32 v36, 0, v38, vcc_lo
	v_cndmask_b32_e64 v37, 0, v39, s0
	v_add_f64 v[34:35], v[34:35], v[36:37]
	v_mul_f64 v[36:37], 0xc0b9aa00, v[12:13]
	v_mul_f64 v[38:39], v[36:37], s[54:55]
	v_cmp_nlt_f64_e32 vcc_lo, 0x40900000, v[36:37]
	v_cmp_ngt_f64_e64 s0, 0xc090cc00, v[36:37]
	v_rndne_f64_e32 v[38:39], v[38:39]
	v_fma_f64 v[40:41], v[38:39], s[56:57], v[36:37]
	v_fma_f64 v[40:41], v[38:39], s[58:59], v[40:41]
	v_cvt_i32_f64_e32 v38, v[38:39]
	v_fma_f64 v[42:43], v[40:41], s[34:35], s[30:31]
	v_fma_f64 v[42:43], v[40:41], v[42:43], s[36:37]
	;; [unrolled: 1-line block ×9, first 2 shown]
	v_fma_f64 v[42:43], v[40:41], v[42:43], 1.0
	v_fma_f64 v[40:41], v[40:41], v[42:43], 1.0
	v_ldexp_f64 v[38:39], v[40:41], v38
	v_cndmask_b32_e32 v39, 0x7ff00000, v39, vcc_lo
	s_and_b32 vcc_lo, s0, vcc_lo
	v_cndmask_b32_e32 v36, 0, v38, vcc_lo
	v_cndmask_b32_e64 v37, 0, v39, s0
	v_add_f64 v[34:35], v[36:37], v[34:35]
	v_max_f64 v[34:35], 0x38100000, v[34:35]
	v_frexp_mant_f64_e32 v[36:37], v[34:35]
	v_frexp_exp_i32_f64_e32 v38, v[34:35]
	v_cmp_gt_f64_e32 vcc_lo, s[40:41], v[36:37]
	v_cndmask_b32_e64 v39, 0, 1, vcc_lo
	v_subrev_co_ci_u32_e64 v50, null, 0, v38, vcc_lo
	v_cmp_neq_f64_e32 vcc_lo, 0x7ff00000, v[34:35]
	v_ldexp_f64 v[36:37], v[36:37], v39
	v_add_f64 v[40:41], v[36:37], 1.0
	v_add_f64 v[38:39], v[36:37], -1.0
	v_add_f64 v[42:43], v[40:41], -1.0
	v_add_f64 v[36:37], v[36:37], -v[42:43]
	v_rcp_f64_e32 v[42:43], v[40:41]
	v_fma_f64 v[44:45], -v[40:41], v[42:43], 1.0
	v_fma_f64 v[42:43], v[44:45], v[42:43], v[42:43]
	v_fma_f64 v[44:45], -v[40:41], v[42:43], 1.0
	v_fma_f64 v[42:43], v[44:45], v[42:43], v[42:43]
	v_mul_f64 v[44:45], v[38:39], v[42:43]
	v_mul_f64 v[46:47], v[40:41], v[44:45]
	v_fma_f64 v[40:41], v[44:45], v[40:41], -v[46:47]
	v_fma_f64 v[36:37], v[44:45], v[36:37], v[40:41]
	v_add_f64 v[40:41], v[46:47], v[36:37]
	v_add_f64 v[48:49], v[38:39], -v[40:41]
	v_add_f64 v[46:47], v[40:41], -v[46:47]
	;; [unrolled: 1-line block ×5, first 2 shown]
	v_add_f64 v[36:37], v[36:37], v[38:39]
	v_add_f64 v[36:37], v[48:49], v[36:37]
	v_mul_f64 v[36:37], v[42:43], v[36:37]
	v_add_f64 v[38:39], v[44:45], v[36:37]
	v_add_f64 v[40:41], v[38:39], -v[44:45]
	v_ldexp_f64 v[44:45], v[38:39], 1
	v_add_f64 v[36:37], v[36:37], -v[40:41]
	v_mul_f64 v[40:41], v[38:39], v[38:39]
	v_ldexp_f64 v[36:37], v[36:37], 1
	v_fma_f64 v[42:43], v[40:41], s[18:19], s[10:11]
	v_mul_f64 v[38:39], v[38:39], v[40:41]
	v_fma_f64 v[42:43], v[40:41], v[42:43], s[20:21]
	v_fma_f64 v[42:43], v[40:41], v[42:43], s[22:23]
	;; [unrolled: 1-line block ×5, first 2 shown]
	v_mul_f64 v[38:39], v[38:39], v[42:43]
	v_add_f64 v[40:41], v[44:45], v[38:39]
	v_add_f64 v[42:43], v[40:41], -v[44:45]
	v_add_f64 v[38:39], v[38:39], -v[42:43]
	v_add_f64 v[36:37], v[36:37], v[38:39]
	v_add_f64 v[38:39], v[40:41], v[36:37]
	v_add_f64 v[40:41], v[38:39], -v[40:41]
	v_add_f64 v[36:37], v[36:37], -v[40:41]
	v_cvt_f64_i32_e32 v[40:41], v50
	v_mul_f64 v[42:43], v[40:41], s[6:7]
	v_fma_f64 v[44:45], v[40:41], s[6:7], -v[42:43]
	v_fma_f64 v[40:41], v[40:41], s[8:9], v[44:45]
	v_add_f64 v[44:45], v[42:43], v[40:41]
	v_add_f64 v[42:43], v[44:45], -v[42:43]
	v_add_f64 v[40:41], v[40:41], -v[42:43]
	v_mul_f64 v[42:43], v[38:39], s[2:3]
	v_fma_f64 v[46:47], v[38:39], s[2:3], -v[42:43]
	v_fma_f64 v[36:37], v[36:37], s[2:3], v[46:47]
	v_fma_f64 v[36:37], v[38:39], s[4:5], v[36:37]
	v_add_f64 v[38:39], v[42:43], v[36:37]
	v_add_f64 v[42:43], v[38:39], -v[42:43]
	v_add_f64 v[36:37], v[36:37], -v[42:43]
	v_add_f64 v[42:43], v[44:45], v[38:39]
	v_add_f64 v[46:47], v[42:43], -v[44:45]
	v_add_f64 v[48:49], v[42:43], -v[46:47]
	;; [unrolled: 1-line block ×4, first 2 shown]
	v_add_f64 v[38:39], v[38:39], v[44:45]
	v_add_f64 v[44:45], v[40:41], v[36:37]
	v_add_f64 v[46:47], v[44:45], -v[40:41]
	v_add_f64 v[38:39], v[44:45], v[38:39]
	v_add_f64 v[48:49], v[44:45], -v[46:47]
	v_add_f64 v[36:37], v[36:37], -v[46:47]
	;; [unrolled: 1-line block ×3, first 2 shown]
	v_add_f64 v[36:37], v[36:37], v[40:41]
	v_add_f64 v[40:41], v[42:43], v[38:39]
	v_add_f64 v[42:43], v[40:41], -v[42:43]
	v_add_f64 v[38:39], v[38:39], -v[42:43]
	v_add_f64 v[36:37], v[36:37], v[38:39]
	v_add_f64 v[36:37], v[40:41], v[36:37]
	v_cndmask_b32_e32 v35, 0x7ff00000, v37, vcc_lo
	v_cndmask_b32_e32 v34, 0, v36, vcc_lo
	v_fma_f64 v[38:39], v[34:35], s[68:69], s[64:65]
	v_fma_f64 v[36:37], v[34:35], s[60:61], 0x3fe80000
	v_add_f64 v[32:33], v[32:33], -v[38:39]
	v_fma_f64 v[36:37], v[32:33], s[76:77], v[36:37]
	v_div_scale_f64 v[38:39], null, v[36:37], v[36:37], 1.0
	v_rcp_f64_e32 v[40:41], v[38:39]
	v_fma_f64 v[42:43], -v[38:39], v[40:41], 1.0
	v_fma_f64 v[40:41], v[40:41], v[42:43], v[40:41]
	v_fma_f64 v[42:43], -v[38:39], v[40:41], 1.0
	v_fma_f64 v[40:41], v[40:41], v[42:43], v[40:41]
	v_div_scale_f64 v[42:43], vcc_lo, 1.0, v[36:37], 1.0
	v_mul_f64 v[44:45], v[42:43], v[40:41]
	v_fma_f64 v[38:39], -v[38:39], v[44:45], v[42:43]
	v_div_fmas_f64 v[38:39], v[38:39], v[40:41], v[44:45]
	v_div_fixup_f64 v[36:37], v[38:39], v[36:37], 1.0
	v_mul_f64 v[32:33], v[32:33], v[36:37]
	v_fma_f64 v[32:33], v[32:33], v[32:33], 1.0
	v_div_scale_f64 v[36:37], null, v[32:33], v[32:33], 1.0
	v_rcp_f64_e32 v[38:39], v[36:37]
	v_fma_f64 v[40:41], -v[36:37], v[38:39], 1.0
	v_fma_f64 v[38:39], v[38:39], v[40:41], v[38:39]
	v_fma_f64 v[40:41], -v[36:37], v[38:39], 1.0
	v_fma_f64 v[38:39], v[38:39], v[40:41], v[38:39]
	v_div_scale_f64 v[40:41], vcc_lo, 1.0, v[32:33], 1.0
	v_mul_f64 v[42:43], v[40:41], v[38:39]
	v_fma_f64 v[36:37], -v[36:37], v[42:43], v[40:41]
	v_div_fmas_f64 v[36:37], v[36:37], v[38:39], v[42:43]
	v_div_fixup_f64 v[32:33], v[36:37], v[32:33], 1.0
	v_mul_f64 v[32:33], v[34:35], v[32:33]
	v_mul_f64 v[34:35], v[32:33], s[62:63]
	v_cmp_nlt_f64_e32 vcc_lo, 0x40900000, v[32:33]
	v_cmp_ngt_f64_e64 s0, 0xc090cc00, v[32:33]
	v_rndne_f64_e32 v[34:35], v[34:35]
	v_fma_f64 v[36:37], v[34:35], s[66:67], v[32:33]
	v_fma_f64 v[36:37], v[34:35], s[70:71], v[36:37]
	v_cvt_i32_f64_e32 v34, v[34:35]
	v_mul_f64 v[38:39], v[36:37], s[72:73]
	v_fma_f64 v[36:37], v[36:37], s[74:75], v[38:39]
	v_fma_f64 v[38:39], v[36:37], s[34:35], s[30:31]
	;; [unrolled: 1-line block ×10, first 2 shown]
	v_fma_f64 v[38:39], v[36:37], v[38:39], 1.0
	v_fma_f64 v[36:37], v[36:37], v[38:39], 1.0
	v_ldexp_f64 v[34:35], v[36:37], v34
	v_cndmask_b32_e32 v35, 0x7ff00000, v35, vcc_lo
	s_and_b32 vcc_lo, s0, vcc_lo
	v_cndmask_b32_e32 v32, 0, v34, vcc_lo
	v_add_co_u32 v24, vcc_lo, s14, v24
	v_cndmask_b32_e64 v33, 0, v35, s0
	v_add_co_ci_u32_e64 v25, null, s15, v25, vcc_lo
	s_mov_b32 s0, 0x1a41a41a
	s_mov_b32 s1, 0xbf8a41a4
	v_mul_f64 v[30:31], v[30:31], v[32:33]
	v_mul_f64 v[28:29], v[28:29], v[30:31]
	global_store_dwordx2 v[26:27], v[28:29], off
	global_load_dwordx2 v[26:27], v[24:25], off
	s_waitcnt vmcnt(0)
	v_mul_f64 v[26:27], v[26:27], v[30:31]
	global_store_dwordx2 v[24:25], v[26:27], off
	v_mad_u64_u32 v[24:25], null, 0xffffffdc, s33, v[2:3]
	v_mov_b32_e32 v25, v3
	v_lshlrev_b64 v[26:27], 3, v[24:25]
	v_mad_u64_u32 v[24:25], null, s33, 43, v[24:25]
	v_mov_b32_e32 v25, v3
	v_add_co_u32 v26, vcc_lo, s16, v26
	v_add_co_ci_u32_e64 v27, null, s17, v27, vcc_lo
	global_load_dwordx2 v[31:32], v[26:27], off
	v_lshlrev_b64 v[25:26], 3, v[24:25]
	v_add_co_u32 v27, vcc_lo, s12, v25
	v_add_co_ci_u32_e64 v28, null, s13, v26, vcc_lo
	global_load_dwordx2 v[29:30], v[27:28], off
	s_waitcnt vmcnt(0)
	v_div_scale_f64 v[33:34], null, v[29:30], v[29:30], 1.0
	v_rcp_f64_e32 v[35:36], v[33:34]
	v_fma_f64 v[37:38], -v[33:34], v[35:36], 1.0
	v_fma_f64 v[35:36], v[35:36], v[37:38], v[35:36]
	v_fma_f64 v[37:38], -v[33:34], v[35:36], 1.0
	v_fma_f64 v[35:36], v[35:36], v[37:38], v[35:36]
	v_div_scale_f64 v[37:38], vcc_lo, 1.0, v[29:30], 1.0
	v_mul_f64 v[39:40], v[37:38], v[35:36]
	v_fma_f64 v[33:34], -v[33:34], v[39:40], v[37:38]
	v_div_fmas_f64 v[33:34], v[33:34], v[35:36], v[39:40]
	v_div_fixup_f64 v[33:34], v[33:34], v[29:30], 1.0
	v_mul_f64 v[33:34], v[8:9], v[33:34]
	v_mul_f64 v[35:36], v[31:32], v[33:34]
	v_fma_f64 v[31:32], v[31:32], v[33:34], 1.0
	v_div_scale_f64 v[33:34], null, v[31:32], v[31:32], 1.0
	v_rcp_f64_e32 v[37:38], v[33:34]
	v_fma_f64 v[39:40], -v[33:34], v[37:38], 1.0
	v_fma_f64 v[37:38], v[37:38], v[39:40], v[37:38]
	v_fma_f64 v[39:40], -v[33:34], v[37:38], 1.0
	v_fma_f64 v[37:38], v[37:38], v[39:40], v[37:38]
	v_div_scale_f64 v[39:40], vcc_lo, 1.0, v[31:32], 1.0
	v_mul_f64 v[41:42], v[39:40], v[37:38]
	v_fma_f64 v[33:34], -v[33:34], v[41:42], v[39:40]
	v_div_fmas_f64 v[33:34], v[33:34], v[37:38], v[41:42]
	v_div_fixup_f64 v[31:32], v[33:34], v[31:32], 1.0
	v_max_f64 v[33:34], 0x38100000, v[35:36]
	v_mul_f64 v[31:32], v[35:36], v[31:32]
	v_frexp_mant_f64_e32 v[35:36], v[33:34]
	v_frexp_exp_i32_f64_e32 v2, v[33:34]
	v_cmp_gt_f64_e32 vcc_lo, s[40:41], v[35:36]
	v_cndmask_b32_e64 v37, 0, 1, vcc_lo
	v_subrev_co_ci_u32_e64 v2, null, 0, v2, vcc_lo
	v_cmp_neq_f64_e32 vcc_lo, 0x7ff00000, v[33:34]
	v_ldexp_f64 v[35:36], v[35:36], v37
	v_add_f64 v[39:40], v[35:36], 1.0
	v_add_f64 v[37:38], v[35:36], -1.0
	v_add_f64 v[41:42], v[39:40], -1.0
	v_add_f64 v[35:36], v[35:36], -v[41:42]
	v_rcp_f64_e32 v[41:42], v[39:40]
	v_fma_f64 v[43:44], -v[39:40], v[41:42], 1.0
	v_fma_f64 v[41:42], v[43:44], v[41:42], v[41:42]
	v_fma_f64 v[43:44], -v[39:40], v[41:42], 1.0
	v_fma_f64 v[41:42], v[43:44], v[41:42], v[41:42]
	v_mul_f64 v[43:44], v[37:38], v[41:42]
	v_mul_f64 v[45:46], v[39:40], v[43:44]
	v_fma_f64 v[39:40], v[43:44], v[39:40], -v[45:46]
	v_fma_f64 v[35:36], v[43:44], v[35:36], v[39:40]
	v_add_f64 v[39:40], v[45:46], v[35:36]
	v_add_f64 v[47:48], v[37:38], -v[39:40]
	v_add_f64 v[45:46], v[39:40], -v[45:46]
	;; [unrolled: 1-line block ×5, first 2 shown]
	v_add_f64 v[35:36], v[35:36], v[37:38]
	v_add_f64 v[35:36], v[47:48], v[35:36]
	v_mul_f64 v[35:36], v[41:42], v[35:36]
	v_add_f64 v[37:38], v[43:44], v[35:36]
	v_add_f64 v[39:40], v[37:38], -v[43:44]
	v_ldexp_f64 v[43:44], v[37:38], 1
	v_add_f64 v[35:36], v[35:36], -v[39:40]
	v_mul_f64 v[39:40], v[37:38], v[37:38]
	v_ldexp_f64 v[35:36], v[35:36], 1
	v_fma_f64 v[41:42], v[39:40], s[18:19], s[10:11]
	v_mul_f64 v[37:38], v[37:38], v[39:40]
	v_fma_f64 v[41:42], v[39:40], v[41:42], s[20:21]
	v_fma_f64 v[41:42], v[39:40], v[41:42], s[22:23]
	;; [unrolled: 1-line block ×5, first 2 shown]
	v_mul_f64 v[37:38], v[37:38], v[41:42]
	v_add_f64 v[39:40], v[43:44], v[37:38]
	v_add_f64 v[41:42], v[39:40], -v[43:44]
	v_add_f64 v[37:38], v[37:38], -v[41:42]
	v_add_f64 v[35:36], v[35:36], v[37:38]
	v_add_f64 v[37:38], v[39:40], v[35:36]
	v_add_f64 v[39:40], v[37:38], -v[39:40]
	v_add_f64 v[35:36], v[35:36], -v[39:40]
	v_cvt_f64_i32_e32 v[39:40], v2
	v_mul_f64 v[41:42], v[39:40], s[6:7]
	v_fma_f64 v[43:44], v[39:40], s[6:7], -v[41:42]
	v_fma_f64 v[39:40], v[39:40], s[8:9], v[43:44]
	v_add_f64 v[43:44], v[41:42], v[39:40]
	v_add_f64 v[41:42], v[43:44], -v[41:42]
	v_add_f64 v[39:40], v[39:40], -v[41:42]
	v_mul_f64 v[41:42], v[37:38], s[2:3]
	v_fma_f64 v[45:46], v[37:38], s[2:3], -v[41:42]
	v_fma_f64 v[35:36], v[35:36], s[2:3], v[45:46]
	v_fma_f64 v[35:36], v[37:38], s[4:5], v[35:36]
	v_add_f64 v[37:38], v[41:42], v[35:36]
	v_add_f64 v[41:42], v[37:38], -v[41:42]
	v_add_f64 v[35:36], v[35:36], -v[41:42]
	v_add_f64 v[41:42], v[43:44], v[37:38]
	v_add_f64 v[45:46], v[41:42], -v[43:44]
	v_add_f64 v[47:48], v[41:42], -v[45:46]
	;; [unrolled: 1-line block ×4, first 2 shown]
	v_add_f64 v[37:38], v[37:38], v[43:44]
	v_add_f64 v[43:44], v[39:40], v[35:36]
	v_add_f64 v[45:46], v[43:44], -v[39:40]
	v_add_f64 v[37:38], v[43:44], v[37:38]
	v_add_f64 v[47:48], v[43:44], -v[45:46]
	v_add_f64 v[35:36], v[35:36], -v[45:46]
	;; [unrolled: 1-line block ×3, first 2 shown]
	v_add_f64 v[35:36], v[35:36], v[39:40]
	v_add_f64 v[39:40], v[41:42], v[37:38]
	v_add_f64 v[41:42], v[39:40], -v[41:42]
	v_add_f64 v[37:38], v[37:38], -v[41:42]
	v_add_f64 v[35:36], v[35:36], v[37:38]
	v_add_f64 v[35:36], v[39:40], v[35:36]
	v_cndmask_b32_e32 v34, 0x7ff00000, v36, vcc_lo
	v_cndmask_b32_e32 v33, 0, v35, vcc_lo
	v_mul_f64 v[35:36], v[0:1], s[0:1]
	s_mov_b32 s0, 0x47ae147b
	s_mov_b32 s1, 0x3fd47ae1
	v_mul_f64 v[37:38], v[35:36], s[54:55]
	v_cmp_nlt_f64_e32 vcc_lo, 0x40900000, v[35:36]
	v_rndne_f64_e32 v[37:38], v[37:38]
	v_fma_f64 v[39:40], v[37:38], s[56:57], v[35:36]
	v_cvt_i32_f64_e32 v2, v[37:38]
	v_fma_f64 v[39:40], v[37:38], s[58:59], v[39:40]
	v_fma_f64 v[41:42], v[39:40], s[34:35], s[30:31]
	;; [unrolled: 1-line block ×10, first 2 shown]
	v_fma_f64 v[41:42], v[39:40], v[41:42], 1.0
	v_fma_f64 v[39:40], v[39:40], v[41:42], 1.0
	v_ldexp_f64 v[37:38], v[39:40], v2
	v_mul_f64 v[37:38], v[37:38], s[0:1]
	v_cmp_ngt_f64_e64 s0, 0xc090cc00, v[35:36]
	v_cndmask_b32_e32 v2, 0x7ff00000, v38, vcc_lo
	s_and_b32 vcc_lo, s0, vcc_lo
	v_cndmask_b32_e32 v35, 0, v37, vcc_lo
	v_cndmask_b32_e64 v36, 0, v2, s0
	s_mov_b32 s0, 0xe80106cd
	s_mov_b32 s1, 0xbf406cd0
	v_mul_f64 v[37:38], v[0:1], s[0:1]
	s_mov_b32 s0, 0x5c28f5c3
	s_mov_b32 s1, 0x3fe5c28f
	v_mul_f64 v[39:40], v[37:38], s[54:55]
	v_cmp_nlt_f64_e32 vcc_lo, 0x40900000, v[37:38]
	v_rndne_f64_e32 v[39:40], v[39:40]
	v_fma_f64 v[41:42], v[39:40], s[56:57], v[37:38]
	v_cvt_i32_f64_e32 v2, v[39:40]
	v_fma_f64 v[41:42], v[39:40], s[58:59], v[41:42]
	v_fma_f64 v[43:44], v[41:42], s[34:35], s[30:31]
	;; [unrolled: 1-line block ×10, first 2 shown]
	v_fma_f64 v[43:44], v[41:42], v[43:44], 1.0
	v_fma_f64 v[41:42], v[41:42], v[43:44], 1.0
	v_ldexp_f64 v[39:40], v[41:42], v2
	v_mul_f64 v[39:40], v[39:40], s[0:1]
	v_cmp_ngt_f64_e64 s0, 0xc090cc00, v[37:38]
	v_cndmask_b32_e32 v2, 0x7ff00000, v40, vcc_lo
	s_and_b32 vcc_lo, s0, vcc_lo
	v_cndmask_b32_e32 v37, 0, v39, vcc_lo
	v_cndmask_b32_e64 v38, 0, v2, s0
	v_add_f64 v[35:36], v[35:36], v[37:38]
	v_mul_f64 v[37:38], 0xc0b5d600, v[12:13]
	v_mul_f64 v[39:40], v[37:38], s[54:55]
	v_cmp_nlt_f64_e32 vcc_lo, 0x40900000, v[37:38]
	v_cmp_ngt_f64_e64 s0, 0xc090cc00, v[37:38]
	v_rndne_f64_e32 v[39:40], v[39:40]
	v_fma_f64 v[41:42], v[39:40], s[56:57], v[37:38]
	v_cvt_i32_f64_e32 v2, v[39:40]
	v_fma_f64 v[41:42], v[39:40], s[58:59], v[41:42]
	v_fma_f64 v[43:44], v[41:42], s[34:35], s[30:31]
	;; [unrolled: 1-line block ×10, first 2 shown]
	v_fma_f64 v[43:44], v[41:42], v[43:44], 1.0
	v_fma_f64 v[41:42], v[41:42], v[43:44], 1.0
	v_ldexp_f64 v[39:40], v[41:42], v2
	v_cndmask_b32_e32 v2, 0x7ff00000, v40, vcc_lo
	s_and_b32 vcc_lo, s0, vcc_lo
	v_cndmask_b32_e32 v37, 0, v39, vcc_lo
	v_cndmask_b32_e64 v38, 0, v2, s0
	v_add_f64 v[35:36], v[37:38], v[35:36]
	v_max_f64 v[35:36], 0x38100000, v[35:36]
	v_frexp_mant_f64_e32 v[37:38], v[35:36]
	v_frexp_exp_i32_f64_e32 v2, v[35:36]
	v_cmp_gt_f64_e32 vcc_lo, s[40:41], v[37:38]
	v_cndmask_b32_e64 v39, 0, 1, vcc_lo
	v_subrev_co_ci_u32_e64 v2, null, 0, v2, vcc_lo
	v_cmp_neq_f64_e32 vcc_lo, 0x7ff00000, v[35:36]
	v_ldexp_f64 v[37:38], v[37:38], v39
	v_add_f64 v[41:42], v[37:38], 1.0
	v_add_f64 v[39:40], v[37:38], -1.0
	v_add_f64 v[43:44], v[41:42], -1.0
	v_add_f64 v[37:38], v[37:38], -v[43:44]
	v_rcp_f64_e32 v[43:44], v[41:42]
	v_fma_f64 v[45:46], -v[41:42], v[43:44], 1.0
	v_fma_f64 v[43:44], v[45:46], v[43:44], v[43:44]
	v_fma_f64 v[45:46], -v[41:42], v[43:44], 1.0
	v_fma_f64 v[43:44], v[45:46], v[43:44], v[43:44]
	v_mul_f64 v[45:46], v[39:40], v[43:44]
	v_mul_f64 v[47:48], v[41:42], v[45:46]
	v_fma_f64 v[41:42], v[45:46], v[41:42], -v[47:48]
	v_fma_f64 v[37:38], v[45:46], v[37:38], v[41:42]
	v_add_f64 v[41:42], v[47:48], v[37:38]
	v_add_f64 v[49:50], v[39:40], -v[41:42]
	v_add_f64 v[47:48], v[41:42], -v[47:48]
	;; [unrolled: 1-line block ×5, first 2 shown]
	v_add_f64 v[37:38], v[37:38], v[39:40]
	v_add_f64 v[37:38], v[49:50], v[37:38]
	v_mul_f64 v[37:38], v[43:44], v[37:38]
	v_add_f64 v[39:40], v[45:46], v[37:38]
	v_add_f64 v[41:42], v[39:40], -v[45:46]
	v_ldexp_f64 v[45:46], v[39:40], 1
	v_add_f64 v[37:38], v[37:38], -v[41:42]
	v_mul_f64 v[41:42], v[39:40], v[39:40]
	v_ldexp_f64 v[37:38], v[37:38], 1
	v_fma_f64 v[43:44], v[41:42], s[18:19], s[10:11]
	v_mul_f64 v[39:40], v[39:40], v[41:42]
	v_fma_f64 v[43:44], v[41:42], v[43:44], s[20:21]
	v_fma_f64 v[43:44], v[41:42], v[43:44], s[22:23]
	;; [unrolled: 1-line block ×5, first 2 shown]
	v_mul_f64 v[39:40], v[39:40], v[43:44]
	v_add_f64 v[41:42], v[45:46], v[39:40]
	v_add_f64 v[43:44], v[41:42], -v[45:46]
	v_add_f64 v[39:40], v[39:40], -v[43:44]
	v_add_f64 v[37:38], v[37:38], v[39:40]
	v_add_f64 v[39:40], v[41:42], v[37:38]
	v_add_f64 v[41:42], v[39:40], -v[41:42]
	v_add_f64 v[37:38], v[37:38], -v[41:42]
	v_cvt_f64_i32_e32 v[41:42], v2
	v_mul_f64 v[43:44], v[41:42], s[6:7]
	v_fma_f64 v[45:46], v[41:42], s[6:7], -v[43:44]
	v_fma_f64 v[41:42], v[41:42], s[8:9], v[45:46]
	v_add_f64 v[45:46], v[43:44], v[41:42]
	v_add_f64 v[43:44], v[45:46], -v[43:44]
	v_add_f64 v[41:42], v[41:42], -v[43:44]
	v_mul_f64 v[43:44], v[39:40], s[2:3]
	v_fma_f64 v[47:48], v[39:40], s[2:3], -v[43:44]
	v_fma_f64 v[37:38], v[37:38], s[2:3], v[47:48]
	v_fma_f64 v[37:38], v[39:40], s[4:5], v[37:38]
	v_add_f64 v[39:40], v[43:44], v[37:38]
	v_add_f64 v[43:44], v[39:40], -v[43:44]
	v_add_f64 v[37:38], v[37:38], -v[43:44]
	v_add_f64 v[43:44], v[45:46], v[39:40]
	v_add_f64 v[47:48], v[43:44], -v[45:46]
	v_add_f64 v[49:50], v[43:44], -v[47:48]
	;; [unrolled: 1-line block ×4, first 2 shown]
	v_add_f64 v[39:40], v[39:40], v[45:46]
	v_add_f64 v[45:46], v[41:42], v[37:38]
	v_add_f64 v[47:48], v[45:46], -v[41:42]
	v_add_f64 v[39:40], v[45:46], v[39:40]
	v_add_f64 v[49:50], v[45:46], -v[47:48]
	v_add_f64 v[37:38], v[37:38], -v[47:48]
	;; [unrolled: 1-line block ×3, first 2 shown]
	v_add_f64 v[37:38], v[37:38], v[41:42]
	v_add_f64 v[41:42], v[43:44], v[39:40]
	v_add_f64 v[43:44], v[41:42], -v[43:44]
	v_add_f64 v[39:40], v[39:40], -v[43:44]
	v_add_f64 v[37:38], v[37:38], v[39:40]
	v_add_f64 v[37:38], v[41:42], v[37:38]
	v_cndmask_b32_e32 v36, 0x7ff00000, v38, vcc_lo
	v_cndmask_b32_e32 v35, 0, v37, vcc_lo
	v_fma_f64 v[39:40], v[35:36], s[68:69], s[64:65]
	v_fma_f64 v[37:38], v[35:36], s[60:61], 0x3fe80000
	v_add_f64 v[33:34], v[33:34], -v[39:40]
	v_fma_f64 v[37:38], v[33:34], s[76:77], v[37:38]
	v_div_scale_f64 v[39:40], null, v[37:38], v[37:38], 1.0
	v_rcp_f64_e32 v[41:42], v[39:40]
	v_fma_f64 v[43:44], -v[39:40], v[41:42], 1.0
	v_fma_f64 v[41:42], v[41:42], v[43:44], v[41:42]
	v_fma_f64 v[43:44], -v[39:40], v[41:42], 1.0
	v_fma_f64 v[41:42], v[41:42], v[43:44], v[41:42]
	v_div_scale_f64 v[43:44], vcc_lo, 1.0, v[37:38], 1.0
	v_mul_f64 v[45:46], v[43:44], v[41:42]
	v_fma_f64 v[39:40], -v[39:40], v[45:46], v[43:44]
	v_div_fmas_f64 v[39:40], v[39:40], v[41:42], v[45:46]
	v_div_fixup_f64 v[37:38], v[39:40], v[37:38], 1.0
	v_mul_f64 v[33:34], v[33:34], v[37:38]
	v_fma_f64 v[33:34], v[33:34], v[33:34], 1.0
	v_div_scale_f64 v[37:38], null, v[33:34], v[33:34], 1.0
	v_rcp_f64_e32 v[39:40], v[37:38]
	v_fma_f64 v[41:42], -v[37:38], v[39:40], 1.0
	v_fma_f64 v[39:40], v[39:40], v[41:42], v[39:40]
	v_fma_f64 v[41:42], -v[37:38], v[39:40], 1.0
	v_fma_f64 v[39:40], v[39:40], v[41:42], v[39:40]
	v_div_scale_f64 v[41:42], vcc_lo, 1.0, v[33:34], 1.0
	v_mul_f64 v[43:44], v[41:42], v[39:40]
	v_fma_f64 v[37:38], -v[37:38], v[43:44], v[41:42]
	v_div_fmas_f64 v[37:38], v[37:38], v[39:40], v[43:44]
	v_div_fixup_f64 v[33:34], v[37:38], v[33:34], 1.0
	v_mul_f64 v[33:34], v[35:36], v[33:34]
	v_mul_f64 v[35:36], v[33:34], s[62:63]
	v_cmp_nlt_f64_e32 vcc_lo, 0x40900000, v[33:34]
	v_cmp_ngt_f64_e64 s0, 0xc090cc00, v[33:34]
	v_rndne_f64_e32 v[35:36], v[35:36]
	v_fma_f64 v[37:38], v[35:36], s[66:67], v[33:34]
	v_cvt_i32_f64_e32 v2, v[35:36]
	v_fma_f64 v[37:38], v[35:36], s[70:71], v[37:38]
	v_mul_f64 v[39:40], v[37:38], s[72:73]
	v_fma_f64 v[37:38], v[37:38], s[74:75], v[39:40]
	v_fma_f64 v[39:40], v[37:38], s[34:35], s[30:31]
	;; [unrolled: 1-line block ×10, first 2 shown]
	v_fma_f64 v[39:40], v[37:38], v[39:40], 1.0
	v_fma_f64 v[37:38], v[37:38], v[39:40], 1.0
	v_ldexp_f64 v[35:36], v[37:38], v2
	v_cndmask_b32_e32 v2, 0x7ff00000, v36, vcc_lo
	s_and_b32 vcc_lo, s0, vcc_lo
	v_cndmask_b32_e32 v33, 0, v35, vcc_lo
	v_add_co_u32 v25, vcc_lo, s14, v25
	v_cndmask_b32_e64 v34, 0, v2, s0
	v_add_co_ci_u32_e64 v26, null, s15, v26, vcc_lo
	v_add_co_u32 v22, vcc_lo, s16, v22
	v_mul_f64 v[31:32], v[31:32], v[33:34]
	v_add_co_ci_u32_e64 v23, null, s17, v23, vcc_lo
	v_lshl_add_u32 v2, s33, 3, v24
	s_mov_b32 s0, 0xdca01dca
	s_mov_b32 s1, 0xbf6dca01
	v_mul_f64 v[29:30], v[29:30], v[31:32]
	global_store_dwordx2 v[27:28], v[29:30], off
	global_load_dwordx2 v[27:28], v[25:26], off
	s_waitcnt vmcnt(0)
	v_mul_f64 v[27:28], v[27:28], v[31:32]
	global_store_dwordx2 v[25:26], v[27:28], off
	global_load_dwordx2 v[28:29], v[22:23], off
	v_lshlrev_b64 v[22:23], 3, v[2:3]
	v_add_co_u32 v24, vcc_lo, s12, v22
	v_add_co_ci_u32_e64 v25, null, s13, v23, vcc_lo
	global_load_dwordx2 v[26:27], v[24:25], off
	s_waitcnt vmcnt(0)
	v_div_scale_f64 v[30:31], null, v[26:27], v[26:27], 1.0
	v_rcp_f64_e32 v[32:33], v[30:31]
	v_fma_f64 v[34:35], -v[30:31], v[32:33], 1.0
	v_fma_f64 v[32:33], v[32:33], v[34:35], v[32:33]
	v_fma_f64 v[34:35], -v[30:31], v[32:33], 1.0
	v_fma_f64 v[32:33], v[32:33], v[34:35], v[32:33]
	v_div_scale_f64 v[34:35], vcc_lo, 1.0, v[26:27], 1.0
	v_mul_f64 v[36:37], v[34:35], v[32:33]
	v_fma_f64 v[30:31], -v[30:31], v[36:37], v[34:35]
	v_div_fmas_f64 v[30:31], v[30:31], v[32:33], v[36:37]
	v_div_fixup_f64 v[30:31], v[30:31], v[26:27], 1.0
	v_mul_f64 v[30:31], v[8:9], v[30:31]
	v_mul_f64 v[32:33], v[28:29], v[30:31]
	v_fma_f64 v[28:29], v[28:29], v[30:31], 1.0
	v_div_scale_f64 v[30:31], null, v[28:29], v[28:29], 1.0
	v_rcp_f64_e32 v[34:35], v[30:31]
	v_fma_f64 v[36:37], -v[30:31], v[34:35], 1.0
	v_fma_f64 v[34:35], v[34:35], v[36:37], v[34:35]
	v_fma_f64 v[36:37], -v[30:31], v[34:35], 1.0
	v_fma_f64 v[34:35], v[34:35], v[36:37], v[34:35]
	v_div_scale_f64 v[36:37], vcc_lo, 1.0, v[28:29], 1.0
	v_mul_f64 v[38:39], v[36:37], v[34:35]
	v_fma_f64 v[30:31], -v[30:31], v[38:39], v[36:37]
	v_div_fmas_f64 v[30:31], v[30:31], v[34:35], v[38:39]
	v_div_fixup_f64 v[28:29], v[30:31], v[28:29], 1.0
	v_max_f64 v[30:31], 0x38100000, v[32:33]
	v_mul_f64 v[28:29], v[32:33], v[28:29]
	v_frexp_mant_f64_e32 v[32:33], v[30:31]
	v_frexp_exp_i32_f64_e32 v34, v[30:31]
	v_cmp_gt_f64_e32 vcc_lo, s[40:41], v[32:33]
	v_cndmask_b32_e64 v35, 0, 1, vcc_lo
	v_subrev_co_ci_u32_e64 v46, null, 0, v34, vcc_lo
	v_cmp_neq_f64_e32 vcc_lo, 0x7ff00000, v[30:31]
	v_ldexp_f64 v[32:33], v[32:33], v35
	v_add_f64 v[36:37], v[32:33], 1.0
	v_add_f64 v[34:35], v[32:33], -1.0
	v_add_f64 v[38:39], v[36:37], -1.0
	v_add_f64 v[32:33], v[32:33], -v[38:39]
	v_rcp_f64_e32 v[38:39], v[36:37]
	v_fma_f64 v[40:41], -v[36:37], v[38:39], 1.0
	v_fma_f64 v[38:39], v[40:41], v[38:39], v[38:39]
	v_fma_f64 v[40:41], -v[36:37], v[38:39], 1.0
	v_fma_f64 v[38:39], v[40:41], v[38:39], v[38:39]
	v_mul_f64 v[40:41], v[34:35], v[38:39]
	v_mul_f64 v[42:43], v[36:37], v[40:41]
	v_fma_f64 v[36:37], v[40:41], v[36:37], -v[42:43]
	v_fma_f64 v[32:33], v[40:41], v[32:33], v[36:37]
	v_add_f64 v[36:37], v[42:43], v[32:33]
	v_add_f64 v[44:45], v[34:35], -v[36:37]
	v_add_f64 v[42:43], v[36:37], -v[42:43]
	v_add_f64 v[34:35], v[34:35], -v[44:45]
	v_add_f64 v[32:33], v[42:43], -v[32:33]
	v_add_f64 v[34:35], v[34:35], -v[36:37]
	v_add_f64 v[32:33], v[32:33], v[34:35]
	v_add_f64 v[32:33], v[44:45], v[32:33]
	v_mul_f64 v[32:33], v[38:39], v[32:33]
	v_add_f64 v[34:35], v[40:41], v[32:33]
	v_add_f64 v[36:37], v[34:35], -v[40:41]
	v_ldexp_f64 v[40:41], v[34:35], 1
	v_add_f64 v[32:33], v[32:33], -v[36:37]
	v_mul_f64 v[36:37], v[34:35], v[34:35]
	v_ldexp_f64 v[32:33], v[32:33], 1
	v_fma_f64 v[38:39], v[36:37], s[18:19], s[10:11]
	v_mul_f64 v[34:35], v[34:35], v[36:37]
	v_fma_f64 v[38:39], v[36:37], v[38:39], s[20:21]
	v_fma_f64 v[38:39], v[36:37], v[38:39], s[22:23]
	;; [unrolled: 1-line block ×5, first 2 shown]
	v_mul_f64 v[34:35], v[34:35], v[38:39]
	v_add_f64 v[36:37], v[40:41], v[34:35]
	v_add_f64 v[38:39], v[36:37], -v[40:41]
	v_add_f64 v[34:35], v[34:35], -v[38:39]
	v_add_f64 v[32:33], v[32:33], v[34:35]
	v_add_f64 v[34:35], v[36:37], v[32:33]
	v_add_f64 v[36:37], v[34:35], -v[36:37]
	v_add_f64 v[32:33], v[32:33], -v[36:37]
	v_cvt_f64_i32_e32 v[36:37], v46
	v_mul_f64 v[38:39], v[36:37], s[6:7]
	v_fma_f64 v[40:41], v[36:37], s[6:7], -v[38:39]
	v_fma_f64 v[36:37], v[36:37], s[8:9], v[40:41]
	v_add_f64 v[40:41], v[38:39], v[36:37]
	v_add_f64 v[38:39], v[40:41], -v[38:39]
	v_add_f64 v[36:37], v[36:37], -v[38:39]
	v_mul_f64 v[38:39], v[34:35], s[2:3]
	v_fma_f64 v[42:43], v[34:35], s[2:3], -v[38:39]
	v_fma_f64 v[32:33], v[32:33], s[2:3], v[42:43]
	v_fma_f64 v[32:33], v[34:35], s[4:5], v[32:33]
	v_add_f64 v[34:35], v[38:39], v[32:33]
	v_add_f64 v[38:39], v[34:35], -v[38:39]
	v_add_f64 v[32:33], v[32:33], -v[38:39]
	v_add_f64 v[38:39], v[40:41], v[34:35]
	v_add_f64 v[42:43], v[38:39], -v[40:41]
	v_add_f64 v[44:45], v[38:39], -v[42:43]
	v_add_f64 v[34:35], v[34:35], -v[42:43]
	v_add_f64 v[40:41], v[40:41], -v[44:45]
	v_add_f64 v[34:35], v[34:35], v[40:41]
	v_add_f64 v[40:41], v[36:37], v[32:33]
	v_add_f64 v[42:43], v[40:41], -v[36:37]
	v_add_f64 v[34:35], v[40:41], v[34:35]
	v_add_f64 v[44:45], v[40:41], -v[42:43]
	v_add_f64 v[32:33], v[32:33], -v[42:43]
	;; [unrolled: 1-line block ×3, first 2 shown]
	v_add_f64 v[32:33], v[32:33], v[36:37]
	v_add_f64 v[36:37], v[38:39], v[34:35]
	v_add_f64 v[38:39], v[36:37], -v[38:39]
	v_add_f64 v[34:35], v[34:35], -v[38:39]
	v_add_f64 v[32:33], v[32:33], v[34:35]
	v_add_f64 v[32:33], v[36:37], v[32:33]
	v_cndmask_b32_e32 v31, 0x7ff00000, v33, vcc_lo
	v_cndmask_b32_e32 v30, 0, v32, vcc_lo
	v_mul_f64 v[32:33], v[0:1], s[0:1]
	s_mov_b32 s0, 0xa0902de0
	s_mov_b32 s1, 0x3fda31f8
	v_mul_f64 v[34:35], v[32:33], s[54:55]
	v_cmp_nlt_f64_e32 vcc_lo, 0x40900000, v[32:33]
	v_rndne_f64_e32 v[34:35], v[34:35]
	v_fma_f64 v[36:37], v[34:35], s[56:57], v[32:33]
	v_fma_f64 v[36:37], v[34:35], s[58:59], v[36:37]
	v_cvt_i32_f64_e32 v34, v[34:35]
	v_fma_f64 v[38:39], v[36:37], s[34:35], s[30:31]
	v_fma_f64 v[38:39], v[36:37], v[38:39], s[36:37]
	;; [unrolled: 1-line block ×9, first 2 shown]
	v_fma_f64 v[38:39], v[36:37], v[38:39], 1.0
	v_fma_f64 v[36:37], v[36:37], v[38:39], 1.0
	v_ldexp_f64 v[34:35], v[36:37], v34
	v_mul_f64 v[34:35], v[34:35], s[0:1]
	v_cmp_ngt_f64_e64 s0, 0xc090cc00, v[32:33]
	v_cndmask_b32_e32 v35, 0x7ff00000, v35, vcc_lo
	s_and_b32 vcc_lo, s0, vcc_lo
	v_cndmask_b32_e32 v32, 0, v34, vcc_lo
	v_cndmask_b32_e64 v33, 0, v35, s0
	s_mov_b32 s0, 0xfbd2e5b1
	s_mov_b32 s1, 0xbf4aba41
	v_mul_f64 v[34:35], v[0:1], s[0:1]
	s_mov_b32 s0, 0xafb7e910
	s_mov_b32 s1, 0x3fe2e703
	v_mul_f64 v[36:37], v[34:35], s[54:55]
	v_cmp_nlt_f64_e32 vcc_lo, 0x40900000, v[34:35]
	v_rndne_f64_e32 v[36:37], v[36:37]
	v_fma_f64 v[38:39], v[36:37], s[56:57], v[34:35]
	v_fma_f64 v[38:39], v[36:37], s[58:59], v[38:39]
	v_cvt_i32_f64_e32 v36, v[36:37]
	v_fma_f64 v[40:41], v[38:39], s[34:35], s[30:31]
	v_fma_f64 v[40:41], v[38:39], v[40:41], s[36:37]
	;; [unrolled: 1-line block ×9, first 2 shown]
	v_fma_f64 v[40:41], v[38:39], v[40:41], 1.0
	v_fma_f64 v[38:39], v[38:39], v[40:41], 1.0
	v_ldexp_f64 v[36:37], v[38:39], v36
	v_mul_f64 v[36:37], v[36:37], s[0:1]
	v_cmp_ngt_f64_e64 s0, 0xc090cc00, v[34:35]
	v_cndmask_b32_e32 v37, 0x7ff00000, v37, vcc_lo
	s_and_b32 vcc_lo, s0, vcc_lo
	v_cndmask_b32_e32 v34, 0, v36, vcc_lo
	v_cndmask_b32_e64 v35, 0, v37, s0
	v_add_f64 v[32:33], v[32:33], v[34:35]
	v_mul_f64 v[34:35], 0xc0b44100, v[12:13]
	v_mul_f64 v[36:37], v[34:35], s[54:55]
	v_cmp_nlt_f64_e32 vcc_lo, 0x40900000, v[34:35]
	v_cmp_ngt_f64_e64 s0, 0xc090cc00, v[34:35]
	v_rndne_f64_e32 v[36:37], v[36:37]
	v_fma_f64 v[38:39], v[36:37], s[56:57], v[34:35]
	v_fma_f64 v[38:39], v[36:37], s[58:59], v[38:39]
	v_cvt_i32_f64_e32 v36, v[36:37]
	v_fma_f64 v[40:41], v[38:39], s[34:35], s[30:31]
	v_fma_f64 v[40:41], v[38:39], v[40:41], s[36:37]
	;; [unrolled: 1-line block ×9, first 2 shown]
	v_fma_f64 v[40:41], v[38:39], v[40:41], 1.0
	v_fma_f64 v[38:39], v[38:39], v[40:41], 1.0
	v_ldexp_f64 v[36:37], v[38:39], v36
	v_cndmask_b32_e32 v37, 0x7ff00000, v37, vcc_lo
	s_and_b32 vcc_lo, s0, vcc_lo
	v_cndmask_b32_e32 v34, 0, v36, vcc_lo
	v_cndmask_b32_e64 v35, 0, v37, s0
	v_add_f64 v[32:33], v[34:35], v[32:33]
	v_max_f64 v[32:33], 0x38100000, v[32:33]
	v_frexp_mant_f64_e32 v[34:35], v[32:33]
	v_frexp_exp_i32_f64_e32 v36, v[32:33]
	v_cmp_gt_f64_e32 vcc_lo, s[40:41], v[34:35]
	v_cndmask_b32_e64 v37, 0, 1, vcc_lo
	v_subrev_co_ci_u32_e64 v48, null, 0, v36, vcc_lo
	v_cmp_neq_f64_e32 vcc_lo, 0x7ff00000, v[32:33]
	v_ldexp_f64 v[34:35], v[34:35], v37
	v_add_f64 v[38:39], v[34:35], 1.0
	v_add_f64 v[36:37], v[34:35], -1.0
	v_add_f64 v[40:41], v[38:39], -1.0
	v_add_f64 v[34:35], v[34:35], -v[40:41]
	v_rcp_f64_e32 v[40:41], v[38:39]
	v_fma_f64 v[42:43], -v[38:39], v[40:41], 1.0
	v_fma_f64 v[40:41], v[42:43], v[40:41], v[40:41]
	v_fma_f64 v[42:43], -v[38:39], v[40:41], 1.0
	v_fma_f64 v[40:41], v[42:43], v[40:41], v[40:41]
	v_mul_f64 v[42:43], v[36:37], v[40:41]
	v_mul_f64 v[44:45], v[38:39], v[42:43]
	v_fma_f64 v[38:39], v[42:43], v[38:39], -v[44:45]
	v_fma_f64 v[34:35], v[42:43], v[34:35], v[38:39]
	v_add_f64 v[38:39], v[44:45], v[34:35]
	v_add_f64 v[46:47], v[36:37], -v[38:39]
	v_add_f64 v[44:45], v[38:39], -v[44:45]
	v_add_f64 v[36:37], v[36:37], -v[46:47]
	v_add_f64 v[34:35], v[44:45], -v[34:35]
	v_add_f64 v[36:37], v[36:37], -v[38:39]
	v_add_f64 v[34:35], v[34:35], v[36:37]
	v_add_f64 v[34:35], v[46:47], v[34:35]
	v_mul_f64 v[34:35], v[40:41], v[34:35]
	v_add_f64 v[36:37], v[42:43], v[34:35]
	v_add_f64 v[38:39], v[36:37], -v[42:43]
	v_ldexp_f64 v[42:43], v[36:37], 1
	v_add_f64 v[34:35], v[34:35], -v[38:39]
	v_mul_f64 v[38:39], v[36:37], v[36:37]
	v_ldexp_f64 v[34:35], v[34:35], 1
	v_fma_f64 v[40:41], v[38:39], s[18:19], s[10:11]
	v_mul_f64 v[36:37], v[36:37], v[38:39]
	v_fma_f64 v[40:41], v[38:39], v[40:41], s[20:21]
	v_fma_f64 v[40:41], v[38:39], v[40:41], s[22:23]
	;; [unrolled: 1-line block ×5, first 2 shown]
	v_mul_f64 v[36:37], v[36:37], v[40:41]
	v_add_f64 v[38:39], v[42:43], v[36:37]
	v_add_f64 v[40:41], v[38:39], -v[42:43]
	v_add_f64 v[36:37], v[36:37], -v[40:41]
	v_add_f64 v[34:35], v[34:35], v[36:37]
	v_add_f64 v[36:37], v[38:39], v[34:35]
	v_add_f64 v[38:39], v[36:37], -v[38:39]
	v_add_f64 v[34:35], v[34:35], -v[38:39]
	v_cvt_f64_i32_e32 v[38:39], v48
	v_mul_f64 v[40:41], v[38:39], s[6:7]
	v_fma_f64 v[42:43], v[38:39], s[6:7], -v[40:41]
	v_fma_f64 v[38:39], v[38:39], s[8:9], v[42:43]
	v_add_f64 v[42:43], v[40:41], v[38:39]
	v_add_f64 v[40:41], v[42:43], -v[40:41]
	v_add_f64 v[38:39], v[38:39], -v[40:41]
	v_mul_f64 v[40:41], v[36:37], s[2:3]
	v_fma_f64 v[44:45], v[36:37], s[2:3], -v[40:41]
	v_fma_f64 v[34:35], v[34:35], s[2:3], v[44:45]
	v_fma_f64 v[34:35], v[36:37], s[4:5], v[34:35]
	v_add_f64 v[36:37], v[40:41], v[34:35]
	v_add_f64 v[40:41], v[36:37], -v[40:41]
	v_add_f64 v[34:35], v[34:35], -v[40:41]
	v_add_f64 v[40:41], v[42:43], v[36:37]
	v_add_f64 v[44:45], v[40:41], -v[42:43]
	v_add_f64 v[46:47], v[40:41], -v[44:45]
	;; [unrolled: 1-line block ×4, first 2 shown]
	v_add_f64 v[36:37], v[36:37], v[42:43]
	v_add_f64 v[42:43], v[38:39], v[34:35]
	v_add_f64 v[44:45], v[42:43], -v[38:39]
	v_add_f64 v[36:37], v[42:43], v[36:37]
	v_add_f64 v[46:47], v[42:43], -v[44:45]
	v_add_f64 v[34:35], v[34:35], -v[44:45]
	v_add_f64 v[38:39], v[38:39], -v[46:47]
	v_add_f64 v[34:35], v[34:35], v[38:39]
	v_add_f64 v[38:39], v[40:41], v[36:37]
	v_add_f64 v[40:41], v[38:39], -v[40:41]
	v_add_f64 v[36:37], v[36:37], -v[40:41]
	v_add_f64 v[34:35], v[34:35], v[36:37]
	v_add_f64 v[34:35], v[38:39], v[34:35]
	v_cndmask_b32_e32 v33, 0x7ff00000, v35, vcc_lo
	v_cndmask_b32_e32 v32, 0, v34, vcc_lo
	v_fma_f64 v[36:37], v[32:33], s[68:69], s[64:65]
	v_fma_f64 v[34:35], v[32:33], s[60:61], 0x3fe80000
	v_add_f64 v[30:31], v[30:31], -v[36:37]
	v_fma_f64 v[34:35], v[30:31], s[76:77], v[34:35]
	v_div_scale_f64 v[36:37], null, v[34:35], v[34:35], 1.0
	v_rcp_f64_e32 v[38:39], v[36:37]
	v_fma_f64 v[40:41], -v[36:37], v[38:39], 1.0
	v_fma_f64 v[38:39], v[38:39], v[40:41], v[38:39]
	v_fma_f64 v[40:41], -v[36:37], v[38:39], 1.0
	v_fma_f64 v[38:39], v[38:39], v[40:41], v[38:39]
	v_div_scale_f64 v[40:41], vcc_lo, 1.0, v[34:35], 1.0
	v_mul_f64 v[42:43], v[40:41], v[38:39]
	v_fma_f64 v[36:37], -v[36:37], v[42:43], v[40:41]
	v_div_fmas_f64 v[36:37], v[36:37], v[38:39], v[42:43]
	v_div_fixup_f64 v[34:35], v[36:37], v[34:35], 1.0
	v_mul_f64 v[30:31], v[30:31], v[34:35]
	v_fma_f64 v[30:31], v[30:31], v[30:31], 1.0
	v_div_scale_f64 v[34:35], null, v[30:31], v[30:31], 1.0
	v_rcp_f64_e32 v[36:37], v[34:35]
	v_fma_f64 v[38:39], -v[34:35], v[36:37], 1.0
	v_fma_f64 v[36:37], v[36:37], v[38:39], v[36:37]
	v_fma_f64 v[38:39], -v[34:35], v[36:37], 1.0
	v_fma_f64 v[36:37], v[36:37], v[38:39], v[36:37]
	v_div_scale_f64 v[38:39], vcc_lo, 1.0, v[30:31], 1.0
	v_mul_f64 v[40:41], v[38:39], v[36:37]
	v_fma_f64 v[34:35], -v[34:35], v[40:41], v[38:39]
	v_div_fmas_f64 v[34:35], v[34:35], v[36:37], v[40:41]
	v_div_fixup_f64 v[30:31], v[34:35], v[30:31], 1.0
	v_mul_f64 v[30:31], v[32:33], v[30:31]
	v_mul_f64 v[32:33], v[30:31], s[62:63]
	v_cmp_nlt_f64_e32 vcc_lo, 0x40900000, v[30:31]
	v_cmp_ngt_f64_e64 s0, 0xc090cc00, v[30:31]
	v_rndne_f64_e32 v[32:33], v[32:33]
	v_fma_f64 v[34:35], v[32:33], s[66:67], v[30:31]
	v_fma_f64 v[34:35], v[32:33], s[70:71], v[34:35]
	v_cvt_i32_f64_e32 v32, v[32:33]
	v_mul_f64 v[36:37], v[34:35], s[72:73]
	v_fma_f64 v[34:35], v[34:35], s[74:75], v[36:37]
	v_fma_f64 v[36:37], v[34:35], s[34:35], s[30:31]
	v_fma_f64 v[36:37], v[34:35], v[36:37], s[36:37]
	v_fma_f64 v[36:37], v[34:35], v[36:37], s[38:39]
	v_fma_f64 v[36:37], v[34:35], v[36:37], s[42:43]
	v_fma_f64 v[36:37], v[34:35], v[36:37], s[44:45]
	v_fma_f64 v[36:37], v[34:35], v[36:37], s[46:47]
	v_fma_f64 v[36:37], v[34:35], v[36:37], s[48:49]
	v_fma_f64 v[36:37], v[34:35], v[36:37], s[50:51]
	v_fma_f64 v[36:37], v[34:35], v[36:37], s[52:53]
	v_fma_f64 v[36:37], v[34:35], v[36:37], 1.0
	v_fma_f64 v[34:35], v[34:35], v[36:37], 1.0
	v_ldexp_f64 v[32:33], v[34:35], v32
	v_cndmask_b32_e32 v33, 0x7ff00000, v33, vcc_lo
	s_and_b32 vcc_lo, s0, vcc_lo
	v_cndmask_b32_e32 v30, 0, v32, vcc_lo
	v_add_co_u32 v22, vcc_lo, s14, v22
	v_cndmask_b32_e64 v31, 0, v33, s0
	v_add_co_ci_u32_e64 v23, null, s15, v23, vcc_lo
	v_add_co_u32 v18, vcc_lo, s16, v18
	v_mul_f64 v[28:29], v[28:29], v[30:31]
	v_add_co_ci_u32_e64 v19, null, s17, v19, vcc_lo
	s_mov_b32 s0, 0x6c53a1d5
	s_mov_b32 s1, 0xbf45129a
	v_mul_f64 v[26:27], v[26:27], v[28:29]
	global_store_dwordx2 v[24:25], v[26:27], off
	global_load_dwordx2 v[24:25], v[22:23], off
	s_waitcnt vmcnt(0)
	v_mul_f64 v[24:25], v[24:25], v[28:29]
	global_load_dwordx2 v[28:29], v[18:19], off
	v_mad_u64_u32 v[18:19], null, s33, 15, v[2:3]
	v_mov_b32_e32 v19, v3
	global_store_dwordx2 v[22:23], v[24:25], off
	v_lshlrev_b64 v[22:23], 3, v[18:19]
	v_add_co_u32 v24, vcc_lo, s12, v22
	v_add_co_ci_u32_e64 v25, null, s13, v23, vcc_lo
	global_load_dwordx2 v[26:27], v[24:25], off
	s_waitcnt vmcnt(0)
	v_div_scale_f64 v[30:31], null, v[26:27], v[26:27], 1.0
	v_rcp_f64_e32 v[32:33], v[30:31]
	v_fma_f64 v[34:35], -v[30:31], v[32:33], 1.0
	v_fma_f64 v[32:33], v[32:33], v[34:35], v[32:33]
	v_fma_f64 v[34:35], -v[30:31], v[32:33], 1.0
	v_fma_f64 v[32:33], v[32:33], v[34:35], v[32:33]
	v_div_scale_f64 v[34:35], vcc_lo, 1.0, v[26:27], 1.0
	v_mul_f64 v[36:37], v[34:35], v[32:33]
	v_fma_f64 v[30:31], -v[30:31], v[36:37], v[34:35]
	v_div_fmas_f64 v[30:31], v[30:31], v[32:33], v[36:37]
	v_div_fixup_f64 v[30:31], v[30:31], v[26:27], 1.0
	v_mul_f64 v[30:31], v[8:9], v[30:31]
	v_mul_f64 v[32:33], v[28:29], v[30:31]
	v_fma_f64 v[28:29], v[28:29], v[30:31], 1.0
	v_div_scale_f64 v[30:31], null, v[28:29], v[28:29], 1.0
	v_rcp_f64_e32 v[34:35], v[30:31]
	v_fma_f64 v[36:37], -v[30:31], v[34:35], 1.0
	v_fma_f64 v[34:35], v[34:35], v[36:37], v[34:35]
	v_fma_f64 v[36:37], -v[30:31], v[34:35], 1.0
	v_fma_f64 v[34:35], v[34:35], v[36:37], v[34:35]
	v_div_scale_f64 v[36:37], vcc_lo, 1.0, v[28:29], 1.0
	v_mul_f64 v[38:39], v[36:37], v[34:35]
	v_fma_f64 v[30:31], -v[30:31], v[38:39], v[36:37]
	v_div_fmas_f64 v[30:31], v[30:31], v[34:35], v[38:39]
	v_div_fixup_f64 v[28:29], v[30:31], v[28:29], 1.0
	v_max_f64 v[30:31], 0x38100000, v[32:33]
	v_mul_f64 v[28:29], v[32:33], v[28:29]
	v_frexp_mant_f64_e32 v[32:33], v[30:31]
	v_frexp_exp_i32_f64_e32 v2, v[30:31]
	v_cmp_gt_f64_e32 vcc_lo, s[40:41], v[32:33]
	v_cndmask_b32_e64 v19, 0, 1, vcc_lo
	v_subrev_co_ci_u32_e64 v2, null, 0, v2, vcc_lo
	v_cmp_neq_f64_e32 vcc_lo, 0x7ff00000, v[30:31]
	v_ldexp_f64 v[32:33], v[32:33], v19
	v_add_f64 v[36:37], v[32:33], 1.0
	v_add_f64 v[34:35], v[32:33], -1.0
	v_add_f64 v[38:39], v[36:37], -1.0
	v_add_f64 v[32:33], v[32:33], -v[38:39]
	v_rcp_f64_e32 v[38:39], v[36:37]
	v_fma_f64 v[40:41], -v[36:37], v[38:39], 1.0
	v_fma_f64 v[38:39], v[40:41], v[38:39], v[38:39]
	v_fma_f64 v[40:41], -v[36:37], v[38:39], 1.0
	v_fma_f64 v[38:39], v[40:41], v[38:39], v[38:39]
	v_mul_f64 v[40:41], v[34:35], v[38:39]
	v_mul_f64 v[42:43], v[36:37], v[40:41]
	v_fma_f64 v[36:37], v[40:41], v[36:37], -v[42:43]
	v_fma_f64 v[32:33], v[40:41], v[32:33], v[36:37]
	v_add_f64 v[36:37], v[42:43], v[32:33]
	v_add_f64 v[44:45], v[34:35], -v[36:37]
	v_add_f64 v[42:43], v[36:37], -v[42:43]
	;; [unrolled: 1-line block ×5, first 2 shown]
	v_add_f64 v[32:33], v[32:33], v[34:35]
	v_add_f64 v[32:33], v[44:45], v[32:33]
	v_mul_f64 v[32:33], v[38:39], v[32:33]
	v_add_f64 v[34:35], v[40:41], v[32:33]
	v_add_f64 v[36:37], v[34:35], -v[40:41]
	v_ldexp_f64 v[40:41], v[34:35], 1
	v_add_f64 v[32:33], v[32:33], -v[36:37]
	v_mul_f64 v[36:37], v[34:35], v[34:35]
	v_ldexp_f64 v[32:33], v[32:33], 1
	v_fma_f64 v[38:39], v[36:37], s[18:19], s[10:11]
	v_mul_f64 v[34:35], v[34:35], v[36:37]
	v_fma_f64 v[38:39], v[36:37], v[38:39], s[20:21]
	v_fma_f64 v[38:39], v[36:37], v[38:39], s[22:23]
	v_fma_f64 v[38:39], v[36:37], v[38:39], s[24:25]
	v_fma_f64 v[38:39], v[36:37], v[38:39], s[26:27]
	v_fma_f64 v[38:39], v[36:37], v[38:39], s[28:29]
	v_mul_f64 v[34:35], v[34:35], v[38:39]
	v_add_f64 v[36:37], v[40:41], v[34:35]
	v_add_f64 v[38:39], v[36:37], -v[40:41]
	v_add_f64 v[34:35], v[34:35], -v[38:39]
	v_add_f64 v[32:33], v[32:33], v[34:35]
	v_add_f64 v[34:35], v[36:37], v[32:33]
	v_add_f64 v[36:37], v[34:35], -v[36:37]
	v_add_f64 v[32:33], v[32:33], -v[36:37]
	v_cvt_f64_i32_e32 v[36:37], v2
	v_mul_f64 v[38:39], v[36:37], s[6:7]
	v_fma_f64 v[40:41], v[36:37], s[6:7], -v[38:39]
	v_fma_f64 v[36:37], v[36:37], s[8:9], v[40:41]
	v_add_f64 v[40:41], v[38:39], v[36:37]
	v_add_f64 v[38:39], v[40:41], -v[38:39]
	v_add_f64 v[36:37], v[36:37], -v[38:39]
	v_mul_f64 v[38:39], v[34:35], s[2:3]
	v_fma_f64 v[42:43], v[34:35], s[2:3], -v[38:39]
	v_fma_f64 v[32:33], v[32:33], s[2:3], v[42:43]
	v_fma_f64 v[32:33], v[34:35], s[4:5], v[32:33]
	v_add_f64 v[34:35], v[38:39], v[32:33]
	v_add_f64 v[38:39], v[34:35], -v[38:39]
	v_add_f64 v[32:33], v[32:33], -v[38:39]
	v_add_f64 v[38:39], v[40:41], v[34:35]
	v_add_f64 v[42:43], v[38:39], -v[40:41]
	v_add_f64 v[44:45], v[38:39], -v[42:43]
	;; [unrolled: 1-line block ×4, first 2 shown]
	v_add_f64 v[34:35], v[34:35], v[40:41]
	v_add_f64 v[40:41], v[36:37], v[32:33]
	v_add_f64 v[42:43], v[40:41], -v[36:37]
	v_add_f64 v[34:35], v[40:41], v[34:35]
	v_add_f64 v[44:45], v[40:41], -v[42:43]
	v_add_f64 v[32:33], v[32:33], -v[42:43]
	;; [unrolled: 1-line block ×3, first 2 shown]
	v_add_f64 v[32:33], v[32:33], v[36:37]
	v_add_f64 v[36:37], v[38:39], v[34:35]
	v_add_f64 v[38:39], v[36:37], -v[38:39]
	v_add_f64 v[34:35], v[34:35], -v[38:39]
	v_add_f64 v[32:33], v[32:33], v[34:35]
	v_add_f64 v[32:33], v[36:37], v[32:33]
	v_cndmask_b32_e32 v31, 0x7ff00000, v33, vcc_lo
	v_cndmask_b32_e32 v30, 0, v32, vcc_lo
	v_mul_f64 v[32:33], v[0:1], s[0:1]
	s_mov_b32 s0, 0x374bc6a8
	s_mov_b32 s1, 0x3fe84189
	v_mul_f64 v[34:35], v[32:33], s[54:55]
	v_cmp_nlt_f64_e32 vcc_lo, 0x40900000, v[32:33]
	v_rndne_f64_e32 v[34:35], v[34:35]
	v_fma_f64 v[36:37], v[34:35], s[56:57], v[32:33]
	v_cvt_i32_f64_e32 v2, v[34:35]
	v_fma_f64 v[36:37], v[34:35], s[58:59], v[36:37]
	v_fma_f64 v[38:39], v[36:37], s[34:35], s[30:31]
	;; [unrolled: 1-line block ×10, first 2 shown]
	v_fma_f64 v[38:39], v[36:37], v[38:39], 1.0
	v_fma_f64 v[36:37], v[36:37], v[38:39], 1.0
	v_ldexp_f64 v[34:35], v[36:37], v2
	v_mul_f64 v[34:35], v[34:35], s[0:1]
	v_cmp_ngt_f64_e64 s0, 0xc090cc00, v[32:33]
	v_cndmask_b32_e32 v2, 0x7ff00000, v35, vcc_lo
	s_and_b32 vcc_lo, s0, vcc_lo
	v_cndmask_b32_e32 v32, 0, v34, vcc_lo
	v_cndmask_b32_e64 v33, 0, v2, s0
	s_mov_b32 s0, 0x22d0e560
	s_mov_b32 s1, 0x3fcef9db
	v_fma_f64 v[19:20], v[20:21], s[0:1], v[32:33]
	v_mul_f64 v[32:33], 0xc0b06800, v[12:13]
	v_mul_f64 v[34:35], v[32:33], s[54:55]
	v_cmp_nlt_f64_e32 vcc_lo, 0x40900000, v[32:33]
	v_cmp_ngt_f64_e64 s0, 0xc090cc00, v[32:33]
	v_rndne_f64_e32 v[34:35], v[34:35]
	v_fma_f64 v[36:37], v[34:35], s[56:57], v[32:33]
	v_cvt_i32_f64_e32 v2, v[34:35]
	v_fma_f64 v[36:37], v[34:35], s[58:59], v[36:37]
	v_fma_f64 v[38:39], v[36:37], s[34:35], s[30:31]
	;; [unrolled: 1-line block ×10, first 2 shown]
	v_fma_f64 v[38:39], v[36:37], v[38:39], 1.0
	v_fma_f64 v[36:37], v[36:37], v[38:39], 1.0
	v_ldexp_f64 v[34:35], v[36:37], v2
	v_cndmask_b32_e32 v2, 0x7ff00000, v35, vcc_lo
	s_and_b32 vcc_lo, s0, vcc_lo
	v_cndmask_b32_e32 v32, 0, v34, vcc_lo
	v_cndmask_b32_e64 v33, 0, v2, s0
	v_add_f64 v[19:20], v[32:33], v[19:20]
	v_max_f64 v[19:20], 0x38100000, v[19:20]
	v_frexp_mant_f64_e32 v[32:33], v[19:20]
	v_frexp_exp_i32_f64_e32 v2, v[19:20]
	v_cmp_gt_f64_e32 vcc_lo, s[40:41], v[32:33]
	v_cndmask_b32_e64 v21, 0, 1, vcc_lo
	v_subrev_co_ci_u32_e64 v2, null, 0, v2, vcc_lo
	v_cmp_neq_f64_e32 vcc_lo, 0x7ff00000, v[19:20]
	v_ldexp_f64 v[32:33], v[32:33], v21
	v_add_f64 v[36:37], v[32:33], 1.0
	v_add_f64 v[34:35], v[32:33], -1.0
	v_add_f64 v[38:39], v[36:37], -1.0
	v_add_f64 v[32:33], v[32:33], -v[38:39]
	v_rcp_f64_e32 v[38:39], v[36:37]
	v_fma_f64 v[40:41], -v[36:37], v[38:39], 1.0
	v_fma_f64 v[38:39], v[40:41], v[38:39], v[38:39]
	v_fma_f64 v[40:41], -v[36:37], v[38:39], 1.0
	v_fma_f64 v[38:39], v[40:41], v[38:39], v[38:39]
	v_mul_f64 v[40:41], v[34:35], v[38:39]
	v_mul_f64 v[42:43], v[36:37], v[40:41]
	v_fma_f64 v[36:37], v[40:41], v[36:37], -v[42:43]
	v_fma_f64 v[32:33], v[40:41], v[32:33], v[36:37]
	v_add_f64 v[36:37], v[42:43], v[32:33]
	v_add_f64 v[44:45], v[34:35], -v[36:37]
	v_add_f64 v[42:43], v[36:37], -v[42:43]
	;; [unrolled: 1-line block ×5, first 2 shown]
	v_add_f64 v[32:33], v[32:33], v[34:35]
	v_add_f64 v[32:33], v[44:45], v[32:33]
	v_mul_f64 v[32:33], v[38:39], v[32:33]
	v_add_f64 v[34:35], v[40:41], v[32:33]
	v_add_f64 v[36:37], v[34:35], -v[40:41]
	v_ldexp_f64 v[40:41], v[34:35], 1
	v_add_f64 v[32:33], v[32:33], -v[36:37]
	v_mul_f64 v[36:37], v[34:35], v[34:35]
	v_ldexp_f64 v[32:33], v[32:33], 1
	v_fma_f64 v[38:39], v[36:37], s[18:19], s[10:11]
	v_mul_f64 v[34:35], v[34:35], v[36:37]
	v_fma_f64 v[38:39], v[36:37], v[38:39], s[20:21]
	v_fma_f64 v[38:39], v[36:37], v[38:39], s[22:23]
	;; [unrolled: 1-line block ×5, first 2 shown]
	v_mul_f64 v[34:35], v[34:35], v[38:39]
	v_add_f64 v[36:37], v[40:41], v[34:35]
	v_add_f64 v[38:39], v[36:37], -v[40:41]
	v_add_f64 v[34:35], v[34:35], -v[38:39]
	v_add_f64 v[32:33], v[32:33], v[34:35]
	v_add_f64 v[34:35], v[36:37], v[32:33]
	v_add_f64 v[36:37], v[34:35], -v[36:37]
	v_add_f64 v[32:33], v[32:33], -v[36:37]
	v_cvt_f64_i32_e32 v[36:37], v2
	v_mul_f64 v[38:39], v[36:37], s[6:7]
	v_fma_f64 v[40:41], v[36:37], s[6:7], -v[38:39]
	v_fma_f64 v[36:37], v[36:37], s[8:9], v[40:41]
	v_add_f64 v[40:41], v[38:39], v[36:37]
	v_add_f64 v[38:39], v[40:41], -v[38:39]
	v_add_f64 v[36:37], v[36:37], -v[38:39]
	v_mul_f64 v[38:39], v[34:35], s[2:3]
	v_fma_f64 v[42:43], v[34:35], s[2:3], -v[38:39]
	v_fma_f64 v[32:33], v[32:33], s[2:3], v[42:43]
	v_fma_f64 v[32:33], v[34:35], s[4:5], v[32:33]
	v_add_f64 v[34:35], v[38:39], v[32:33]
	v_add_f64 v[38:39], v[34:35], -v[38:39]
	v_add_f64 v[32:33], v[32:33], -v[38:39]
	v_add_f64 v[38:39], v[40:41], v[34:35]
	v_add_f64 v[42:43], v[38:39], -v[40:41]
	v_add_f64 v[44:45], v[38:39], -v[42:43]
	;; [unrolled: 1-line block ×4, first 2 shown]
	v_add_f64 v[34:35], v[34:35], v[40:41]
	v_add_f64 v[40:41], v[36:37], v[32:33]
	v_add_f64 v[42:43], v[40:41], -v[36:37]
	v_add_f64 v[34:35], v[40:41], v[34:35]
	v_add_f64 v[44:45], v[40:41], -v[42:43]
	v_add_f64 v[32:33], v[32:33], -v[42:43]
	;; [unrolled: 1-line block ×3, first 2 shown]
	v_add_f64 v[32:33], v[32:33], v[36:37]
	v_add_f64 v[36:37], v[38:39], v[34:35]
	v_add_f64 v[38:39], v[36:37], -v[38:39]
	v_add_f64 v[34:35], v[34:35], -v[38:39]
	v_add_f64 v[32:33], v[32:33], v[34:35]
	v_add_f64 v[32:33], v[36:37], v[32:33]
	v_cndmask_b32_e32 v20, 0x7ff00000, v33, vcc_lo
	v_cndmask_b32_e32 v19, 0, v32, vcc_lo
	v_fma_f64 v[34:35], v[19:20], s[68:69], s[64:65]
	v_fma_f64 v[32:33], v[19:20], s[60:61], 0x3fe80000
	v_add_f64 v[30:31], v[30:31], -v[34:35]
	v_fma_f64 v[32:33], v[30:31], s[76:77], v[32:33]
	v_div_scale_f64 v[34:35], null, v[32:33], v[32:33], 1.0
	v_rcp_f64_e32 v[36:37], v[34:35]
	v_fma_f64 v[38:39], -v[34:35], v[36:37], 1.0
	v_fma_f64 v[36:37], v[36:37], v[38:39], v[36:37]
	v_fma_f64 v[38:39], -v[34:35], v[36:37], 1.0
	v_fma_f64 v[36:37], v[36:37], v[38:39], v[36:37]
	v_div_scale_f64 v[38:39], vcc_lo, 1.0, v[32:33], 1.0
	v_mul_f64 v[40:41], v[38:39], v[36:37]
	v_fma_f64 v[34:35], -v[34:35], v[40:41], v[38:39]
	v_div_fmas_f64 v[34:35], v[34:35], v[36:37], v[40:41]
	v_div_fixup_f64 v[32:33], v[34:35], v[32:33], 1.0
	v_mul_f64 v[30:31], v[30:31], v[32:33]
	v_fma_f64 v[30:31], v[30:31], v[30:31], 1.0
	v_div_scale_f64 v[32:33], null, v[30:31], v[30:31], 1.0
	v_rcp_f64_e32 v[34:35], v[32:33]
	v_fma_f64 v[36:37], -v[32:33], v[34:35], 1.0
	v_fma_f64 v[34:35], v[34:35], v[36:37], v[34:35]
	v_fma_f64 v[36:37], -v[32:33], v[34:35], 1.0
	v_fma_f64 v[34:35], v[34:35], v[36:37], v[34:35]
	v_div_scale_f64 v[36:37], vcc_lo, 1.0, v[30:31], 1.0
	v_mul_f64 v[38:39], v[36:37], v[34:35]
	v_fma_f64 v[32:33], -v[32:33], v[38:39], v[36:37]
	v_div_fmas_f64 v[32:33], v[32:33], v[34:35], v[38:39]
	v_div_fixup_f64 v[30:31], v[32:33], v[30:31], 1.0
	v_mul_f64 v[19:20], v[19:20], v[30:31]
	v_mul_f64 v[30:31], v[19:20], s[62:63]
	v_cmp_nlt_f64_e32 vcc_lo, 0x40900000, v[19:20]
	v_cmp_ngt_f64_e64 s0, 0xc090cc00, v[19:20]
	v_rndne_f64_e32 v[30:31], v[30:31]
	v_fma_f64 v[32:33], v[30:31], s[66:67], v[19:20]
	v_cvt_i32_f64_e32 v2, v[30:31]
	v_fma_f64 v[32:33], v[30:31], s[70:71], v[32:33]
	v_mul_f64 v[34:35], v[32:33], s[72:73]
	v_fma_f64 v[32:33], v[32:33], s[74:75], v[34:35]
	v_fma_f64 v[34:35], v[32:33], s[34:35], s[30:31]
	;; [unrolled: 1-line block ×10, first 2 shown]
	v_fma_f64 v[34:35], v[32:33], v[34:35], 1.0
	v_fma_f64 v[32:33], v[32:33], v[34:35], 1.0
	v_ldexp_f64 v[30:31], v[32:33], v2
	v_cndmask_b32_e32 v2, 0x7ff00000, v31, vcc_lo
	s_and_b32 vcc_lo, s0, vcc_lo
	v_cndmask_b32_e32 v19, 0, v30, vcc_lo
	v_add_co_u32 v21, vcc_lo, s14, v22
	v_cndmask_b32_e64 v20, 0, v2, s0
	v_add_co_ci_u32_e64 v22, null, s15, v23, vcc_lo
	v_add_co_u32 v16, vcc_lo, s16, v16
	v_mul_f64 v[19:20], v[28:29], v[19:20]
	v_add_co_ci_u32_e64 v17, null, s17, v17, vcc_lo
	s_mov_b32 s0, 0x14c1bad0
	s_mov_b32 s1, 0xbf8bacf9
	v_mul_f64 v[26:27], v[26:27], v[19:20]
	global_store_dwordx2 v[24:25], v[26:27], off
	global_load_dwordx2 v[23:24], v[21:22], off
	s_waitcnt vmcnt(0)
	v_mul_f64 v[19:20], v[23:24], v[19:20]
	global_load_dwordx2 v[23:24], v[16:17], off
	v_mad_u64_u32 v[16:17], null, s33, 7, v[18:19]
	v_mov_b32_e32 v17, v3
	global_store_dwordx2 v[21:22], v[19:20], off
	v_lshlrev_b64 v[17:18], 3, v[16:17]
	v_add_co_u32 v19, vcc_lo, s12, v17
	v_add_co_ci_u32_e64 v20, null, s13, v18, vcc_lo
	global_load_dwordx2 v[21:22], v[19:20], off
	s_waitcnt vmcnt(0)
	v_div_scale_f64 v[25:26], null, v[21:22], v[21:22], 1.0
	v_rcp_f64_e32 v[27:28], v[25:26]
	v_fma_f64 v[29:30], -v[25:26], v[27:28], 1.0
	v_fma_f64 v[27:28], v[27:28], v[29:30], v[27:28]
	v_fma_f64 v[29:30], -v[25:26], v[27:28], 1.0
	v_fma_f64 v[27:28], v[27:28], v[29:30], v[27:28]
	v_div_scale_f64 v[29:30], vcc_lo, 1.0, v[21:22], 1.0
	v_mul_f64 v[31:32], v[29:30], v[27:28]
	v_fma_f64 v[25:26], -v[25:26], v[31:32], v[29:30]
	v_div_fmas_f64 v[25:26], v[25:26], v[27:28], v[31:32]
	v_div_fixup_f64 v[25:26], v[25:26], v[21:22], 1.0
	v_mul_f64 v[25:26], v[8:9], v[25:26]
	v_mul_f64 v[27:28], v[23:24], v[25:26]
	v_fma_f64 v[23:24], v[23:24], v[25:26], 1.0
	v_div_scale_f64 v[25:26], null, v[23:24], v[23:24], 1.0
	v_rcp_f64_e32 v[29:30], v[25:26]
	v_fma_f64 v[31:32], -v[25:26], v[29:30], 1.0
	v_fma_f64 v[29:30], v[29:30], v[31:32], v[29:30]
	v_fma_f64 v[31:32], -v[25:26], v[29:30], 1.0
	v_fma_f64 v[29:30], v[29:30], v[31:32], v[29:30]
	v_div_scale_f64 v[31:32], vcc_lo, 1.0, v[23:24], 1.0
	v_mul_f64 v[33:34], v[31:32], v[29:30]
	v_fma_f64 v[25:26], -v[25:26], v[33:34], v[31:32]
	v_div_fmas_f64 v[25:26], v[25:26], v[29:30], v[33:34]
	v_div_fixup_f64 v[23:24], v[25:26], v[23:24], 1.0
	v_max_f64 v[25:26], 0x38100000, v[27:28]
	v_mul_f64 v[23:24], v[27:28], v[23:24]
	v_frexp_mant_f64_e32 v[27:28], v[25:26]
	v_frexp_exp_i32_f64_e32 v2, v[25:26]
	v_cmp_gt_f64_e32 vcc_lo, s[40:41], v[27:28]
	v_cndmask_b32_e64 v29, 0, 1, vcc_lo
	v_subrev_co_ci_u32_e64 v2, null, 0, v2, vcc_lo
	v_cmp_neq_f64_e32 vcc_lo, 0x7ff00000, v[25:26]
	v_ldexp_f64 v[27:28], v[27:28], v29
	v_add_f64 v[31:32], v[27:28], 1.0
	v_add_f64 v[29:30], v[27:28], -1.0
	v_add_f64 v[33:34], v[31:32], -1.0
	v_add_f64 v[27:28], v[27:28], -v[33:34]
	v_rcp_f64_e32 v[33:34], v[31:32]
	v_fma_f64 v[35:36], -v[31:32], v[33:34], 1.0
	v_fma_f64 v[33:34], v[35:36], v[33:34], v[33:34]
	v_fma_f64 v[35:36], -v[31:32], v[33:34], 1.0
	v_fma_f64 v[33:34], v[35:36], v[33:34], v[33:34]
	v_mul_f64 v[35:36], v[29:30], v[33:34]
	v_mul_f64 v[37:38], v[31:32], v[35:36]
	v_fma_f64 v[31:32], v[35:36], v[31:32], -v[37:38]
	v_fma_f64 v[27:28], v[35:36], v[27:28], v[31:32]
	v_add_f64 v[31:32], v[37:38], v[27:28]
	v_add_f64 v[39:40], v[29:30], -v[31:32]
	v_add_f64 v[37:38], v[31:32], -v[37:38]
	;; [unrolled: 1-line block ×5, first 2 shown]
	v_add_f64 v[27:28], v[27:28], v[29:30]
	v_add_f64 v[27:28], v[39:40], v[27:28]
	v_mul_f64 v[27:28], v[33:34], v[27:28]
	v_add_f64 v[29:30], v[35:36], v[27:28]
	v_add_f64 v[31:32], v[29:30], -v[35:36]
	v_ldexp_f64 v[35:36], v[29:30], 1
	v_add_f64 v[27:28], v[27:28], -v[31:32]
	v_mul_f64 v[31:32], v[29:30], v[29:30]
	v_ldexp_f64 v[27:28], v[27:28], 1
	v_fma_f64 v[33:34], v[31:32], s[18:19], s[10:11]
	v_mul_f64 v[29:30], v[29:30], v[31:32]
	v_fma_f64 v[33:34], v[31:32], v[33:34], s[20:21]
	v_fma_f64 v[33:34], v[31:32], v[33:34], s[22:23]
	;; [unrolled: 1-line block ×5, first 2 shown]
	v_mul_f64 v[29:30], v[29:30], v[33:34]
	v_add_f64 v[31:32], v[35:36], v[29:30]
	v_add_f64 v[33:34], v[31:32], -v[35:36]
	v_add_f64 v[29:30], v[29:30], -v[33:34]
	v_add_f64 v[27:28], v[27:28], v[29:30]
	v_add_f64 v[29:30], v[31:32], v[27:28]
	v_add_f64 v[31:32], v[29:30], -v[31:32]
	v_add_f64 v[27:28], v[27:28], -v[31:32]
	v_cvt_f64_i32_e32 v[31:32], v2
	v_mul_f64 v[33:34], v[31:32], s[6:7]
	v_fma_f64 v[35:36], v[31:32], s[6:7], -v[33:34]
	v_fma_f64 v[31:32], v[31:32], s[8:9], v[35:36]
	v_add_f64 v[35:36], v[33:34], v[31:32]
	v_add_f64 v[33:34], v[35:36], -v[33:34]
	v_add_f64 v[31:32], v[31:32], -v[33:34]
	v_mul_f64 v[33:34], v[29:30], s[2:3]
	v_fma_f64 v[37:38], v[29:30], s[2:3], -v[33:34]
	v_fma_f64 v[27:28], v[27:28], s[2:3], v[37:38]
	v_fma_f64 v[27:28], v[29:30], s[4:5], v[27:28]
	v_add_f64 v[29:30], v[33:34], v[27:28]
	v_add_f64 v[33:34], v[29:30], -v[33:34]
	v_add_f64 v[27:28], v[27:28], -v[33:34]
	v_add_f64 v[33:34], v[35:36], v[29:30]
	v_add_f64 v[37:38], v[33:34], -v[35:36]
	v_add_f64 v[39:40], v[33:34], -v[37:38]
	;; [unrolled: 1-line block ×4, first 2 shown]
	v_add_f64 v[29:30], v[29:30], v[35:36]
	v_add_f64 v[35:36], v[31:32], v[27:28]
	v_add_f64 v[37:38], v[35:36], -v[31:32]
	v_add_f64 v[29:30], v[35:36], v[29:30]
	v_add_f64 v[39:40], v[35:36], -v[37:38]
	v_add_f64 v[27:28], v[27:28], -v[37:38]
	;; [unrolled: 1-line block ×3, first 2 shown]
	v_add_f64 v[27:28], v[27:28], v[31:32]
	v_add_f64 v[31:32], v[33:34], v[29:30]
	v_add_f64 v[33:34], v[31:32], -v[33:34]
	v_add_f64 v[29:30], v[29:30], -v[33:34]
	v_add_f64 v[27:28], v[27:28], v[29:30]
	v_add_f64 v[27:28], v[31:32], v[27:28]
	v_cndmask_b32_e32 v26, 0x7ff00000, v28, vcc_lo
	v_cndmask_b32_e32 v25, 0, v27, vcc_lo
	v_mul_f64 v[27:28], v[0:1], s[0:1]
	s_mov_b32 s0, 0xef9db22d
	s_mov_b32 s1, 0x3fcbc6a7
	v_mul_f64 v[29:30], v[27:28], s[54:55]
	v_cmp_nlt_f64_e32 vcc_lo, 0x40900000, v[27:28]
	v_rndne_f64_e32 v[29:30], v[29:30]
	v_fma_f64 v[31:32], v[29:30], s[56:57], v[27:28]
	v_cvt_i32_f64_e32 v2, v[29:30]
	v_fma_f64 v[31:32], v[29:30], s[58:59], v[31:32]
	v_fma_f64 v[33:34], v[31:32], s[34:35], s[30:31]
	;; [unrolled: 1-line block ×10, first 2 shown]
	v_fma_f64 v[33:34], v[31:32], v[33:34], 1.0
	v_fma_f64 v[31:32], v[31:32], v[33:34], 1.0
	v_ldexp_f64 v[29:30], v[31:32], v2
	v_mul_f64 v[29:30], v[29:30], s[0:1]
	v_cmp_ngt_f64_e64 s0, 0xc090cc00, v[27:28]
	v_cndmask_b32_e32 v2, 0x7ff00000, v30, vcc_lo
	s_and_b32 vcc_lo, s0, vcc_lo
	v_cndmask_b32_e32 v27, 0, v29, vcc_lo
	v_cndmask_b32_e64 v28, 0, v2, s0
	s_mov_b32 s0, 0x80d3b1a9
	s_mov_b32 s1, 0xbf364898
	v_mul_f64 v[29:30], v[0:1], s[0:1]
	s_mov_b32 s0, 0x4189375
	s_mov_b32 s1, 0x3fe90e56
	v_mul_f64 v[31:32], v[29:30], s[54:55]
	v_cmp_nlt_f64_e32 vcc_lo, 0x40900000, v[29:30]
	v_rndne_f64_e32 v[31:32], v[31:32]
	v_fma_f64 v[33:34], v[31:32], s[56:57], v[29:30]
	v_cvt_i32_f64_e32 v2, v[31:32]
	v_fma_f64 v[33:34], v[31:32], s[58:59], v[33:34]
	v_fma_f64 v[35:36], v[33:34], s[34:35], s[30:31]
	;; [unrolled: 1-line block ×10, first 2 shown]
	v_fma_f64 v[35:36], v[33:34], v[35:36], 1.0
	v_fma_f64 v[33:34], v[33:34], v[35:36], 1.0
	v_ldexp_f64 v[31:32], v[33:34], v2
	v_mul_f64 v[31:32], v[31:32], s[0:1]
	v_cmp_ngt_f64_e64 s0, 0xc090cc00, v[29:30]
	v_cndmask_b32_e32 v2, 0x7ff00000, v32, vcc_lo
	s_and_b32 vcc_lo, s0, vcc_lo
	v_cndmask_b32_e32 v29, 0, v31, vcc_lo
	v_cndmask_b32_e64 v30, 0, v2, s0
	v_add_f64 v[27:28], v[27:28], v[29:30]
	v_mul_f64 v[29:30], 0xc0bb3400, v[12:13]
	v_mul_f64 v[31:32], v[29:30], s[54:55]
	v_cmp_nlt_f64_e32 vcc_lo, 0x40900000, v[29:30]
	v_cmp_ngt_f64_e64 s0, 0xc090cc00, v[29:30]
	v_rndne_f64_e32 v[31:32], v[31:32]
	v_fma_f64 v[33:34], v[31:32], s[56:57], v[29:30]
	v_cvt_i32_f64_e32 v2, v[31:32]
	v_fma_f64 v[33:34], v[31:32], s[58:59], v[33:34]
	v_fma_f64 v[35:36], v[33:34], s[34:35], s[30:31]
	;; [unrolled: 1-line block ×10, first 2 shown]
	v_fma_f64 v[35:36], v[33:34], v[35:36], 1.0
	v_fma_f64 v[33:34], v[33:34], v[35:36], 1.0
	v_ldexp_f64 v[31:32], v[33:34], v2
	v_cndmask_b32_e32 v2, 0x7ff00000, v32, vcc_lo
	s_and_b32 vcc_lo, s0, vcc_lo
	v_cndmask_b32_e32 v29, 0, v31, vcc_lo
	v_cndmask_b32_e64 v30, 0, v2, s0
	v_add_f64 v[27:28], v[29:30], v[27:28]
	v_max_f64 v[27:28], 0x38100000, v[27:28]
	v_frexp_mant_f64_e32 v[29:30], v[27:28]
	v_frexp_exp_i32_f64_e32 v2, v[27:28]
	v_cmp_gt_f64_e32 vcc_lo, s[40:41], v[29:30]
	v_cndmask_b32_e64 v31, 0, 1, vcc_lo
	v_subrev_co_ci_u32_e64 v2, null, 0, v2, vcc_lo
	v_cmp_neq_f64_e32 vcc_lo, 0x7ff00000, v[27:28]
	v_ldexp_f64 v[29:30], v[29:30], v31
	v_add_f64 v[33:34], v[29:30], 1.0
	v_add_f64 v[31:32], v[29:30], -1.0
	v_add_f64 v[35:36], v[33:34], -1.0
	v_add_f64 v[29:30], v[29:30], -v[35:36]
	v_rcp_f64_e32 v[35:36], v[33:34]
	v_fma_f64 v[37:38], -v[33:34], v[35:36], 1.0
	v_fma_f64 v[35:36], v[37:38], v[35:36], v[35:36]
	v_fma_f64 v[37:38], -v[33:34], v[35:36], 1.0
	v_fma_f64 v[35:36], v[37:38], v[35:36], v[35:36]
	v_mul_f64 v[37:38], v[31:32], v[35:36]
	v_mul_f64 v[39:40], v[33:34], v[37:38]
	v_fma_f64 v[33:34], v[37:38], v[33:34], -v[39:40]
	v_fma_f64 v[29:30], v[37:38], v[29:30], v[33:34]
	v_add_f64 v[33:34], v[39:40], v[29:30]
	v_add_f64 v[41:42], v[31:32], -v[33:34]
	v_add_f64 v[39:40], v[33:34], -v[39:40]
	;; [unrolled: 1-line block ×5, first 2 shown]
	v_add_f64 v[29:30], v[29:30], v[31:32]
	v_add_f64 v[29:30], v[41:42], v[29:30]
	v_mul_f64 v[29:30], v[35:36], v[29:30]
	v_add_f64 v[31:32], v[37:38], v[29:30]
	v_add_f64 v[33:34], v[31:32], -v[37:38]
	v_ldexp_f64 v[37:38], v[31:32], 1
	v_add_f64 v[29:30], v[29:30], -v[33:34]
	v_mul_f64 v[33:34], v[31:32], v[31:32]
	v_ldexp_f64 v[29:30], v[29:30], 1
	v_fma_f64 v[35:36], v[33:34], s[18:19], s[10:11]
	v_mul_f64 v[31:32], v[31:32], v[33:34]
	v_fma_f64 v[35:36], v[33:34], v[35:36], s[20:21]
	v_fma_f64 v[35:36], v[33:34], v[35:36], s[22:23]
	;; [unrolled: 1-line block ×5, first 2 shown]
	v_mul_f64 v[31:32], v[31:32], v[35:36]
	v_add_f64 v[33:34], v[37:38], v[31:32]
	v_add_f64 v[35:36], v[33:34], -v[37:38]
	v_add_f64 v[31:32], v[31:32], -v[35:36]
	v_add_f64 v[29:30], v[29:30], v[31:32]
	v_add_f64 v[31:32], v[33:34], v[29:30]
	v_add_f64 v[33:34], v[31:32], -v[33:34]
	v_add_f64 v[29:30], v[29:30], -v[33:34]
	v_cvt_f64_i32_e32 v[33:34], v2
	v_mul_f64 v[35:36], v[33:34], s[6:7]
	v_fma_f64 v[37:38], v[33:34], s[6:7], -v[35:36]
	v_fma_f64 v[33:34], v[33:34], s[8:9], v[37:38]
	v_add_f64 v[37:38], v[35:36], v[33:34]
	v_add_f64 v[35:36], v[37:38], -v[35:36]
	v_add_f64 v[33:34], v[33:34], -v[35:36]
	v_mul_f64 v[35:36], v[31:32], s[2:3]
	v_fma_f64 v[39:40], v[31:32], s[2:3], -v[35:36]
	v_fma_f64 v[29:30], v[29:30], s[2:3], v[39:40]
	v_fma_f64 v[29:30], v[31:32], s[4:5], v[29:30]
	v_add_f64 v[31:32], v[35:36], v[29:30]
	v_add_f64 v[35:36], v[31:32], -v[35:36]
	v_add_f64 v[29:30], v[29:30], -v[35:36]
	v_add_f64 v[35:36], v[37:38], v[31:32]
	v_add_f64 v[39:40], v[35:36], -v[37:38]
	v_add_f64 v[41:42], v[35:36], -v[39:40]
	v_add_f64 v[31:32], v[31:32], -v[39:40]
	v_add_f64 v[37:38], v[37:38], -v[41:42]
	v_add_f64 v[31:32], v[31:32], v[37:38]
	v_add_f64 v[37:38], v[33:34], v[29:30]
	v_add_f64 v[39:40], v[37:38], -v[33:34]
	v_add_f64 v[31:32], v[37:38], v[31:32]
	v_add_f64 v[41:42], v[37:38], -v[39:40]
	v_add_f64 v[29:30], v[29:30], -v[39:40]
	;; [unrolled: 1-line block ×3, first 2 shown]
	v_add_f64 v[29:30], v[29:30], v[33:34]
	v_add_f64 v[33:34], v[35:36], v[31:32]
	v_add_f64 v[35:36], v[33:34], -v[35:36]
	v_add_f64 v[31:32], v[31:32], -v[35:36]
	v_add_f64 v[29:30], v[29:30], v[31:32]
	v_add_f64 v[29:30], v[33:34], v[29:30]
	v_cndmask_b32_e32 v28, 0x7ff00000, v30, vcc_lo
	v_cndmask_b32_e32 v27, 0, v29, vcc_lo
	v_fma_f64 v[31:32], v[27:28], s[68:69], s[64:65]
	v_fma_f64 v[29:30], v[27:28], s[60:61], 0x3fe80000
	v_add_f64 v[25:26], v[25:26], -v[31:32]
	v_fma_f64 v[29:30], v[25:26], s[76:77], v[29:30]
	v_div_scale_f64 v[31:32], null, v[29:30], v[29:30], 1.0
	v_rcp_f64_e32 v[33:34], v[31:32]
	v_fma_f64 v[35:36], -v[31:32], v[33:34], 1.0
	v_fma_f64 v[33:34], v[33:34], v[35:36], v[33:34]
	v_fma_f64 v[35:36], -v[31:32], v[33:34], 1.0
	v_fma_f64 v[33:34], v[33:34], v[35:36], v[33:34]
	v_div_scale_f64 v[35:36], vcc_lo, 1.0, v[29:30], 1.0
	v_mul_f64 v[37:38], v[35:36], v[33:34]
	v_fma_f64 v[31:32], -v[31:32], v[37:38], v[35:36]
	v_div_fmas_f64 v[31:32], v[31:32], v[33:34], v[37:38]
	v_div_fixup_f64 v[29:30], v[31:32], v[29:30], 1.0
	v_mul_f64 v[25:26], v[25:26], v[29:30]
	v_fma_f64 v[25:26], v[25:26], v[25:26], 1.0
	v_div_scale_f64 v[29:30], null, v[25:26], v[25:26], 1.0
	v_rcp_f64_e32 v[31:32], v[29:30]
	v_fma_f64 v[33:34], -v[29:30], v[31:32], 1.0
	v_fma_f64 v[31:32], v[31:32], v[33:34], v[31:32]
	v_fma_f64 v[33:34], -v[29:30], v[31:32], 1.0
	v_fma_f64 v[31:32], v[31:32], v[33:34], v[31:32]
	v_div_scale_f64 v[33:34], vcc_lo, 1.0, v[25:26], 1.0
	v_mul_f64 v[35:36], v[33:34], v[31:32]
	v_fma_f64 v[29:30], -v[29:30], v[35:36], v[33:34]
	v_div_fmas_f64 v[29:30], v[29:30], v[31:32], v[35:36]
	v_div_fixup_f64 v[25:26], v[29:30], v[25:26], 1.0
	v_mul_f64 v[25:26], v[27:28], v[25:26]
	v_mul_f64 v[27:28], v[25:26], s[62:63]
	v_cmp_nlt_f64_e32 vcc_lo, 0x40900000, v[25:26]
	v_cmp_ngt_f64_e64 s0, 0xc090cc00, v[25:26]
	v_rndne_f64_e32 v[27:28], v[27:28]
	v_fma_f64 v[29:30], v[27:28], s[66:67], v[25:26]
	v_cvt_i32_f64_e32 v2, v[27:28]
	v_fma_f64 v[29:30], v[27:28], s[70:71], v[29:30]
	v_mul_f64 v[31:32], v[29:30], s[72:73]
	v_fma_f64 v[29:30], v[29:30], s[74:75], v[31:32]
	v_fma_f64 v[31:32], v[29:30], s[34:35], s[30:31]
	v_fma_f64 v[31:32], v[29:30], v[31:32], s[36:37]
	v_fma_f64 v[31:32], v[29:30], v[31:32], s[38:39]
	v_fma_f64 v[31:32], v[29:30], v[31:32], s[42:43]
	v_fma_f64 v[31:32], v[29:30], v[31:32], s[44:45]
	v_fma_f64 v[31:32], v[29:30], v[31:32], s[46:47]
	v_fma_f64 v[31:32], v[29:30], v[31:32], s[48:49]
	v_fma_f64 v[31:32], v[29:30], v[31:32], s[50:51]
	v_fma_f64 v[31:32], v[29:30], v[31:32], s[52:53]
	v_fma_f64 v[31:32], v[29:30], v[31:32], 1.0
	v_fma_f64 v[29:30], v[29:30], v[31:32], 1.0
	v_ldexp_f64 v[27:28], v[29:30], v2
	v_cndmask_b32_e32 v2, 0x7ff00000, v28, vcc_lo
	s_and_b32 vcc_lo, s0, vcc_lo
	v_cndmask_b32_e32 v25, 0, v27, vcc_lo
	v_add_co_u32 v17, vcc_lo, s14, v17
	v_cndmask_b32_e64 v26, 0, v2, s0
	v_add_co_ci_u32_e64 v18, null, s15, v18, vcc_lo
	s_mov_b32 s0, 0x251e9ea8
	s_mov_b32 s1, 0xbfb393ee
	v_mul_f64 v[23:24], v[23:24], v[25:26]
	v_mul_f64 v[21:22], v[21:22], v[23:24]
	global_store_dwordx2 v[19:20], v[21:22], off
	global_load_dwordx2 v[19:20], v[17:18], off
	s_waitcnt vmcnt(0)
	v_mul_f64 v[19:20], v[19:20], v[23:24]
	global_store_dwordx2 v[17:18], v[19:20], off
	v_mad_u64_u32 v[16:17], null, 0xffffffbb, s33, v[16:17]
	v_mov_b32_e32 v17, v3
	v_lshlrev_b64 v[18:19], 3, v[16:17]
	v_mad_u64_u32 v[16:17], null, 0x50, s33, v[16:17]
	v_mov_b32_e32 v17, v3
	v_add_co_u32 v18, vcc_lo, s16, v18
	v_add_co_ci_u32_e64 v19, null, s17, v19, vcc_lo
	global_load_dwordx2 v[23:24], v[18:19], off
	v_lshlrev_b64 v[17:18], 3, v[16:17]
	v_add_co_u32 v19, vcc_lo, s12, v17
	v_add_co_ci_u32_e64 v20, null, s13, v18, vcc_lo
	global_load_dwordx2 v[21:22], v[19:20], off
	s_waitcnt vmcnt(0)
	v_div_scale_f64 v[25:26], null, v[21:22], v[21:22], 1.0
	v_rcp_f64_e32 v[27:28], v[25:26]
	v_fma_f64 v[29:30], -v[25:26], v[27:28], 1.0
	v_fma_f64 v[27:28], v[27:28], v[29:30], v[27:28]
	v_fma_f64 v[29:30], -v[25:26], v[27:28], 1.0
	v_fma_f64 v[27:28], v[27:28], v[29:30], v[27:28]
	v_div_scale_f64 v[29:30], vcc_lo, 1.0, v[21:22], 1.0
	v_mul_f64 v[31:32], v[29:30], v[27:28]
	v_fma_f64 v[25:26], -v[25:26], v[31:32], v[29:30]
	v_div_fmas_f64 v[25:26], v[25:26], v[27:28], v[31:32]
	v_div_fixup_f64 v[25:26], v[25:26], v[21:22], 1.0
	v_mul_f64 v[25:26], v[8:9], v[25:26]
	v_mul_f64 v[27:28], v[23:24], v[25:26]
	v_fma_f64 v[23:24], v[23:24], v[25:26], 1.0
	v_div_scale_f64 v[25:26], null, v[23:24], v[23:24], 1.0
	v_rcp_f64_e32 v[29:30], v[25:26]
	v_fma_f64 v[31:32], -v[25:26], v[29:30], 1.0
	v_fma_f64 v[29:30], v[29:30], v[31:32], v[29:30]
	v_fma_f64 v[31:32], -v[25:26], v[29:30], 1.0
	v_fma_f64 v[29:30], v[29:30], v[31:32], v[29:30]
	v_div_scale_f64 v[31:32], vcc_lo, 1.0, v[23:24], 1.0
	v_mul_f64 v[33:34], v[31:32], v[29:30]
	v_fma_f64 v[25:26], -v[25:26], v[33:34], v[31:32]
	v_div_fmas_f64 v[25:26], v[25:26], v[29:30], v[33:34]
	v_div_fixup_f64 v[23:24], v[25:26], v[23:24], 1.0
	v_max_f64 v[25:26], 0x38100000, v[27:28]
	v_mul_f64 v[23:24], v[27:28], v[23:24]
	v_frexp_mant_f64_e32 v[27:28], v[25:26]
	v_frexp_exp_i32_f64_e32 v2, v[25:26]
	v_cmp_gt_f64_e32 vcc_lo, s[40:41], v[27:28]
	v_cndmask_b32_e64 v29, 0, 1, vcc_lo
	v_subrev_co_ci_u32_e64 v2, null, 0, v2, vcc_lo
	v_cmp_neq_f64_e32 vcc_lo, 0x7ff00000, v[25:26]
	v_ldexp_f64 v[27:28], v[27:28], v29
	v_add_f64 v[31:32], v[27:28], 1.0
	v_add_f64 v[29:30], v[27:28], -1.0
	v_add_f64 v[33:34], v[31:32], -1.0
	v_add_f64 v[27:28], v[27:28], -v[33:34]
	v_rcp_f64_e32 v[33:34], v[31:32]
	v_fma_f64 v[35:36], -v[31:32], v[33:34], 1.0
	v_fma_f64 v[33:34], v[35:36], v[33:34], v[33:34]
	v_fma_f64 v[35:36], -v[31:32], v[33:34], 1.0
	v_fma_f64 v[33:34], v[35:36], v[33:34], v[33:34]
	v_mul_f64 v[35:36], v[29:30], v[33:34]
	v_mul_f64 v[37:38], v[31:32], v[35:36]
	v_fma_f64 v[31:32], v[35:36], v[31:32], -v[37:38]
	v_fma_f64 v[27:28], v[35:36], v[27:28], v[31:32]
	v_add_f64 v[31:32], v[37:38], v[27:28]
	v_add_f64 v[39:40], v[29:30], -v[31:32]
	v_add_f64 v[37:38], v[31:32], -v[37:38]
	;; [unrolled: 1-line block ×5, first 2 shown]
	v_add_f64 v[27:28], v[27:28], v[29:30]
	v_add_f64 v[27:28], v[39:40], v[27:28]
	v_mul_f64 v[27:28], v[33:34], v[27:28]
	v_add_f64 v[29:30], v[35:36], v[27:28]
	v_add_f64 v[31:32], v[29:30], -v[35:36]
	v_ldexp_f64 v[35:36], v[29:30], 1
	v_add_f64 v[27:28], v[27:28], -v[31:32]
	v_mul_f64 v[31:32], v[29:30], v[29:30]
	v_ldexp_f64 v[27:28], v[27:28], 1
	v_fma_f64 v[33:34], v[31:32], s[18:19], s[10:11]
	v_mul_f64 v[29:30], v[29:30], v[31:32]
	v_fma_f64 v[33:34], v[31:32], v[33:34], s[20:21]
	v_fma_f64 v[33:34], v[31:32], v[33:34], s[22:23]
	;; [unrolled: 1-line block ×5, first 2 shown]
	v_mul_f64 v[29:30], v[29:30], v[33:34]
	v_add_f64 v[31:32], v[35:36], v[29:30]
	v_add_f64 v[33:34], v[31:32], -v[35:36]
	v_add_f64 v[29:30], v[29:30], -v[33:34]
	v_add_f64 v[27:28], v[27:28], v[29:30]
	v_add_f64 v[29:30], v[31:32], v[27:28]
	v_add_f64 v[31:32], v[29:30], -v[31:32]
	v_add_f64 v[27:28], v[27:28], -v[31:32]
	v_cvt_f64_i32_e32 v[31:32], v2
	v_mul_f64 v[33:34], v[31:32], s[6:7]
	v_fma_f64 v[35:36], v[31:32], s[6:7], -v[33:34]
	v_fma_f64 v[31:32], v[31:32], s[8:9], v[35:36]
	v_add_f64 v[35:36], v[33:34], v[31:32]
	v_add_f64 v[33:34], v[35:36], -v[33:34]
	v_add_f64 v[31:32], v[31:32], -v[33:34]
	v_mul_f64 v[33:34], v[29:30], s[2:3]
	v_fma_f64 v[37:38], v[29:30], s[2:3], -v[33:34]
	v_fma_f64 v[27:28], v[27:28], s[2:3], v[37:38]
	v_fma_f64 v[27:28], v[29:30], s[4:5], v[27:28]
	v_add_f64 v[29:30], v[33:34], v[27:28]
	v_add_f64 v[33:34], v[29:30], -v[33:34]
	v_add_f64 v[27:28], v[27:28], -v[33:34]
	v_add_f64 v[33:34], v[35:36], v[29:30]
	v_add_f64 v[37:38], v[33:34], -v[35:36]
	v_add_f64 v[39:40], v[33:34], -v[37:38]
	;; [unrolled: 1-line block ×4, first 2 shown]
	v_add_f64 v[29:30], v[29:30], v[35:36]
	v_add_f64 v[35:36], v[31:32], v[27:28]
	v_add_f64 v[37:38], v[35:36], -v[31:32]
	v_add_f64 v[29:30], v[35:36], v[29:30]
	v_add_f64 v[39:40], v[35:36], -v[37:38]
	v_add_f64 v[27:28], v[27:28], -v[37:38]
	;; [unrolled: 1-line block ×3, first 2 shown]
	v_add_f64 v[27:28], v[27:28], v[31:32]
	v_add_f64 v[31:32], v[33:34], v[29:30]
	v_add_f64 v[33:34], v[31:32], -v[33:34]
	v_add_f64 v[29:30], v[29:30], -v[33:34]
	v_add_f64 v[27:28], v[27:28], v[29:30]
	v_add_f64 v[27:28], v[31:32], v[27:28]
	v_cndmask_b32_e32 v26, 0x7ff00000, v28, vcc_lo
	v_cndmask_b32_e32 v25, 0, v27, vcc_lo
	v_mul_f64 v[27:28], v[0:1], s[0:1]
	s_mov_b32 s0, 0x240b7803
	s_mov_b32 s1, 0x3fd87e28
	v_mul_f64 v[29:30], v[27:28], s[54:55]
	v_cmp_nlt_f64_e32 vcc_lo, 0x40900000, v[27:28]
	v_rndne_f64_e32 v[29:30], v[29:30]
	v_fma_f64 v[31:32], v[29:30], s[56:57], v[27:28]
	v_cvt_i32_f64_e32 v2, v[29:30]
	v_fma_f64 v[31:32], v[29:30], s[58:59], v[31:32]
	v_fma_f64 v[33:34], v[31:32], s[34:35], s[30:31]
	;; [unrolled: 1-line block ×10, first 2 shown]
	v_fma_f64 v[33:34], v[31:32], v[33:34], 1.0
	v_fma_f64 v[31:32], v[31:32], v[33:34], 1.0
	v_ldexp_f64 v[29:30], v[31:32], v2
	v_mul_f64 v[29:30], v[29:30], s[0:1]
	v_cmp_ngt_f64_e64 s0, 0xc090cc00, v[27:28]
	v_cndmask_b32_e32 v2, 0x7ff00000, v30, vcc_lo
	s_and_b32 vcc_lo, s0, vcc_lo
	v_cndmask_b32_e32 v27, 0, v29, vcc_lo
	v_cndmask_b32_e64 v28, 0, v2, s0
	s_mov_b32 s0, 0x80dcc421
	s_mov_b32 s1, 0xbf3f89bb
	v_mul_f64 v[29:30], v[0:1], s[0:1]
	s_mov_b32 s0, 0xedfa43fe
	s_mov_b32 s1, 0x3fe3c0eb
	v_mul_f64 v[31:32], v[29:30], s[54:55]
	v_cmp_nlt_f64_e32 vcc_lo, 0x40900000, v[29:30]
	v_rndne_f64_e32 v[31:32], v[31:32]
	v_fma_f64 v[33:34], v[31:32], s[56:57], v[29:30]
	v_cvt_i32_f64_e32 v2, v[31:32]
	v_fma_f64 v[33:34], v[31:32], s[58:59], v[33:34]
	v_fma_f64 v[35:36], v[33:34], s[34:35], s[30:31]
	;; [unrolled: 1-line block ×10, first 2 shown]
	v_fma_f64 v[35:36], v[33:34], v[35:36], 1.0
	v_fma_f64 v[33:34], v[33:34], v[35:36], 1.0
	v_ldexp_f64 v[31:32], v[33:34], v2
	v_mul_f64 v[31:32], v[31:32], s[0:1]
	v_cmp_ngt_f64_e64 s0, 0xc090cc00, v[29:30]
	v_cndmask_b32_e32 v2, 0x7ff00000, v32, vcc_lo
	s_and_b32 vcc_lo, s0, vcc_lo
	v_cndmask_b32_e32 v29, 0, v31, vcc_lo
	v_cndmask_b32_e64 v30, 0, v2, s0
	v_add_f64 v[27:28], v[27:28], v[29:30]
	v_mul_f64 v[29:30], 0xc0b3e500, v[12:13]
	v_mul_f64 v[31:32], v[29:30], s[54:55]
	v_cmp_nlt_f64_e32 vcc_lo, 0x40900000, v[29:30]
	v_cmp_ngt_f64_e64 s0, 0xc090cc00, v[29:30]
	v_rndne_f64_e32 v[31:32], v[31:32]
	v_fma_f64 v[33:34], v[31:32], s[56:57], v[29:30]
	v_cvt_i32_f64_e32 v2, v[31:32]
	v_fma_f64 v[33:34], v[31:32], s[58:59], v[33:34]
	v_fma_f64 v[35:36], v[33:34], s[34:35], s[30:31]
	;; [unrolled: 1-line block ×10, first 2 shown]
	v_fma_f64 v[35:36], v[33:34], v[35:36], 1.0
	v_fma_f64 v[33:34], v[33:34], v[35:36], 1.0
	v_ldexp_f64 v[31:32], v[33:34], v2
	v_cndmask_b32_e32 v2, 0x7ff00000, v32, vcc_lo
	s_and_b32 vcc_lo, s0, vcc_lo
	v_cndmask_b32_e32 v29, 0, v31, vcc_lo
	v_cndmask_b32_e64 v30, 0, v2, s0
	v_add_f64 v[27:28], v[29:30], v[27:28]
	v_max_f64 v[27:28], 0x38100000, v[27:28]
	v_frexp_mant_f64_e32 v[29:30], v[27:28]
	v_frexp_exp_i32_f64_e32 v2, v[27:28]
	v_cmp_gt_f64_e32 vcc_lo, s[40:41], v[29:30]
	v_cndmask_b32_e64 v31, 0, 1, vcc_lo
	v_subrev_co_ci_u32_e64 v2, null, 0, v2, vcc_lo
	v_cmp_neq_f64_e32 vcc_lo, 0x7ff00000, v[27:28]
	v_ldexp_f64 v[29:30], v[29:30], v31
	v_add_f64 v[33:34], v[29:30], 1.0
	v_add_f64 v[31:32], v[29:30], -1.0
	v_add_f64 v[35:36], v[33:34], -1.0
	v_add_f64 v[29:30], v[29:30], -v[35:36]
	v_rcp_f64_e32 v[35:36], v[33:34]
	v_fma_f64 v[37:38], -v[33:34], v[35:36], 1.0
	v_fma_f64 v[35:36], v[37:38], v[35:36], v[35:36]
	v_fma_f64 v[37:38], -v[33:34], v[35:36], 1.0
	v_fma_f64 v[35:36], v[37:38], v[35:36], v[35:36]
	v_mul_f64 v[37:38], v[31:32], v[35:36]
	v_mul_f64 v[39:40], v[33:34], v[37:38]
	v_fma_f64 v[33:34], v[37:38], v[33:34], -v[39:40]
	v_fma_f64 v[29:30], v[37:38], v[29:30], v[33:34]
	v_add_f64 v[33:34], v[39:40], v[29:30]
	v_add_f64 v[41:42], v[31:32], -v[33:34]
	v_add_f64 v[39:40], v[33:34], -v[39:40]
	;; [unrolled: 1-line block ×5, first 2 shown]
	v_add_f64 v[29:30], v[29:30], v[31:32]
	v_add_f64 v[29:30], v[41:42], v[29:30]
	v_mul_f64 v[29:30], v[35:36], v[29:30]
	v_add_f64 v[31:32], v[37:38], v[29:30]
	v_add_f64 v[33:34], v[31:32], -v[37:38]
	v_ldexp_f64 v[37:38], v[31:32], 1
	v_add_f64 v[29:30], v[29:30], -v[33:34]
	v_mul_f64 v[33:34], v[31:32], v[31:32]
	v_ldexp_f64 v[29:30], v[29:30], 1
	v_fma_f64 v[35:36], v[33:34], s[18:19], s[10:11]
	v_mul_f64 v[31:32], v[31:32], v[33:34]
	v_fma_f64 v[35:36], v[33:34], v[35:36], s[20:21]
	v_fma_f64 v[35:36], v[33:34], v[35:36], s[22:23]
	;; [unrolled: 1-line block ×5, first 2 shown]
	v_mul_f64 v[31:32], v[31:32], v[35:36]
	v_add_f64 v[33:34], v[37:38], v[31:32]
	v_add_f64 v[35:36], v[33:34], -v[37:38]
	v_add_f64 v[31:32], v[31:32], -v[35:36]
	v_add_f64 v[29:30], v[29:30], v[31:32]
	v_add_f64 v[31:32], v[33:34], v[29:30]
	v_add_f64 v[33:34], v[31:32], -v[33:34]
	v_add_f64 v[29:30], v[29:30], -v[33:34]
	v_cvt_f64_i32_e32 v[33:34], v2
	v_mul_f64 v[35:36], v[33:34], s[6:7]
	v_fma_f64 v[37:38], v[33:34], s[6:7], -v[35:36]
	v_fma_f64 v[33:34], v[33:34], s[8:9], v[37:38]
	v_add_f64 v[37:38], v[35:36], v[33:34]
	v_add_f64 v[35:36], v[37:38], -v[35:36]
	v_add_f64 v[33:34], v[33:34], -v[35:36]
	v_mul_f64 v[35:36], v[31:32], s[2:3]
	v_fma_f64 v[39:40], v[31:32], s[2:3], -v[35:36]
	v_fma_f64 v[29:30], v[29:30], s[2:3], v[39:40]
	v_fma_f64 v[29:30], v[31:32], s[4:5], v[29:30]
	v_add_f64 v[31:32], v[35:36], v[29:30]
	v_add_f64 v[35:36], v[31:32], -v[35:36]
	v_add_f64 v[29:30], v[29:30], -v[35:36]
	v_add_f64 v[35:36], v[37:38], v[31:32]
	v_add_f64 v[39:40], v[35:36], -v[37:38]
	v_add_f64 v[41:42], v[35:36], -v[39:40]
	;; [unrolled: 1-line block ×4, first 2 shown]
	v_add_f64 v[31:32], v[31:32], v[37:38]
	v_add_f64 v[37:38], v[33:34], v[29:30]
	v_add_f64 v[39:40], v[37:38], -v[33:34]
	v_add_f64 v[31:32], v[37:38], v[31:32]
	v_add_f64 v[41:42], v[37:38], -v[39:40]
	v_add_f64 v[29:30], v[29:30], -v[39:40]
	;; [unrolled: 1-line block ×3, first 2 shown]
	v_add_f64 v[29:30], v[29:30], v[33:34]
	v_add_f64 v[33:34], v[35:36], v[31:32]
	v_add_f64 v[35:36], v[33:34], -v[35:36]
	v_add_f64 v[31:32], v[31:32], -v[35:36]
	v_add_f64 v[29:30], v[29:30], v[31:32]
	v_add_f64 v[29:30], v[33:34], v[29:30]
	v_cndmask_b32_e32 v28, 0x7ff00000, v30, vcc_lo
	v_cndmask_b32_e32 v27, 0, v29, vcc_lo
	v_fma_f64 v[31:32], v[27:28], s[68:69], s[64:65]
	v_fma_f64 v[29:30], v[27:28], s[60:61], 0x3fe80000
	v_add_f64 v[25:26], v[25:26], -v[31:32]
	v_fma_f64 v[29:30], v[25:26], s[76:77], v[29:30]
	v_div_scale_f64 v[31:32], null, v[29:30], v[29:30], 1.0
	v_rcp_f64_e32 v[33:34], v[31:32]
	v_fma_f64 v[35:36], -v[31:32], v[33:34], 1.0
	v_fma_f64 v[33:34], v[33:34], v[35:36], v[33:34]
	v_fma_f64 v[35:36], -v[31:32], v[33:34], 1.0
	v_fma_f64 v[33:34], v[33:34], v[35:36], v[33:34]
	v_div_scale_f64 v[35:36], vcc_lo, 1.0, v[29:30], 1.0
	v_mul_f64 v[37:38], v[35:36], v[33:34]
	v_fma_f64 v[31:32], -v[31:32], v[37:38], v[35:36]
	v_div_fmas_f64 v[31:32], v[31:32], v[33:34], v[37:38]
	v_div_fixup_f64 v[29:30], v[31:32], v[29:30], 1.0
	v_mul_f64 v[25:26], v[25:26], v[29:30]
	v_fma_f64 v[25:26], v[25:26], v[25:26], 1.0
	v_div_scale_f64 v[29:30], null, v[25:26], v[25:26], 1.0
	v_rcp_f64_e32 v[31:32], v[29:30]
	v_fma_f64 v[33:34], -v[29:30], v[31:32], 1.0
	v_fma_f64 v[31:32], v[31:32], v[33:34], v[31:32]
	v_fma_f64 v[33:34], -v[29:30], v[31:32], 1.0
	v_fma_f64 v[31:32], v[31:32], v[33:34], v[31:32]
	v_div_scale_f64 v[33:34], vcc_lo, 1.0, v[25:26], 1.0
	v_mul_f64 v[35:36], v[33:34], v[31:32]
	v_fma_f64 v[29:30], -v[29:30], v[35:36], v[33:34]
	v_div_fmas_f64 v[29:30], v[29:30], v[31:32], v[35:36]
	v_div_fixup_f64 v[25:26], v[29:30], v[25:26], 1.0
	v_mul_f64 v[25:26], v[27:28], v[25:26]
	v_mul_f64 v[27:28], v[25:26], s[62:63]
	v_cmp_nlt_f64_e32 vcc_lo, 0x40900000, v[25:26]
	v_cmp_ngt_f64_e64 s0, 0xc090cc00, v[25:26]
	v_rndne_f64_e32 v[27:28], v[27:28]
	v_fma_f64 v[29:30], v[27:28], s[66:67], v[25:26]
	v_cvt_i32_f64_e32 v2, v[27:28]
	v_fma_f64 v[29:30], v[27:28], s[70:71], v[29:30]
	v_mul_f64 v[31:32], v[29:30], s[72:73]
	v_fma_f64 v[29:30], v[29:30], s[74:75], v[31:32]
	v_fma_f64 v[31:32], v[29:30], s[34:35], s[30:31]
	;; [unrolled: 1-line block ×10, first 2 shown]
	v_fma_f64 v[31:32], v[29:30], v[31:32], 1.0
	v_fma_f64 v[29:30], v[29:30], v[31:32], 1.0
	v_ldexp_f64 v[27:28], v[29:30], v2
	v_cndmask_b32_e32 v2, 0x7ff00000, v28, vcc_lo
	s_and_b32 vcc_lo, s0, vcc_lo
	v_cndmask_b32_e32 v25, 0, v27, vcc_lo
	v_add_co_u32 v17, vcc_lo, s14, v17
	v_cndmask_b32_e64 v26, 0, v2, s0
	v_add_co_ci_u32_e64 v18, null, s15, v18, vcc_lo
	v_add_co_u32 v14, vcc_lo, s16, v14
	v_mul_f64 v[23:24], v[23:24], v[25:26]
	v_add_co_ci_u32_e64 v15, null, s17, v15, vcc_lo
	v_lshl_add_u32 v2, s33, 2, v16
	s_mov_b32 s0, 0x406c80d9
	s_mov_b32 s1, 0xbf7b2036
	v_mul_f64 v[21:22], v[21:22], v[23:24]
	global_store_dwordx2 v[19:20], v[21:22], off
	global_load_dwordx2 v[19:20], v[17:18], off
	s_waitcnt vmcnt(0)
	v_mul_f64 v[19:20], v[19:20], v[23:24]
	global_store_dwordx2 v[17:18], v[19:20], off
	global_load_dwordx2 v[20:21], v[14:15], off
	v_lshlrev_b64 v[14:15], 3, v[2:3]
	v_add_co_u32 v16, vcc_lo, s12, v14
	v_add_co_ci_u32_e64 v17, null, s13, v15, vcc_lo
	global_load_dwordx2 v[18:19], v[16:17], off
	s_waitcnt vmcnt(0)
	v_div_scale_f64 v[22:23], null, v[18:19], v[18:19], 1.0
	v_rcp_f64_e32 v[24:25], v[22:23]
	v_fma_f64 v[26:27], -v[22:23], v[24:25], 1.0
	v_fma_f64 v[24:25], v[24:25], v[26:27], v[24:25]
	v_fma_f64 v[26:27], -v[22:23], v[24:25], 1.0
	v_fma_f64 v[24:25], v[24:25], v[26:27], v[24:25]
	v_div_scale_f64 v[26:27], vcc_lo, 1.0, v[18:19], 1.0
	v_mul_f64 v[28:29], v[26:27], v[24:25]
	v_fma_f64 v[22:23], -v[22:23], v[28:29], v[26:27]
	v_div_fmas_f64 v[22:23], v[22:23], v[24:25], v[28:29]
	v_div_fixup_f64 v[22:23], v[22:23], v[18:19], 1.0
	v_mul_f64 v[22:23], v[8:9], v[22:23]
	v_mul_f64 v[24:25], v[20:21], v[22:23]
	v_fma_f64 v[20:21], v[20:21], v[22:23], 1.0
	v_div_scale_f64 v[22:23], null, v[20:21], v[20:21], 1.0
	v_rcp_f64_e32 v[26:27], v[22:23]
	v_fma_f64 v[28:29], -v[22:23], v[26:27], 1.0
	v_fma_f64 v[26:27], v[26:27], v[28:29], v[26:27]
	v_fma_f64 v[28:29], -v[22:23], v[26:27], 1.0
	v_fma_f64 v[26:27], v[26:27], v[28:29], v[26:27]
	v_div_scale_f64 v[28:29], vcc_lo, 1.0, v[20:21], 1.0
	v_mul_f64 v[30:31], v[28:29], v[26:27]
	v_fma_f64 v[22:23], -v[22:23], v[30:31], v[28:29]
	v_div_fmas_f64 v[22:23], v[22:23], v[26:27], v[30:31]
	v_div_fixup_f64 v[20:21], v[22:23], v[20:21], 1.0
	v_max_f64 v[22:23], 0x38100000, v[24:25]
	v_mul_f64 v[20:21], v[24:25], v[20:21]
	v_frexp_mant_f64_e32 v[24:25], v[22:23]
	v_frexp_exp_i32_f64_e32 v26, v[22:23]
	v_cmp_gt_f64_e32 vcc_lo, s[40:41], v[24:25]
	v_cndmask_b32_e64 v27, 0, 1, vcc_lo
	v_subrev_co_ci_u32_e64 v38, null, 0, v26, vcc_lo
	v_cmp_neq_f64_e32 vcc_lo, 0x7ff00000, v[22:23]
	v_ldexp_f64 v[24:25], v[24:25], v27
	v_add_f64 v[28:29], v[24:25], 1.0
	v_add_f64 v[26:27], v[24:25], -1.0
	v_add_f64 v[30:31], v[28:29], -1.0
	v_add_f64 v[24:25], v[24:25], -v[30:31]
	v_rcp_f64_e32 v[30:31], v[28:29]
	v_fma_f64 v[32:33], -v[28:29], v[30:31], 1.0
	v_fma_f64 v[30:31], v[32:33], v[30:31], v[30:31]
	v_fma_f64 v[32:33], -v[28:29], v[30:31], 1.0
	v_fma_f64 v[30:31], v[32:33], v[30:31], v[30:31]
	v_mul_f64 v[32:33], v[26:27], v[30:31]
	v_mul_f64 v[34:35], v[28:29], v[32:33]
	v_fma_f64 v[28:29], v[32:33], v[28:29], -v[34:35]
	v_fma_f64 v[24:25], v[32:33], v[24:25], v[28:29]
	v_add_f64 v[28:29], v[34:35], v[24:25]
	v_add_f64 v[36:37], v[26:27], -v[28:29]
	v_add_f64 v[34:35], v[28:29], -v[34:35]
	;; [unrolled: 1-line block ×5, first 2 shown]
	v_add_f64 v[24:25], v[24:25], v[26:27]
	v_add_f64 v[24:25], v[36:37], v[24:25]
	v_mul_f64 v[24:25], v[30:31], v[24:25]
	v_add_f64 v[26:27], v[32:33], v[24:25]
	v_add_f64 v[28:29], v[26:27], -v[32:33]
	v_ldexp_f64 v[32:33], v[26:27], 1
	v_add_f64 v[24:25], v[24:25], -v[28:29]
	v_mul_f64 v[28:29], v[26:27], v[26:27]
	v_ldexp_f64 v[24:25], v[24:25], 1
	v_fma_f64 v[30:31], v[28:29], s[18:19], s[10:11]
	v_mul_f64 v[26:27], v[26:27], v[28:29]
	v_fma_f64 v[30:31], v[28:29], v[30:31], s[20:21]
	v_fma_f64 v[30:31], v[28:29], v[30:31], s[22:23]
	;; [unrolled: 1-line block ×5, first 2 shown]
	v_mul_f64 v[26:27], v[26:27], v[30:31]
	v_add_f64 v[28:29], v[32:33], v[26:27]
	v_add_f64 v[30:31], v[28:29], -v[32:33]
	v_add_f64 v[26:27], v[26:27], -v[30:31]
	v_add_f64 v[24:25], v[24:25], v[26:27]
	v_add_f64 v[26:27], v[28:29], v[24:25]
	v_add_f64 v[28:29], v[26:27], -v[28:29]
	v_add_f64 v[24:25], v[24:25], -v[28:29]
	v_cvt_f64_i32_e32 v[28:29], v38
	v_mul_f64 v[30:31], v[28:29], s[6:7]
	v_fma_f64 v[32:33], v[28:29], s[6:7], -v[30:31]
	v_fma_f64 v[28:29], v[28:29], s[8:9], v[32:33]
	v_add_f64 v[32:33], v[30:31], v[28:29]
	v_add_f64 v[30:31], v[32:33], -v[30:31]
	v_add_f64 v[28:29], v[28:29], -v[30:31]
	v_mul_f64 v[30:31], v[26:27], s[2:3]
	v_fma_f64 v[34:35], v[26:27], s[2:3], -v[30:31]
	v_fma_f64 v[24:25], v[24:25], s[2:3], v[34:35]
	v_fma_f64 v[24:25], v[26:27], s[4:5], v[24:25]
	v_add_f64 v[26:27], v[30:31], v[24:25]
	v_add_f64 v[30:31], v[26:27], -v[30:31]
	v_add_f64 v[24:25], v[24:25], -v[30:31]
	v_add_f64 v[30:31], v[32:33], v[26:27]
	v_add_f64 v[34:35], v[30:31], -v[32:33]
	v_add_f64 v[36:37], v[30:31], -v[34:35]
	;; [unrolled: 1-line block ×4, first 2 shown]
	v_add_f64 v[26:27], v[26:27], v[32:33]
	v_add_f64 v[32:33], v[28:29], v[24:25]
	v_add_f64 v[34:35], v[32:33], -v[28:29]
	v_add_f64 v[26:27], v[32:33], v[26:27]
	v_add_f64 v[36:37], v[32:33], -v[34:35]
	v_add_f64 v[24:25], v[24:25], -v[34:35]
	;; [unrolled: 1-line block ×3, first 2 shown]
	v_add_f64 v[24:25], v[24:25], v[28:29]
	v_add_f64 v[28:29], v[30:31], v[26:27]
	v_add_f64 v[30:31], v[28:29], -v[30:31]
	v_add_f64 v[26:27], v[26:27], -v[30:31]
	v_add_f64 v[24:25], v[24:25], v[26:27]
	v_add_f64 v[24:25], v[28:29], v[24:25]
	v_cndmask_b32_e32 v23, 0x7ff00000, v25, vcc_lo
	v_cndmask_b32_e32 v22, 0, v24, vcc_lo
	v_mul_f64 v[24:25], v[0:1], s[0:1]
	s_mov_b32 s1, 0x3fddeb85
	s_mov_b32 s0, s76
	v_mul_f64 v[26:27], v[24:25], s[54:55]
	v_cmp_nlt_f64_e32 vcc_lo, 0x40900000, v[24:25]
	v_rndne_f64_e32 v[26:27], v[26:27]
	v_fma_f64 v[28:29], v[26:27], s[56:57], v[24:25]
	v_fma_f64 v[28:29], v[26:27], s[58:59], v[28:29]
	v_cvt_i32_f64_e32 v26, v[26:27]
	v_fma_f64 v[30:31], v[28:29], s[34:35], s[30:31]
	v_fma_f64 v[30:31], v[28:29], v[30:31], s[36:37]
	;; [unrolled: 1-line block ×9, first 2 shown]
	v_fma_f64 v[30:31], v[28:29], v[30:31], 1.0
	v_fma_f64 v[28:29], v[28:29], v[30:31], 1.0
	v_ldexp_f64 v[26:27], v[28:29], v26
	v_mul_f64 v[26:27], v[26:27], s[0:1]
	v_cmp_ngt_f64_e64 s0, 0xc090cc00, v[24:25]
	v_cndmask_b32_e32 v27, 0x7ff00000, v27, vcc_lo
	s_and_b32 vcc_lo, s0, vcc_lo
	v_cndmask_b32_e32 v24, 0, v26, vcc_lo
	v_cndmask_b32_e64 v25, 0, v27, s0
	s_mov_b32 s0, 0xb6813baf
	s_mov_b32 s1, 0xbf4f9182
	v_mul_f64 v[26:27], v[0:1], s[0:1]
	s_mov_b32 s0, 0x70a3d70a
	s_mov_b32 s1, 0x3fe10a3d
	v_mul_f64 v[28:29], v[26:27], s[54:55]
	v_cmp_nlt_f64_e32 vcc_lo, 0x40900000, v[26:27]
	v_rndne_f64_e32 v[28:29], v[28:29]
	v_fma_f64 v[30:31], v[28:29], s[56:57], v[26:27]
	v_fma_f64 v[30:31], v[28:29], s[58:59], v[30:31]
	v_cvt_i32_f64_e32 v28, v[28:29]
	v_fma_f64 v[32:33], v[30:31], s[34:35], s[30:31]
	v_fma_f64 v[32:33], v[30:31], v[32:33], s[36:37]
	;; [unrolled: 1-line block ×9, first 2 shown]
	v_fma_f64 v[32:33], v[30:31], v[32:33], 1.0
	v_fma_f64 v[30:31], v[30:31], v[32:33], 1.0
	v_ldexp_f64 v[28:29], v[30:31], v28
	v_mul_f64 v[28:29], v[28:29], s[0:1]
	v_cmp_ngt_f64_e64 s0, 0xc090cc00, v[26:27]
	v_cndmask_b32_e32 v29, 0x7ff00000, v29, vcc_lo
	s_and_b32 vcc_lo, s0, vcc_lo
	v_cndmask_b32_e32 v26, 0, v28, vcc_lo
	v_cndmask_b32_e64 v27, 0, v29, s0
	v_add_f64 v[24:25], v[24:25], v[26:27]
	v_mul_f64 v[26:27], 0xc0b36a00, v[12:13]
	v_mul_f64 v[28:29], v[26:27], s[54:55]
	v_cmp_nlt_f64_e32 vcc_lo, 0x40900000, v[26:27]
	v_cmp_ngt_f64_e64 s0, 0xc090cc00, v[26:27]
	v_rndne_f64_e32 v[28:29], v[28:29]
	v_fma_f64 v[30:31], v[28:29], s[56:57], v[26:27]
	v_fma_f64 v[30:31], v[28:29], s[58:59], v[30:31]
	v_cvt_i32_f64_e32 v28, v[28:29]
	v_fma_f64 v[32:33], v[30:31], s[34:35], s[30:31]
	v_fma_f64 v[32:33], v[30:31], v[32:33], s[36:37]
	;; [unrolled: 1-line block ×9, first 2 shown]
	v_fma_f64 v[32:33], v[30:31], v[32:33], 1.0
	v_fma_f64 v[30:31], v[30:31], v[32:33], 1.0
	v_ldexp_f64 v[28:29], v[30:31], v28
	v_cndmask_b32_e32 v29, 0x7ff00000, v29, vcc_lo
	s_and_b32 vcc_lo, s0, vcc_lo
	v_cndmask_b32_e32 v26, 0, v28, vcc_lo
	v_cndmask_b32_e64 v27, 0, v29, s0
	v_add_f64 v[24:25], v[26:27], v[24:25]
	v_max_f64 v[24:25], 0x38100000, v[24:25]
	v_frexp_mant_f64_e32 v[26:27], v[24:25]
	v_frexp_exp_i32_f64_e32 v28, v[24:25]
	v_cmp_gt_f64_e32 vcc_lo, s[40:41], v[26:27]
	v_cndmask_b32_e64 v29, 0, 1, vcc_lo
	v_subrev_co_ci_u32_e64 v40, null, 0, v28, vcc_lo
	v_cmp_neq_f64_e32 vcc_lo, 0x7ff00000, v[24:25]
	v_ldexp_f64 v[26:27], v[26:27], v29
	v_add_f64 v[30:31], v[26:27], 1.0
	v_add_f64 v[28:29], v[26:27], -1.0
	v_add_f64 v[32:33], v[30:31], -1.0
	v_add_f64 v[26:27], v[26:27], -v[32:33]
	v_rcp_f64_e32 v[32:33], v[30:31]
	v_fma_f64 v[34:35], -v[30:31], v[32:33], 1.0
	v_fma_f64 v[32:33], v[34:35], v[32:33], v[32:33]
	v_fma_f64 v[34:35], -v[30:31], v[32:33], 1.0
	v_fma_f64 v[32:33], v[34:35], v[32:33], v[32:33]
	v_mul_f64 v[34:35], v[28:29], v[32:33]
	v_mul_f64 v[36:37], v[30:31], v[34:35]
	v_fma_f64 v[30:31], v[34:35], v[30:31], -v[36:37]
	v_fma_f64 v[26:27], v[34:35], v[26:27], v[30:31]
	v_add_f64 v[30:31], v[36:37], v[26:27]
	v_add_f64 v[38:39], v[28:29], -v[30:31]
	v_add_f64 v[36:37], v[30:31], -v[36:37]
	;; [unrolled: 1-line block ×5, first 2 shown]
	v_add_f64 v[26:27], v[26:27], v[28:29]
	v_add_f64 v[26:27], v[38:39], v[26:27]
	v_mul_f64 v[26:27], v[32:33], v[26:27]
	v_add_f64 v[28:29], v[34:35], v[26:27]
	v_add_f64 v[30:31], v[28:29], -v[34:35]
	v_ldexp_f64 v[34:35], v[28:29], 1
	v_add_f64 v[26:27], v[26:27], -v[30:31]
	v_mul_f64 v[30:31], v[28:29], v[28:29]
	v_ldexp_f64 v[26:27], v[26:27], 1
	v_fma_f64 v[32:33], v[30:31], s[18:19], s[10:11]
	v_mul_f64 v[28:29], v[28:29], v[30:31]
	v_fma_f64 v[32:33], v[30:31], v[32:33], s[20:21]
	v_fma_f64 v[32:33], v[30:31], v[32:33], s[22:23]
	;; [unrolled: 1-line block ×5, first 2 shown]
	v_mul_f64 v[28:29], v[28:29], v[32:33]
	v_add_f64 v[30:31], v[34:35], v[28:29]
	v_add_f64 v[32:33], v[30:31], -v[34:35]
	v_add_f64 v[28:29], v[28:29], -v[32:33]
	v_add_f64 v[26:27], v[26:27], v[28:29]
	v_add_f64 v[28:29], v[30:31], v[26:27]
	v_add_f64 v[30:31], v[28:29], -v[30:31]
	v_add_f64 v[26:27], v[26:27], -v[30:31]
	v_cvt_f64_i32_e32 v[30:31], v40
	v_mul_f64 v[32:33], v[30:31], s[6:7]
	v_fma_f64 v[34:35], v[30:31], s[6:7], -v[32:33]
	v_fma_f64 v[30:31], v[30:31], s[8:9], v[34:35]
	v_add_f64 v[34:35], v[32:33], v[30:31]
	v_add_f64 v[32:33], v[34:35], -v[32:33]
	v_add_f64 v[30:31], v[30:31], -v[32:33]
	v_mul_f64 v[32:33], v[28:29], s[2:3]
	v_fma_f64 v[36:37], v[28:29], s[2:3], -v[32:33]
	v_fma_f64 v[26:27], v[26:27], s[2:3], v[36:37]
	v_fma_f64 v[26:27], v[28:29], s[4:5], v[26:27]
	v_add_f64 v[28:29], v[32:33], v[26:27]
	v_add_f64 v[32:33], v[28:29], -v[32:33]
	v_add_f64 v[26:27], v[26:27], -v[32:33]
	v_add_f64 v[32:33], v[34:35], v[28:29]
	v_add_f64 v[36:37], v[32:33], -v[34:35]
	v_add_f64 v[38:39], v[32:33], -v[36:37]
	;; [unrolled: 1-line block ×4, first 2 shown]
	v_add_f64 v[28:29], v[28:29], v[34:35]
	v_add_f64 v[34:35], v[30:31], v[26:27]
	v_add_f64 v[36:37], v[34:35], -v[30:31]
	v_add_f64 v[28:29], v[34:35], v[28:29]
	v_add_f64 v[38:39], v[34:35], -v[36:37]
	v_add_f64 v[26:27], v[26:27], -v[36:37]
	;; [unrolled: 1-line block ×3, first 2 shown]
	v_add_f64 v[26:27], v[26:27], v[30:31]
	v_add_f64 v[30:31], v[32:33], v[28:29]
	v_add_f64 v[32:33], v[30:31], -v[32:33]
	v_add_f64 v[28:29], v[28:29], -v[32:33]
	v_add_f64 v[26:27], v[26:27], v[28:29]
	v_add_f64 v[26:27], v[30:31], v[26:27]
	v_cndmask_b32_e32 v25, 0x7ff00000, v27, vcc_lo
	v_cndmask_b32_e32 v24, 0, v26, vcc_lo
	v_fma_f64 v[28:29], v[24:25], s[68:69], s[64:65]
	v_fma_f64 v[26:27], v[24:25], s[60:61], 0x3fe80000
	v_add_f64 v[22:23], v[22:23], -v[28:29]
	v_fma_f64 v[26:27], v[22:23], s[76:77], v[26:27]
	v_div_scale_f64 v[28:29], null, v[26:27], v[26:27], 1.0
	v_rcp_f64_e32 v[30:31], v[28:29]
	v_fma_f64 v[32:33], -v[28:29], v[30:31], 1.0
	v_fma_f64 v[30:31], v[30:31], v[32:33], v[30:31]
	v_fma_f64 v[32:33], -v[28:29], v[30:31], 1.0
	v_fma_f64 v[30:31], v[30:31], v[32:33], v[30:31]
	v_div_scale_f64 v[32:33], vcc_lo, 1.0, v[26:27], 1.0
	v_mul_f64 v[34:35], v[32:33], v[30:31]
	v_fma_f64 v[28:29], -v[28:29], v[34:35], v[32:33]
	v_div_fmas_f64 v[28:29], v[28:29], v[30:31], v[34:35]
	v_div_fixup_f64 v[26:27], v[28:29], v[26:27], 1.0
	v_mul_f64 v[22:23], v[22:23], v[26:27]
	v_fma_f64 v[22:23], v[22:23], v[22:23], 1.0
	v_div_scale_f64 v[26:27], null, v[22:23], v[22:23], 1.0
	v_rcp_f64_e32 v[28:29], v[26:27]
	v_fma_f64 v[30:31], -v[26:27], v[28:29], 1.0
	v_fma_f64 v[28:29], v[28:29], v[30:31], v[28:29]
	v_fma_f64 v[30:31], -v[26:27], v[28:29], 1.0
	v_fma_f64 v[28:29], v[28:29], v[30:31], v[28:29]
	v_div_scale_f64 v[30:31], vcc_lo, 1.0, v[22:23], 1.0
	v_mul_f64 v[32:33], v[30:31], v[28:29]
	v_fma_f64 v[26:27], -v[26:27], v[32:33], v[30:31]
	v_div_fmas_f64 v[26:27], v[26:27], v[28:29], v[32:33]
	v_div_fixup_f64 v[22:23], v[26:27], v[22:23], 1.0
	v_mul_f64 v[22:23], v[24:25], v[22:23]
	v_mul_f64 v[24:25], v[22:23], s[62:63]
	v_cmp_nlt_f64_e32 vcc_lo, 0x40900000, v[22:23]
	v_cmp_ngt_f64_e64 s0, 0xc090cc00, v[22:23]
	v_rndne_f64_e32 v[24:25], v[24:25]
	v_fma_f64 v[26:27], v[24:25], s[66:67], v[22:23]
	v_fma_f64 v[26:27], v[24:25], s[70:71], v[26:27]
	v_cvt_i32_f64_e32 v24, v[24:25]
	v_mul_f64 v[28:29], v[26:27], s[72:73]
	v_fma_f64 v[26:27], v[26:27], s[74:75], v[28:29]
	v_fma_f64 v[28:29], v[26:27], s[34:35], s[30:31]
	;; [unrolled: 1-line block ×10, first 2 shown]
	v_fma_f64 v[28:29], v[26:27], v[28:29], 1.0
	v_fma_f64 v[26:27], v[26:27], v[28:29], 1.0
	v_ldexp_f64 v[24:25], v[26:27], v24
	v_cndmask_b32_e32 v25, 0x7ff00000, v25, vcc_lo
	s_and_b32 vcc_lo, s0, vcc_lo
	v_cndmask_b32_e32 v22, 0, v24, vcc_lo
	v_add_co_u32 v14, vcc_lo, s14, v14
	v_cndmask_b32_e64 v23, 0, v25, s0
	v_add_co_ci_u32_e64 v15, null, s15, v15, vcc_lo
	v_add_co_u32 v6, vcc_lo, s16, v6
	v_mul_f64 v[20:21], v[20:21], v[22:23]
	v_add_co_ci_u32_e64 v7, null, s17, v7, vcc_lo
	s_mov_b32 s0, 0xcf48b83b
	s_mov_b32 s1, 0xbf285898
	global_load_dwordx2 v[6:7], v[6:7], off
	v_mul_f64 v[18:19], v[18:19], v[20:21]
	global_store_dwordx2 v[16:17], v[18:19], off
	global_load_dwordx2 v[16:17], v[14:15], off
	s_waitcnt vmcnt(0)
	v_mul_f64 v[16:17], v[16:17], v[20:21]
	global_store_dwordx2 v[14:15], v[16:17], off
	v_mad_u64_u32 v[14:15], null, s33, 21, v[2:3]
	v_mov_b32_e32 v15, v3
	v_lshlrev_b64 v[15:16], 3, v[14:15]
	v_add_nc_u32_e32 v2, s33, v14
	v_add_co_u32 v17, vcc_lo, s12, v15
	v_add_co_ci_u32_e64 v18, null, s13, v16, vcc_lo
	v_lshlrev_b64 v[2:3], 3, v[2:3]
	global_load_dwordx2 v[19:20], v[17:18], off
	s_waitcnt vmcnt(0)
	v_div_scale_f64 v[21:22], null, v[19:20], v[19:20], 1.0
	v_rcp_f64_e32 v[23:24], v[21:22]
	v_fma_f64 v[25:26], -v[21:22], v[23:24], 1.0
	v_fma_f64 v[23:24], v[23:24], v[25:26], v[23:24]
	v_fma_f64 v[25:26], -v[21:22], v[23:24], 1.0
	v_fma_f64 v[23:24], v[23:24], v[25:26], v[23:24]
	v_div_scale_f64 v[25:26], vcc_lo, 1.0, v[19:20], 1.0
	v_mul_f64 v[27:28], v[25:26], v[23:24]
	v_fma_f64 v[21:22], -v[21:22], v[27:28], v[25:26]
	v_div_fmas_f64 v[21:22], v[21:22], v[23:24], v[27:28]
	v_div_fixup_f64 v[21:22], v[21:22], v[19:20], 1.0
	v_mul_f64 v[10:11], v[10:11], v[21:22]
	v_mul_f64 v[21:22], v[6:7], v[10:11]
	v_fma_f64 v[6:7], v[6:7], v[10:11], 1.0
	v_div_scale_f64 v[10:11], null, v[6:7], v[6:7], 1.0
	v_rcp_f64_e32 v[23:24], v[10:11]
	v_fma_f64 v[25:26], -v[10:11], v[23:24], 1.0
	v_fma_f64 v[23:24], v[23:24], v[25:26], v[23:24]
	v_fma_f64 v[25:26], -v[10:11], v[23:24], 1.0
	v_fma_f64 v[23:24], v[23:24], v[25:26], v[23:24]
	v_div_scale_f64 v[25:26], vcc_lo, 1.0, v[6:7], 1.0
	v_mul_f64 v[27:28], v[25:26], v[23:24]
	v_fma_f64 v[10:11], -v[10:11], v[27:28], v[25:26]
	v_div_fmas_f64 v[10:11], v[10:11], v[23:24], v[27:28]
	v_div_fixup_f64 v[6:7], v[10:11], v[6:7], 1.0
	v_mul_f64 v[6:7], v[21:22], v[6:7]
	v_mul_f64 v[10:11], v[19:20], v[6:7]
	global_store_dwordx2 v[17:18], v[10:11], off
	v_add_co_u32 v10, vcc_lo, s14, v15
	v_add_co_ci_u32_e64 v11, null, s15, v16, vcc_lo
	v_add_co_u32 v4, vcc_lo, s16, v4
	v_add_co_ci_u32_e64 v5, null, s17, v5, vcc_lo
	global_load_dwordx2 v[15:16], v[10:11], off
	s_waitcnt vmcnt(0)
	v_mul_f64 v[6:7], v[15:16], v[6:7]
	global_store_dwordx2 v[10:11], v[6:7], off
	global_load_dwordx2 v[10:11], v[4:5], off
	v_add_co_u32 v4, vcc_lo, s12, v2
	v_add_co_ci_u32_e64 v5, null, s13, v3, vcc_lo
	global_load_dwordx2 v[6:7], v[4:5], off
	s_waitcnt vmcnt(0)
	v_div_scale_f64 v[14:15], null, v[6:7], v[6:7], 1.0
	v_rcp_f64_e32 v[16:17], v[14:15]
	v_fma_f64 v[18:19], -v[14:15], v[16:17], 1.0
	v_fma_f64 v[16:17], v[16:17], v[18:19], v[16:17]
	v_fma_f64 v[18:19], -v[14:15], v[16:17], 1.0
	v_fma_f64 v[16:17], v[16:17], v[18:19], v[16:17]
	v_div_scale_f64 v[18:19], vcc_lo, 1.0, v[6:7], 1.0
	v_mul_f64 v[20:21], v[18:19], v[16:17]
	v_fma_f64 v[14:15], -v[14:15], v[20:21], v[18:19]
	v_div_fmas_f64 v[14:15], v[14:15], v[16:17], v[20:21]
	v_div_fixup_f64 v[14:15], v[14:15], v[6:7], 1.0
	v_mul_f64 v[8:9], v[8:9], v[14:15]
	v_mul_f64 v[14:15], v[10:11], v[8:9]
	v_fma_f64 v[8:9], v[10:11], v[8:9], 1.0
	v_div_scale_f64 v[10:11], null, v[8:9], v[8:9], 1.0
	v_rcp_f64_e32 v[16:17], v[10:11]
	v_fma_f64 v[18:19], -v[10:11], v[16:17], 1.0
	v_fma_f64 v[16:17], v[16:17], v[18:19], v[16:17]
	v_fma_f64 v[18:19], -v[10:11], v[16:17], 1.0
	v_fma_f64 v[16:17], v[16:17], v[18:19], v[16:17]
	v_div_scale_f64 v[18:19], vcc_lo, 1.0, v[8:9], 1.0
	v_mul_f64 v[20:21], v[18:19], v[16:17]
	v_fma_f64 v[10:11], -v[10:11], v[20:21], v[18:19]
	v_div_fmas_f64 v[10:11], v[10:11], v[16:17], v[20:21]
	v_div_fixup_f64 v[8:9], v[10:11], v[8:9], 1.0
	v_max_f64 v[10:11], 0x38100000, v[14:15]
	v_mul_f64 v[8:9], v[14:15], v[8:9]
	v_frexp_mant_f64_e32 v[14:15], v[10:11]
	v_frexp_exp_i32_f64_e32 v16, v[10:11]
	v_cmp_gt_f64_e32 vcc_lo, s[40:41], v[14:15]
	v_cndmask_b32_e64 v17, 0, 1, vcc_lo
	v_subrev_co_ci_u32_e64 v28, null, 0, v16, vcc_lo
	v_cmp_neq_f64_e32 vcc_lo, 0x7ff00000, v[10:11]
	v_ldexp_f64 v[14:15], v[14:15], v17
	v_add_f64 v[18:19], v[14:15], 1.0
	v_add_f64 v[16:17], v[14:15], -1.0
	v_add_f64 v[20:21], v[18:19], -1.0
	v_add_f64 v[14:15], v[14:15], -v[20:21]
	v_rcp_f64_e32 v[20:21], v[18:19]
	v_fma_f64 v[22:23], -v[18:19], v[20:21], 1.0
	v_fma_f64 v[20:21], v[22:23], v[20:21], v[20:21]
	v_fma_f64 v[22:23], -v[18:19], v[20:21], 1.0
	v_fma_f64 v[20:21], v[22:23], v[20:21], v[20:21]
	v_mul_f64 v[22:23], v[16:17], v[20:21]
	v_mul_f64 v[24:25], v[18:19], v[22:23]
	v_fma_f64 v[18:19], v[22:23], v[18:19], -v[24:25]
	v_fma_f64 v[14:15], v[22:23], v[14:15], v[18:19]
	v_add_f64 v[18:19], v[24:25], v[14:15]
	v_add_f64 v[26:27], v[16:17], -v[18:19]
	v_add_f64 v[24:25], v[18:19], -v[24:25]
	;; [unrolled: 1-line block ×5, first 2 shown]
	v_add_f64 v[14:15], v[14:15], v[16:17]
	v_add_f64 v[14:15], v[26:27], v[14:15]
	v_mul_f64 v[14:15], v[20:21], v[14:15]
	v_add_f64 v[16:17], v[22:23], v[14:15]
	v_add_f64 v[18:19], v[16:17], -v[22:23]
	v_ldexp_f64 v[22:23], v[16:17], 1
	v_add_f64 v[14:15], v[14:15], -v[18:19]
	v_mul_f64 v[18:19], v[16:17], v[16:17]
	v_ldexp_f64 v[14:15], v[14:15], 1
	v_fma_f64 v[20:21], v[18:19], s[18:19], s[10:11]
	v_mul_f64 v[16:17], v[16:17], v[18:19]
	v_fma_f64 v[20:21], v[18:19], v[20:21], s[20:21]
	v_fma_f64 v[20:21], v[18:19], v[20:21], s[22:23]
	;; [unrolled: 1-line block ×5, first 2 shown]
	v_mul_f64 v[16:17], v[16:17], v[20:21]
	v_add_f64 v[18:19], v[22:23], v[16:17]
	v_add_f64 v[20:21], v[18:19], -v[22:23]
	v_add_f64 v[16:17], v[16:17], -v[20:21]
	v_add_f64 v[14:15], v[14:15], v[16:17]
	v_add_f64 v[16:17], v[18:19], v[14:15]
	v_add_f64 v[18:19], v[16:17], -v[18:19]
	v_add_f64 v[14:15], v[14:15], -v[18:19]
	v_cvt_f64_i32_e32 v[18:19], v28
	v_mul_f64 v[20:21], v[18:19], s[6:7]
	v_fma_f64 v[22:23], v[18:19], s[6:7], -v[20:21]
	v_fma_f64 v[18:19], v[18:19], s[8:9], v[22:23]
	v_add_f64 v[22:23], v[20:21], v[18:19]
	v_add_f64 v[20:21], v[22:23], -v[20:21]
	v_add_f64 v[18:19], v[18:19], -v[20:21]
	v_mul_f64 v[20:21], v[16:17], s[2:3]
	v_fma_f64 v[24:25], v[16:17], s[2:3], -v[20:21]
	v_fma_f64 v[14:15], v[14:15], s[2:3], v[24:25]
	v_fma_f64 v[14:15], v[16:17], s[4:5], v[14:15]
	v_add_f64 v[16:17], v[20:21], v[14:15]
	v_add_f64 v[20:21], v[16:17], -v[20:21]
	v_add_f64 v[14:15], v[14:15], -v[20:21]
	v_add_f64 v[20:21], v[22:23], v[16:17]
	v_add_f64 v[24:25], v[20:21], -v[22:23]
	v_add_f64 v[26:27], v[20:21], -v[24:25]
	v_add_f64 v[16:17], v[16:17], -v[24:25]
	v_add_f64 v[22:23], v[22:23], -v[26:27]
	v_add_f64 v[16:17], v[16:17], v[22:23]
	v_add_f64 v[22:23], v[18:19], v[14:15]
	v_add_f64 v[24:25], v[22:23], -v[18:19]
	v_add_f64 v[16:17], v[22:23], v[16:17]
	v_add_f64 v[26:27], v[22:23], -v[24:25]
	v_add_f64 v[14:15], v[14:15], -v[24:25]
	;; [unrolled: 1-line block ×3, first 2 shown]
	v_add_f64 v[14:15], v[14:15], v[18:19]
	v_add_f64 v[18:19], v[20:21], v[16:17]
	v_add_f64 v[20:21], v[18:19], -v[20:21]
	v_add_f64 v[16:17], v[16:17], -v[20:21]
	v_add_f64 v[14:15], v[14:15], v[16:17]
	v_add_f64 v[14:15], v[18:19], v[14:15]
	v_cndmask_b32_e32 v11, 0x7ff00000, v15, vcc_lo
	v_cndmask_b32_e32 v10, 0, v14, vcc_lo
	v_mul_f64 v[14:15], v[0:1], s[0:1]
	s_mov_b32 s0, 0x67381d7e
	s_mov_b32 s1, 0xbfef6944
	v_mul_f64 v[16:17], v[14:15], s[54:55]
	v_cmp_nlt_f64_e32 vcc_lo, 0x40900000, v[14:15]
	v_rndne_f64_e32 v[16:17], v[16:17]
	v_fma_f64 v[18:19], v[16:17], s[56:57], v[14:15]
	v_fma_f64 v[18:19], v[16:17], s[58:59], v[18:19]
	v_cvt_i32_f64_e32 v16, v[16:17]
	v_fma_f64 v[20:21], v[18:19], s[34:35], s[30:31]
	v_fma_f64 v[20:21], v[18:19], v[20:21], s[36:37]
	;; [unrolled: 1-line block ×9, first 2 shown]
	v_fma_f64 v[20:21], v[18:19], v[20:21], 1.0
	v_fma_f64 v[18:19], v[18:19], v[20:21], 1.0
	v_ldexp_f64 v[16:17], v[18:19], v16
	v_mul_f64 v[16:17], v[16:17], s[0:1]
	v_cmp_ngt_f64_e64 s0, 0xc090cc00, v[14:15]
	v_cndmask_b32_e32 v17, 0xfff00000, v17, vcc_lo
	s_and_b32 vcc_lo, s0, vcc_lo
	v_cndmask_b32_e32 v14, 0, v16, vcc_lo
	v_cndmask_b32_e64 v15, 0x80000000, v17, s0
	s_mov_b32 s0, 0x1068f29
	s_mov_b32 s1, 0xbfcdd089
	v_mul_f64 v[0:1], v[0:1], s[0:1]
	s_mov_b32 s0, 0x339c0ebf
	s_mov_b32 s1, 0x3fffb4a2
	v_mul_f64 v[16:17], v[0:1], s[54:55]
	v_cmp_nlt_f64_e32 vcc_lo, 0x40900000, v[0:1]
	v_rndne_f64_e32 v[16:17], v[16:17]
	v_fma_f64 v[18:19], v[16:17], s[56:57], v[0:1]
	v_fma_f64 v[18:19], v[16:17], s[58:59], v[18:19]
	v_cvt_i32_f64_e32 v16, v[16:17]
	v_fma_f64 v[20:21], v[18:19], s[34:35], s[30:31]
	v_fma_f64 v[20:21], v[18:19], v[20:21], s[36:37]
	;; [unrolled: 1-line block ×9, first 2 shown]
	v_fma_f64 v[20:21], v[18:19], v[20:21], 1.0
	v_fma_f64 v[18:19], v[18:19], v[20:21], 1.0
	v_ldexp_f64 v[16:17], v[18:19], v16
	v_mul_f64 v[16:17], v[16:17], s[0:1]
	v_cmp_ngt_f64_e64 s0, 0xc090cc00, v[0:1]
	v_cndmask_b32_e32 v17, 0x7ff00000, v17, vcc_lo
	s_and_b32 vcc_lo, s0, vcc_lo
	v_cndmask_b32_e32 v0, 0, v16, vcc_lo
	v_cndmask_b32_e64 v1, 0, v17, s0
	s_mov_b32 s0, 0xac083127
	s_mov_b32 s1, 0x3fb45a1c
	v_mul_f64 v[12:13], v[12:13], s[0:1]
	v_add_f64 v[0:1], v[14:15], v[0:1]
	v_mul_f64 v[14:15], v[12:13], s[54:55]
	v_cmp_nlt_f64_e32 vcc_lo, 0x40900000, v[12:13]
	v_cmp_ngt_f64_e64 s0, 0xc090cc00, v[12:13]
	v_rndne_f64_e32 v[14:15], v[14:15]
	v_fma_f64 v[16:17], v[14:15], s[56:57], v[12:13]
	v_fma_f64 v[16:17], v[14:15], s[58:59], v[16:17]
	v_cvt_i32_f64_e32 v14, v[14:15]
	v_fma_f64 v[18:19], v[16:17], s[34:35], s[30:31]
	v_fma_f64 v[18:19], v[16:17], v[18:19], s[36:37]
	;; [unrolled: 1-line block ×9, first 2 shown]
	v_fma_f64 v[18:19], v[16:17], v[18:19], 1.0
	v_fma_f64 v[16:17], v[16:17], v[18:19], 1.0
	v_ldexp_f64 v[14:15], v[16:17], v14
	v_cndmask_b32_e32 v15, 0x7ff00000, v15, vcc_lo
	s_and_b32 vcc_lo, s0, vcc_lo
	v_cndmask_b32_e32 v12, 0, v14, vcc_lo
	v_cndmask_b32_e64 v13, 0, v15, s0
	v_add_f64 v[0:1], v[12:13], v[0:1]
	v_max_f64 v[0:1], 0x38100000, v[0:1]
	v_frexp_mant_f64_e32 v[12:13], v[0:1]
	v_frexp_exp_i32_f64_e32 v14, v[0:1]
	v_cmp_gt_f64_e32 vcc_lo, s[40:41], v[12:13]
	v_cndmask_b32_e64 v15, 0, 1, vcc_lo
	v_subrev_co_ci_u32_e64 v26, null, 0, v14, vcc_lo
	v_cmp_neq_f64_e32 vcc_lo, 0x7ff00000, v[0:1]
	v_ldexp_f64 v[12:13], v[12:13], v15
	v_add_f64 v[16:17], v[12:13], 1.0
	v_add_f64 v[14:15], v[12:13], -1.0
	v_add_f64 v[18:19], v[16:17], -1.0
	v_add_f64 v[12:13], v[12:13], -v[18:19]
	v_rcp_f64_e32 v[18:19], v[16:17]
	v_fma_f64 v[20:21], -v[16:17], v[18:19], 1.0
	v_fma_f64 v[18:19], v[20:21], v[18:19], v[18:19]
	v_fma_f64 v[20:21], -v[16:17], v[18:19], 1.0
	v_fma_f64 v[18:19], v[20:21], v[18:19], v[18:19]
	v_mul_f64 v[20:21], v[14:15], v[18:19]
	v_mul_f64 v[22:23], v[16:17], v[20:21]
	v_fma_f64 v[16:17], v[20:21], v[16:17], -v[22:23]
	v_fma_f64 v[12:13], v[20:21], v[12:13], v[16:17]
	v_add_f64 v[16:17], v[22:23], v[12:13]
	v_add_f64 v[24:25], v[14:15], -v[16:17]
	v_add_f64 v[22:23], v[16:17], -v[22:23]
	v_add_f64 v[14:15], v[14:15], -v[24:25]
	v_add_f64 v[12:13], v[22:23], -v[12:13]
	v_add_f64 v[14:15], v[14:15], -v[16:17]
	v_add_f64 v[12:13], v[12:13], v[14:15]
	v_add_f64 v[12:13], v[24:25], v[12:13]
	v_mul_f64 v[12:13], v[18:19], v[12:13]
	v_add_f64 v[14:15], v[20:21], v[12:13]
	v_add_f64 v[16:17], v[14:15], -v[20:21]
	v_ldexp_f64 v[20:21], v[14:15], 1
	v_add_f64 v[12:13], v[12:13], -v[16:17]
	v_mul_f64 v[16:17], v[14:15], v[14:15]
	v_ldexp_f64 v[12:13], v[12:13], 1
	v_fma_f64 v[18:19], v[16:17], s[18:19], s[10:11]
	v_mul_f64 v[14:15], v[14:15], v[16:17]
	v_fma_f64 v[18:19], v[16:17], v[18:19], s[20:21]
	v_fma_f64 v[18:19], v[16:17], v[18:19], s[22:23]
	;; [unrolled: 1-line block ×5, first 2 shown]
	v_mul_f64 v[14:15], v[14:15], v[18:19]
	v_add_f64 v[16:17], v[20:21], v[14:15]
	v_add_f64 v[18:19], v[16:17], -v[20:21]
	v_add_f64 v[14:15], v[14:15], -v[18:19]
	v_add_f64 v[12:13], v[12:13], v[14:15]
	v_add_f64 v[14:15], v[16:17], v[12:13]
	v_add_f64 v[16:17], v[14:15], -v[16:17]
	v_add_f64 v[12:13], v[12:13], -v[16:17]
	v_cvt_f64_i32_e32 v[16:17], v26
	v_mul_f64 v[18:19], v[16:17], s[6:7]
	v_fma_f64 v[20:21], v[16:17], s[6:7], -v[18:19]
	v_fma_f64 v[16:17], v[16:17], s[8:9], v[20:21]
	v_add_f64 v[20:21], v[18:19], v[16:17]
	v_add_f64 v[18:19], v[20:21], -v[18:19]
	v_add_f64 v[16:17], v[16:17], -v[18:19]
	v_mul_f64 v[18:19], v[14:15], s[2:3]
	v_fma_f64 v[22:23], v[14:15], s[2:3], -v[18:19]
	v_fma_f64 v[12:13], v[12:13], s[2:3], v[22:23]
	v_fma_f64 v[12:13], v[14:15], s[4:5], v[12:13]
	v_add_f64 v[14:15], v[18:19], v[12:13]
	v_add_f64 v[18:19], v[14:15], -v[18:19]
	v_add_f64 v[12:13], v[12:13], -v[18:19]
	v_add_f64 v[18:19], v[20:21], v[14:15]
	v_add_f64 v[22:23], v[18:19], -v[20:21]
	v_add_f64 v[24:25], v[18:19], -v[22:23]
	;; [unrolled: 1-line block ×4, first 2 shown]
	v_add_f64 v[14:15], v[14:15], v[20:21]
	v_add_f64 v[20:21], v[16:17], v[12:13]
	v_add_f64 v[22:23], v[20:21], -v[16:17]
	v_add_f64 v[14:15], v[20:21], v[14:15]
	v_add_f64 v[24:25], v[20:21], -v[22:23]
	v_add_f64 v[12:13], v[12:13], -v[22:23]
	;; [unrolled: 1-line block ×3, first 2 shown]
	v_add_f64 v[12:13], v[12:13], v[16:17]
	v_add_f64 v[16:17], v[18:19], v[14:15]
	v_add_f64 v[18:19], v[16:17], -v[18:19]
	v_add_f64 v[14:15], v[14:15], -v[18:19]
	v_add_f64 v[12:13], v[12:13], v[14:15]
	v_add_f64 v[12:13], v[16:17], v[12:13]
	v_cndmask_b32_e32 v1, 0x7ff00000, v13, vcc_lo
	v_cndmask_b32_e32 v0, 0, v12, vcc_lo
	v_fma_f64 v[14:15], v[0:1], s[68:69], s[64:65]
	v_fma_f64 v[12:13], v[0:1], s[60:61], 0x3fe80000
	v_add_f64 v[10:11], v[10:11], -v[14:15]
	v_fma_f64 v[12:13], v[10:11], s[76:77], v[12:13]
	v_div_scale_f64 v[14:15], null, v[12:13], v[12:13], 1.0
	v_rcp_f64_e32 v[16:17], v[14:15]
	v_fma_f64 v[18:19], -v[14:15], v[16:17], 1.0
	v_fma_f64 v[16:17], v[16:17], v[18:19], v[16:17]
	v_fma_f64 v[18:19], -v[14:15], v[16:17], 1.0
	v_fma_f64 v[16:17], v[16:17], v[18:19], v[16:17]
	v_div_scale_f64 v[18:19], vcc_lo, 1.0, v[12:13], 1.0
	v_mul_f64 v[20:21], v[18:19], v[16:17]
	v_fma_f64 v[14:15], -v[14:15], v[20:21], v[18:19]
	v_div_fmas_f64 v[14:15], v[14:15], v[16:17], v[20:21]
	v_div_fixup_f64 v[12:13], v[14:15], v[12:13], 1.0
	v_mul_f64 v[10:11], v[10:11], v[12:13]
	v_fma_f64 v[10:11], v[10:11], v[10:11], 1.0
	v_div_scale_f64 v[12:13], null, v[10:11], v[10:11], 1.0
	v_rcp_f64_e32 v[14:15], v[12:13]
	v_fma_f64 v[16:17], -v[12:13], v[14:15], 1.0
	v_fma_f64 v[14:15], v[14:15], v[16:17], v[14:15]
	v_fma_f64 v[16:17], -v[12:13], v[14:15], 1.0
	v_fma_f64 v[14:15], v[14:15], v[16:17], v[14:15]
	v_div_scale_f64 v[16:17], vcc_lo, 1.0, v[10:11], 1.0
	v_mul_f64 v[18:19], v[16:17], v[14:15]
	v_fma_f64 v[12:13], -v[12:13], v[18:19], v[16:17]
	v_div_fmas_f64 v[12:13], v[12:13], v[14:15], v[18:19]
	v_div_fixup_f64 v[10:11], v[12:13], v[10:11], 1.0
	v_mul_f64 v[0:1], v[0:1], v[10:11]
	v_mul_f64 v[10:11], v[0:1], s[62:63]
	v_cmp_nlt_f64_e32 vcc_lo, 0x40900000, v[0:1]
	v_cmp_ngt_f64_e64 s0, 0xc090cc00, v[0:1]
	v_rndne_f64_e32 v[10:11], v[10:11]
	v_fma_f64 v[12:13], v[10:11], s[66:67], v[0:1]
	v_fma_f64 v[12:13], v[10:11], s[70:71], v[12:13]
	v_cvt_i32_f64_e32 v10, v[10:11]
	v_mul_f64 v[14:15], v[12:13], s[72:73]
	v_fma_f64 v[12:13], v[12:13], s[74:75], v[14:15]
	v_fma_f64 v[14:15], v[12:13], s[34:35], s[30:31]
	;; [unrolled: 1-line block ×10, first 2 shown]
	v_fma_f64 v[14:15], v[12:13], v[14:15], 1.0
	v_fma_f64 v[12:13], v[12:13], v[14:15], 1.0
	v_ldexp_f64 v[10:11], v[12:13], v10
	v_cndmask_b32_e32 v11, 0x7ff00000, v11, vcc_lo
	s_and_b32 vcc_lo, s0, vcc_lo
	v_cndmask_b32_e32 v0, 0, v10, vcc_lo
	v_add_co_u32 v2, vcc_lo, s14, v2
	v_cndmask_b32_e64 v1, 0, v11, s0
	v_add_co_ci_u32_e64 v3, null, s15, v3, vcc_lo
	v_mul_f64 v[0:1], v[8:9], v[0:1]
	v_mul_f64 v[6:7], v[6:7], v[0:1]
	global_store_dwordx2 v[4:5], v[6:7], off
	global_load_dwordx2 v[4:5], v[2:3], off
	s_waitcnt vmcnt(0)
	v_mul_f64 v[0:1], v[4:5], v[0:1]
	global_store_dwordx2 v[2:3], v[0:1], off
	s_endpgm
	.section	.rodata,"a",@progbits
	.p2align	6, 0x0
	.amdhsa_kernel _Z11ratx_kernelIdEvPKT_S2_PS0_S3_S2_S0_
		.amdhsa_group_segment_fixed_size 0
		.amdhsa_private_segment_fixed_size 0
		.amdhsa_kernarg_size 304
		.amdhsa_user_sgpr_count 6
		.amdhsa_user_sgpr_private_segment_buffer 1
		.amdhsa_user_sgpr_dispatch_ptr 0
		.amdhsa_user_sgpr_queue_ptr 0
		.amdhsa_user_sgpr_kernarg_segment_ptr 1
		.amdhsa_user_sgpr_dispatch_id 0
		.amdhsa_user_sgpr_flat_scratch_init 0
		.amdhsa_user_sgpr_private_segment_size 0
		.amdhsa_wavefront_size32 1
		.amdhsa_uses_dynamic_stack 0
		.amdhsa_system_sgpr_private_segment_wavefront_offset 0
		.amdhsa_system_sgpr_workgroup_id_x 1
		.amdhsa_system_sgpr_workgroup_id_y 0
		.amdhsa_system_sgpr_workgroup_id_z 0
		.amdhsa_system_sgpr_workgroup_info 0
		.amdhsa_system_vgpr_workitem_id 0
		.amdhsa_next_free_vgpr 55
		.amdhsa_next_free_sgpr 78
		.amdhsa_reserve_vcc 1
		.amdhsa_reserve_flat_scratch 0
		.amdhsa_float_round_mode_32 0
		.amdhsa_float_round_mode_16_64 0
		.amdhsa_float_denorm_mode_32 3
		.amdhsa_float_denorm_mode_16_64 3
		.amdhsa_dx10_clamp 1
		.amdhsa_ieee_mode 1
		.amdhsa_fp16_overflow 0
		.amdhsa_workgroup_processor_mode 1
		.amdhsa_memory_ordered 1
		.amdhsa_forward_progress 1
		.amdhsa_shared_vgpr_count 0
		.amdhsa_exception_fp_ieee_invalid_op 0
		.amdhsa_exception_fp_denorm_src 0
		.amdhsa_exception_fp_ieee_div_zero 0
		.amdhsa_exception_fp_ieee_overflow 0
		.amdhsa_exception_fp_ieee_underflow 0
		.amdhsa_exception_fp_ieee_inexact 0
		.amdhsa_exception_int_div_zero 0
	.end_amdhsa_kernel
	.section	.text._Z11ratx_kernelIdEvPKT_S2_PS0_S3_S2_S0_,"axG",@progbits,_Z11ratx_kernelIdEvPKT_S2_PS0_S3_S2_S0_,comdat
.Lfunc_end39:
	.size	_Z11ratx_kernelIdEvPKT_S2_PS0_S3_S2_S0_, .Lfunc_end39-_Z11ratx_kernelIdEvPKT_S2_PS0_S3_S2_S0_
                                        ; -- End function
	.set _Z11ratx_kernelIdEvPKT_S2_PS0_S3_S2_S0_.num_vgpr, 55
	.set _Z11ratx_kernelIdEvPKT_S2_PS0_S3_S2_S0_.num_agpr, 0
	.set _Z11ratx_kernelIdEvPKT_S2_PS0_S3_S2_S0_.numbered_sgpr, 78
	.set _Z11ratx_kernelIdEvPKT_S2_PS0_S3_S2_S0_.num_named_barrier, 0
	.set _Z11ratx_kernelIdEvPKT_S2_PS0_S3_S2_S0_.private_seg_size, 0
	.set _Z11ratx_kernelIdEvPKT_S2_PS0_S3_S2_S0_.uses_vcc, 1
	.set _Z11ratx_kernelIdEvPKT_S2_PS0_S3_S2_S0_.uses_flat_scratch, 0
	.set _Z11ratx_kernelIdEvPKT_S2_PS0_S3_S2_S0_.has_dyn_sized_stack, 0
	.set _Z11ratx_kernelIdEvPKT_S2_PS0_S3_S2_S0_.has_recursion, 0
	.set _Z11ratx_kernelIdEvPKT_S2_PS0_S3_S2_S0_.has_indirect_call, 0
	.section	.AMDGPU.csdata,"",@progbits
; Kernel info:
; codeLenInByte = 31900
; TotalNumSgprs: 80
; NumVgprs: 55
; ScratchSize: 0
; MemoryBound: 0
; FloatMode: 240
; IeeeMode: 1
; LDSByteSize: 0 bytes/workgroup (compile time only)
; SGPRBlocks: 0
; VGPRBlocks: 6
; NumSGPRsForWavesPerEU: 80
; NumVGPRsForWavesPerEU: 55
; Occupancy: 16
; WaveLimiterHint : 0
; COMPUTE_PGM_RSRC2:SCRATCH_EN: 0
; COMPUTE_PGM_RSRC2:USER_SGPR: 6
; COMPUTE_PGM_RSRC2:TRAP_HANDLER: 0
; COMPUTE_PGM_RSRC2:TGID_X_EN: 1
; COMPUTE_PGM_RSRC2:TGID_Y_EN: 0
; COMPUTE_PGM_RSRC2:TGID_Z_EN: 0
; COMPUTE_PGM_RSRC2:TIDIG_COMP_CNT: 0
	.section	.text._Z12ratxb_kernelIdEvPKT_S2_PS0_S3_S2_S0_,"axG",@progbits,_Z12ratxb_kernelIdEvPKT_S2_PS0_S3_S2_S0_,comdat
	.protected	_Z12ratxb_kernelIdEvPKT_S2_PS0_S3_S2_S0_ ; -- Begin function _Z12ratxb_kernelIdEvPKT_S2_PS0_S3_S2_S0_
	.globl	_Z12ratxb_kernelIdEvPKT_S2_PS0_S3_S2_S0_
	.p2align	8
	.type	_Z12ratxb_kernelIdEvPKT_S2_PS0_S3_S2_S0_,@function
_Z12ratxb_kernelIdEvPKT_S2_PS0_S3_S2_S0_: ; @_Z12ratxb_kernelIdEvPKT_S2_PS0_S3_S2_S0_
; %bb.0:
	s_clause 0x3
	s_load_dwordx8 s[8:15], s[4:5], 0x0
	s_load_dwordx4 s[16:19], s[4:5], 0x20
	s_load_dword s33, s[4:5], 0x30
	s_load_dword s0, s[4:5], 0x3c
	s_mov_b32 s83, 0x3ff66666
	s_mov_b32 s82, 0x66666666
	s_mov_b32 s81, 0x402ccccc
	s_mov_b32 s80, 0xcccccccd
	s_mov_b32 s52, 0x55555555
	s_mov_b32 s53, 0x3fe55555
	s_mov_b32 s38, 0x6b47b09a
	s_mov_b32 s40, 0xbf559e2b
	s_mov_b32 s39, 0x3fc38538
	s_mov_b32 s41, 0x3fc3ab76
	s_mov_b32 s42, 0xd7f4df2e
	s_mov_b32 s43, 0x3fc7474d
	s_mov_b32 s44, 0x16291751
	s_mov_b32 s45, 0x3fcc71c0
	s_mov_b32 s46, 0x9b27acf1
	s_mov_b32 s47, 0x3fd24924
	s_mov_b32 s48, 0x998ef7b6
	s_mov_b32 s49, 0x3fd99999
	s_mov_b32 s50, 0x55555780
	s_waitcnt lgkmcnt(0)
	s_and_b32 s0, s0, 0xffff
	s_mov_b32 s51, s53
	v_mad_u64_u32 v[2:3], null, s6, s0, v[0:1]
	v_mov_b32_e32 v3, 0
	s_mul_i32 s33, s33, s0
	s_mov_b32 s0, 0x147ae148
	s_mov_b32 s1, 0xbfd147ae
	s_mul_i32 s84, s33, 5
	s_mov_b32 s34, 0x509f79ff
	v_lshlrev_b64 v[4:5], 3, v[2:3]
	v_add_nc_u32_e32 v2, s33, v2
	s_mov_b32 s35, 0x3fd34413
	s_mov_b32 s36, 0xa994fd21
	s_mov_b32 s37, 0xbc49dc1d
	s_mov_b32 s30, 0x1526e50e
	v_add_co_u32 v0, vcc_lo, s8, v4
	v_add_co_ci_u32_e64 v1, null, s9, v5, vcc_lo
	v_add_co_u32 v4, vcc_lo, s10, v4
	v_add_co_ci_u32_e64 v5, null, s11, v5, vcc_lo
	v_lshlrev_b64 v[6:7], 3, v[2:3]
	v_add_nc_u32_e32 v2, s33, v2
	s_mov_b32 s31, 0x3fdbcb7b
	global_load_dwordx2 v[34:35], v[4:5], off
	global_load_dwordx2 v[0:1], v[0:1], off
	s_mov_b32 s28, 0xbaaafad3
	v_add_co_u32 v6, vcc_lo, s10, v6
	v_add_co_ci_u32_e64 v7, null, s11, v7, vcc_lo
	s_mov_b32 s29, 0x3c695355
	s_mov_b32 s58, 0x652b82fe
	;; [unrolled: 1-line block ×3, first 2 shown]
	global_load_dwordx2 v[12:13], v[6:7], off
	v_lshlrev_b64 v[6:7], 3, v[2:3]
	v_add_nc_u32_e32 v2, s33, v2
	s_mov_b32 s56, 0xfefa39ef
	s_mov_b32 s57, 0xbfe62e42
	;; [unrolled: 1-line block ×4, first 2 shown]
	v_add_co_u32 v6, vcc_lo, s10, v6
	v_add_co_ci_u32_e64 v7, null, s11, v7, vcc_lo
	s_mov_b32 s2, 0xfca7ab0c
	s_mov_b32 s4, 0x6a5dcb37
	;; [unrolled: 1-line block ×3, first 2 shown]
	global_load_dwordx2 v[6:7], v[6:7], off
	s_mov_b32 s5, 0x3e5ade15
	s_mov_b32 s6, 0x623fde64
	;; [unrolled: 1-line block ×33, first 2 shown]
	s_waitcnt vmcnt(3)
	v_add_f64 v[4:5], v[34:35], 0
	s_waitcnt vmcnt(2)
	v_mul_f64 v[0:1], s[18:19], v[0:1]
	s_mov_b32 s18, 0x1852b7b0
	s_mov_b32 s19, 0x3f56c16c
	s_waitcnt vmcnt(1)
	v_add_f64 v[4:5], v[4:5], v[12:13]
	s_waitcnt vmcnt(0)
	v_add_f64 v[4:5], v[4:5], v[6:7]
	v_lshlrev_b64 v[6:7], 3, v[2:3]
	v_add_nc_u32_e32 v2, s33, v2
	v_add_co_u32 v6, vcc_lo, s10, v6
	v_add_co_ci_u32_e64 v7, null, s11, v7, vcc_lo
	global_load_dwordx2 v[44:45], v[6:7], off
	v_lshlrev_b64 v[6:7], 3, v[2:3]
	v_add_nc_u32_e32 v2, s33, v2
	v_add_co_u32 v6, vcc_lo, s10, v6
	v_add_co_ci_u32_e64 v7, null, s11, v7, vcc_lo
	global_load_dwordx2 v[6:7], v[6:7], off
	s_waitcnt vmcnt(1)
	v_add_f64 v[4:5], v[4:5], v[44:45]
	s_waitcnt vmcnt(0)
	v_add_f64 v[4:5], v[4:5], v[6:7]
	v_lshlrev_b64 v[6:7], 3, v[2:3]
	v_add_nc_u32_e32 v2, s33, v2
	v_add_co_u32 v6, vcc_lo, s10, v6
	v_add_co_ci_u32_e64 v7, null, s11, v7, vcc_lo
	global_load_dwordx2 v[46:47], v[6:7], off
	v_lshlrev_b64 v[6:7], 3, v[2:3]
	v_add_nc_u32_e32 v2, s33, v2
	v_add_co_u32 v36, vcc_lo, s10, v6
	v_add_co_ci_u32_e64 v37, null, s11, v7, vcc_lo
	s_clause 0x1
	global_load_dwordx2 v[6:7], v[36:37], off
	global_load_dwordx2 v[36:37], v[36:37], off
	s_waitcnt vmcnt(2)
	v_add_f64 v[4:5], v[4:5], v[46:47]
	s_waitcnt vmcnt(1)
	v_add_f64 v[4:5], v[4:5], v[6:7]
	v_lshlrev_b64 v[6:7], 3, v[2:3]
	v_add_nc_u32_e32 v2, s33, v2
	v_add_co_u32 v6, vcc_lo, s10, v6
	v_add_co_ci_u32_e64 v7, null, s11, v7, vcc_lo
	global_load_dwordx2 v[6:7], v[6:7], off
	s_waitcnt vmcnt(0)
	v_add_f64 v[4:5], v[4:5], v[6:7]
	v_lshlrev_b64 v[6:7], 3, v[2:3]
	v_add_nc_u32_e32 v2, s33, v2
	v_add_co_u32 v6, vcc_lo, s10, v6
	v_add_co_ci_u32_e64 v7, null, s11, v7, vcc_lo
	v_lshlrev_b64 v[50:51], 3, v[2:3]
	v_add_nc_u32_e32 v2, s33, v2
	global_load_dwordx2 v[6:7], v[6:7], off
	v_lshlrev_b64 v[52:53], 3, v[2:3]
	v_add_nc_u32_e32 v2, s33, v2
	v_lshlrev_b64 v[54:55], 3, v[2:3]
	v_add_nc_u32_e32 v2, s33, v2
	;; [unrolled: 2-line block ×6, first 2 shown]
	s_waitcnt vmcnt(0)
	v_add_f64 v[4:5], v[4:5], v[6:7]
	v_add_co_u32 v6, vcc_lo, s10, v50
	v_add_co_ci_u32_e64 v7, null, s11, v51, vcc_lo
	v_add_co_u32 v28, vcc_lo, s10, v52
	v_add_co_ci_u32_e64 v29, null, s11, v53, vcc_lo
	s_clause 0x1
	global_load_dwordx2 v[42:43], v[6:7], off
	global_load_dwordx2 v[38:39], v[28:29], off
	v_add_co_u32 v6, vcc_lo, s10, v54
	v_add_co_ci_u32_e64 v7, null, s11, v55, vcc_lo
	s_clause 0x1
	global_load_dwordx2 v[28:29], v[28:29], off
	global_load_dwordx2 v[40:41], v[6:7], off
	v_add_co_u32 v6, vcc_lo, s10, v24
	v_add_co_ci_u32_e64 v7, null, s11, v25, vcc_lo
	v_add_co_u32 v26, vcc_lo, s10, v22
	v_add_co_ci_u32_e64 v27, null, s11, v23, vcc_lo
	s_clause 0x2
	global_load_dwordx2 v[6:7], v[6:7], off
	global_load_dwordx2 v[48:49], v[26:27], off
	;; [unrolled: 1-line block ×3, first 2 shown]
	s_waitcnt vmcnt(6)
	v_add_f64 v[4:5], v[4:5], v[42:43]
	s_waitcnt vmcnt(5)
	v_add_f64 v[4:5], v[4:5], v[38:39]
	;; [unrolled: 2-line block ×4, first 2 shown]
	v_add_co_u32 v6, vcc_lo, s10, v20
	v_add_co_ci_u32_e64 v7, null, s11, v21, vcc_lo
	global_load_dwordx2 v[56:57], v[6:7], off
	v_add_co_u32 v6, vcc_lo, s10, v18
	v_add_co_ci_u32_e64 v7, null, s11, v19, vcc_lo
	global_load_dwordx2 v[58:59], v[6:7], off
	v_lshlrev_b64 v[6:7], 3, v[2:3]
	v_add_nc_u32_e32 v2, s33, v2
	s_waitcnt vmcnt(3)
	v_add_f64 v[4:5], v[4:5], v[48:49]
	v_add_co_u32 v6, vcc_lo, s10, v6
	v_add_co_ci_u32_e64 v7, null, s11, v7, vcc_lo
	v_lshlrev_b64 v[16:17], 3, v[2:3]
	v_add_nc_u32_e32 v2, s33, v2
	global_load_dwordx2 v[6:7], v[6:7], off
	v_lshlrev_b64 v[14:15], 3, v[2:3]
	v_add_nc_u32_e32 v2, s33, v2
	v_lshlrev_b64 v[8:9], 3, v[2:3]
	v_add_nc_u32_e32 v2, s33, v2
	s_waitcnt vmcnt(2)
	v_add_f64 v[4:5], v[4:5], v[56:57]
	s_waitcnt vmcnt(1)
	v_add_f64 v[4:5], v[4:5], v[58:59]
	;; [unrolled: 2-line block ×3, first 2 shown]
	v_add_co_u32 v6, vcc_lo, s10, v16
	v_add_co_ci_u32_e64 v7, null, s11, v17, vcc_lo
	global_load_dwordx2 v[6:7], v[6:7], off
	s_waitcnt vmcnt(0)
	v_add_f64 v[4:5], v[4:5], v[6:7]
	v_add_co_u32 v6, vcc_lo, s10, v14
	v_add_co_ci_u32_e64 v7, null, s11, v15, vcc_lo
	v_add_co_u32 v30, vcc_lo, s10, v8
	v_add_co_ci_u32_e64 v31, null, s11, v9, vcc_lo
	global_load_dwordx2 v[6:7], v[6:7], off
	s_waitcnt vmcnt(0)
	v_add_f64 v[4:5], v[4:5], v[6:7]
	s_clause 0x1
	global_load_dwordx2 v[6:7], v[30:31], off
	global_load_dwordx2 v[30:31], v[30:31], off
	s_waitcnt vmcnt(1)
	v_add_f64 v[6:7], v[4:5], v[6:7]
	v_lshlrev_b64 v[4:5], 3, v[2:3]
	v_add_nc_u32_e32 v2, s33, v2
	v_add_co_u32 v10, vcc_lo, s10, v4
	v_add_co_ci_u32_e64 v11, null, s11, v5, vcc_lo
	global_load_dwordx2 v[10:11], v[10:11], off
	s_waitcnt vmcnt(0)
	v_add_f64 v[6:7], v[6:7], v[10:11]
	v_lshlrev_b64 v[10:11], 3, v[2:3]
	v_add_co_u32 v10, vcc_lo, s10, v10
	v_add_co_ci_u32_e64 v11, null, s11, v11, vcc_lo
	global_load_dwordx2 v[60:61], v[10:11], off
	s_waitcnt vmcnt(0)
	v_add_f64 v[32:33], v[6:7], v[60:61]
	v_add_f64 v[6:7], v[32:33], -v[34:35]
	v_add_f64 v[66:67], v[32:33], v[34:35]
	v_fma_f64 v[68:69], v[34:35], s[82:83], v[32:33]
	v_add_f64 v[70:71], v[32:33], -v[44:45]
	s_mov_b32 s83, 0x3fea6666
	v_add_f64 v[6:7], v[6:7], -v[46:47]
	v_fma_f64 v[68:69], v[46:47], s[80:81], v[68:69]
	v_add_f64 v[70:71], v[70:71], -v[46:47]
	s_mov_b32 s81, 0x4004cccc
	v_add_f64 v[6:7], v[6:7], v[42:43]
	v_add_f64 v[68:69], v[42:43], v[68:69]
	v_fma_f64 v[70:71], 0xbfd00000, v[38:39], v[70:71]
	v_add_f64 v[6:7], v[6:7], -v[40:41]
	v_fma_f64 v[68:69], 0x3fe80000, v[38:39], v[68:69]
	v_fma_f64 v[70:71], v[40:41], 0.5, v[70:71]
	v_fma_f64 v[6:7], v[58:59], 2.0, v[6:7]
	v_fma_f64 v[68:69], v[40:41], s[80:81], v[68:69]
	v_fma_f64 v[70:71], v[58:59], 0.5, v[70:71]
	s_mov_b32 s81, 0x3fdccccc
	v_fma_f64 v[6:7], v[48:49], 2.0, v[6:7]
	v_fma_f64 v[68:69], v[58:59], 2.0, v[68:69]
	v_add_f64 v[60:61], v[70:71], -v[60:61]
	v_fma_f64 v[62:63], v[56:57], 2.0, v[6:7]
	v_fma_f64 v[6:7], v[34:35], s[0:1], v[32:33]
	s_mov_b32 s0, 0x33333333
	s_mov_b32 s1, 0x40053333
	v_fma_f64 v[68:69], v[48:49], 2.0, v[68:69]
	v_fma_f64 v[60:61], v[48:49], 2.0, v[60:61]
	v_fma_f64 v[6:7], v[46:47], s[0:1], v[6:7]
	s_mov_b32 s0, 0x7cecf427
	s_mov_b32 s1, 0xbf43323d
	v_fma_f64 v[68:69], v[56:57], 2.0, v[68:69]
	v_fma_f64 v[60:61], v[56:57], 2.0, v[60:61]
	v_add_f64 v[6:7], v[42:43], v[6:7]
	v_fma_f64 v[6:7], v[58:59], 2.0, v[6:7]
	v_fma_f64 v[6:7], v[48:49], 2.0, v[6:7]
	;; [unrolled: 1-line block ×3, first 2 shown]
	v_fma_f64 v[6:7], 0x40140000, v[46:47], v[66:67]
	v_fma_f64 v[66:67], 0x40140000, v[44:45], v[66:67]
	v_add_f64 v[6:7], v[42:43], v[6:7]
	v_fma_f64 v[66:67], 0x40140000, v[46:47], v[66:67]
	v_fma_f64 v[6:7], v[38:39], 0.5, v[6:7]
	v_add_f64 v[42:43], v[42:43], v[66:67]
	v_add_f64 v[6:7], v[40:41], v[6:7]
	v_fma_f64 v[42:43], v[38:39], 0.5, v[42:43]
	v_fma_f64 v[6:7], v[58:59], 2.0, v[6:7]
	v_fma_f64 v[42:43], 0x40040000, v[40:41], v[42:43]
	v_fma_f64 v[10:11], v[48:49], 2.0, v[6:7]
	v_fma_f64 v[42:43], v[58:59], 2.0, v[42:43]
	;; [unrolled: 1-line block ×4, first 2 shown]
	v_mad_u64_u32 v[48:49], null, 0xffffffef, s33, v[2:3]
	v_mov_b32_e32 v49, v3
	v_lshl_add_u32 v2, s33, 2, v48
	v_fma_f64 v[42:43], v[56:57], 2.0, v[42:43]
	v_lshlrev_b64 v[56:57], 3, v[48:49]
	v_add_co_u32 v58, vcc_lo, s12, v56
	v_add_co_ci_u32_e64 v59, null, s13, v57, vcc_lo
	global_load_dwordx2 v[66:67], v[58:59], off
	s_waitcnt vmcnt(0)
	v_mul_f64 v[66:67], v[62:63], v[66:67]
	v_mul_f64 v[66:67], v[66:67], v[12:13]
	;; [unrolled: 1-line block ×3, first 2 shown]
	global_store_dwordx2 v[58:59], v[66:67], off
	v_add_co_u32 v58, vcc_lo, s14, v56
	v_add_co_ci_u32_e64 v59, null, s15, v57, vcc_lo
	global_load_dwordx2 v[66:67], v[58:59], off
	s_waitcnt vmcnt(0)
	v_mul_f64 v[62:63], v[62:63], v[66:67]
	v_mul_f64 v[34:35], v[34:35], v[62:63]
	global_store_dwordx2 v[58:59], v[34:35], off
	v_lshlrev_b64 v[34:35], 3, v[2:3]
	v_add_co_u32 v48, vcc_lo, s12, v34
	v_add_co_ci_u32_e64 v49, null, s13, v35, vcc_lo
	v_add_co_u32 v56, vcc_lo, s10, v56
	v_add_co_ci_u32_e64 v57, null, s11, v57, vcc_lo
	global_load_dwordx2 v[58:59], v[48:49], off
	global_load_dwordx2 v[56:57], v[56:57], off
	s_waitcnt vmcnt(1)
	v_mul_f64 v[58:59], v[64:65], v[58:59]
	v_mul_f64 v[58:59], v[12:13], v[58:59]
	s_waitcnt vmcnt(0)
	v_mul_f64 v[58:59], v[56:57], v[58:59]
	global_store_dwordx2 v[48:49], v[58:59], off
	v_add_co_u32 v48, vcc_lo, s14, v34
	v_add_co_ci_u32_e64 v49, null, s15, v35, vcc_lo
	global_load_dwordx2 v[58:59], v[48:49], off
	s_waitcnt vmcnt(0)
	v_mul_f64 v[58:59], v[64:65], v[58:59]
	v_mul_f64 v[46:47], v[46:47], v[58:59]
	v_add_co_u32 v58, vcc_lo, s12, v50
	v_add_co_ci_u32_e64 v59, null, s13, v51, vcc_lo
	global_store_dwordx2 v[48:49], v[46:47], off
	global_load_dwordx2 v[46:47], v[58:59], off
	v_mad_u64_u32 v[48:49], null, s33, -6, v[2:3]
	v_mov_b32_e32 v49, v3
	s_waitcnt vmcnt(0)
	v_mul_f64 v[62:63], v[10:11], v[46:47]
	v_lshlrev_b64 v[46:47], 3, v[48:49]
	v_add_co_u32 v46, vcc_lo, s10, v46
	v_add_co_ci_u32_e64 v47, null, s11, v47, vcc_lo
	v_add_co_u32 v49, vcc_lo, s14, v50
	v_add_co_ci_u32_e64 v50, null, s15, v51, vcc_lo
	global_load_dwordx2 v[46:47], v[46:47], off
	s_waitcnt vmcnt(0)
	v_mul_f64 v[62:63], v[62:63], v[46:47]
	v_mul_f64 v[62:63], v[12:13], v[62:63]
	global_store_dwordx2 v[58:59], v[62:63], off
	global_load_dwordx2 v[58:59], v[49:50], off
	s_waitcnt vmcnt(0)
	v_mul_f64 v[58:59], v[10:11], v[58:59]
	v_mul_f64 v[56:57], v[56:57], v[58:59]
	global_store_dwordx2 v[49:50], v[56:57], off
	v_add_co_u32 v49, vcc_lo, s12, v52
	v_add_co_ci_u32_e64 v50, null, s13, v53, vcc_lo
	global_load_dwordx2 v[56:57], v[49:50], off
	s_waitcnt vmcnt(0)
	v_mul_f64 v[56:57], v[68:69], v[56:57]
	v_mul_f64 v[56:57], v[46:47], v[56:57]
	;; [unrolled: 1-line block ×3, first 2 shown]
	global_store_dwordx2 v[49:50], v[56:57], off
	v_add_co_u32 v49, vcc_lo, s14, v52
	v_add_co_ci_u32_e64 v50, null, s15, v53, vcc_lo
	global_load_dwordx2 v[51:52], v[49:50], off
	s_waitcnt vmcnt(0)
	v_mul_f64 v[51:52], v[68:69], v[51:52]
	v_mul_f64 v[51:52], v[44:45], v[51:52]
	global_store_dwordx2 v[49:50], v[51:52], off
	v_add_co_u32 v49, vcc_lo, s12, v54
	v_add_co_ci_u32_e64 v50, null, s13, v55, vcc_lo
	global_load_dwordx2 v[51:52], v[49:50], off
	s_waitcnt vmcnt(0)
	v_mul_f64 v[51:52], v[60:61], v[51:52]
	v_mul_f64 v[51:52], v[12:13], v[51:52]
	;; [unrolled: 1-line block ×3, first 2 shown]
	global_store_dwordx2 v[49:50], v[44:45], off
	v_add_co_u32 v44, vcc_lo, s14, v54
	v_add_co_ci_u32_e64 v45, null, s15, v55, vcc_lo
	global_load_dwordx2 v[49:50], v[44:45], off
	s_waitcnt vmcnt(0)
	v_mul_f64 v[49:50], v[60:61], v[49:50]
	v_mul_f64 v[36:37], v[49:50], v[36:37]
	global_store_dwordx2 v[44:45], v[36:37], off
	v_mad_u64_u32 v[36:37], null, s33, 26, v[48:49]
	v_mov_b32_e32 v37, v3
	v_lshlrev_b64 v[44:45], 3, v[36:37]
	v_add_co_u32 v48, vcc_lo, s12, v44
	v_add_co_ci_u32_e64 v49, null, s13, v45, vcc_lo
	global_load_dwordx2 v[50:51], v[48:49], off
	s_waitcnt vmcnt(0)
	v_mul_f64 v[50:51], v[42:43], v[50:51]
	v_mul_f64 v[37:38], v[38:39], v[50:51]
	;; [unrolled: 1-line block ×3, first 2 shown]
	global_store_dwordx2 v[48:49], v[37:38], off
	v_add_co_u32 v37, vcc_lo, s14, v44
	v_add_co_ci_u32_e64 v38, null, s15, v45, vcc_lo
	global_load_dwordx2 v[44:45], v[37:38], off
	s_waitcnt vmcnt(0)
	v_mul_f64 v[42:43], v[42:43], v[44:45]
	v_mul_f64 v[39:40], v[40:41], v[42:43]
	global_store_dwordx2 v[37:38], v[39:40], off
	v_mad_u64_u32 v[36:37], null, s33, 17, v[36:37]
	v_mov_b32_e32 v37, v3
	v_lshlrev_b64 v[37:38], 3, v[36:37]
	v_add_co_u32 v39, vcc_lo, s12, v37
	v_add_co_ci_u32_e64 v40, null, s13, v38, vcc_lo
	v_add_co_u32 v37, vcc_lo, s14, v37
	v_add_co_ci_u32_e64 v38, null, s15, v38, vcc_lo
	global_load_dwordx2 v[41:42], v[39:40], off
	s_waitcnt vmcnt(0)
	v_mul_f64 v[41:42], v[10:11], v[41:42]
	global_store_dwordx2 v[39:40], v[41:42], off
	global_load_dwordx2 v[39:40], v[37:38], off
	s_waitcnt vmcnt(0)
	v_mul_f64 v[39:40], v[10:11], v[39:40]
	v_mul_f64 v[28:29], v[39:40], v[28:29]
	;; [unrolled: 1-line block ×3, first 2 shown]
	global_store_dwordx2 v[37:38], v[12:13], off
	v_mad_u64_u32 v[12:13], null, 0x4b, s33, v[36:37]
	v_mov_b32_e32 v13, v3
	v_lshlrev_b64 v[28:29], 3, v[12:13]
	v_add_nc_u32_e32 v2, s84, v12
	v_add_co_u32 v36, vcc_lo, s12, v28
	v_add_co_ci_u32_e64 v37, null, s13, v29, vcc_lo
	v_add_co_u32 v34, vcc_lo, s10, v34
	v_add_co_ci_u32_e64 v35, null, s11, v35, vcc_lo
	global_load_dwordx2 v[38:39], v[36:37], off
	s_mov_b32 s10, 0x14761f6e
	s_mov_b32 s11, 0x3f2a01a0
	global_load_dwordx2 v[34:35], v[34:35], off
	s_waitcnt vmcnt(1)
	v_mul_f64 v[38:39], v[32:33], v[38:39]
	v_mul_f64 v[26:27], v[38:39], v[26:27]
	s_waitcnt vmcnt(0)
	v_mul_f64 v[26:27], v[26:27], v[34:35]
	global_store_dwordx2 v[36:37], v[26:27], off
	v_add_co_u32 v26, vcc_lo, s14, v28
	v_add_co_ci_u32_e64 v27, null, s15, v29, vcc_lo
	v_add_co_u32 v24, vcc_lo, s16, v24
	v_add_co_ci_u32_e64 v25, null, s17, v25, vcc_lo
	global_load_dwordx2 v[28:29], v[26:27], off
	s_waitcnt vmcnt(0)
	v_mul_f64 v[28:29], v[32:33], v[28:29]
	v_mul_f64 v[28:29], v[28:29], v[30:31]
	global_load_dwordx2 v[30:31], v[24:25], off
	v_lshlrev_b64 v[24:25], 3, v[2:3]
	global_store_dwordx2 v[26:27], v[28:29], off
	v_add_co_u32 v26, vcc_lo, s12, v24
	v_add_co_ci_u32_e64 v27, null, s13, v25, vcc_lo
	global_load_dwordx2 v[28:29], v[26:27], off
	s_waitcnt vmcnt(0)
	v_div_scale_f64 v[12:13], null, v[28:29], v[28:29], 1.0
	v_rcp_f64_e32 v[32:33], v[12:13]
	v_fma_f64 v[34:35], -v[12:13], v[32:33], 1.0
	v_fma_f64 v[32:33], v[32:33], v[34:35], v[32:33]
	v_fma_f64 v[34:35], -v[12:13], v[32:33], 1.0
	v_fma_f64 v[32:33], v[32:33], v[34:35], v[32:33]
	v_div_scale_f64 v[34:35], vcc_lo, 1.0, v[28:29], 1.0
	v_mul_f64 v[36:37], v[34:35], v[32:33]
	v_fma_f64 v[12:13], -v[12:13], v[36:37], v[34:35]
	v_div_fmas_f64 v[12:13], v[12:13], v[32:33], v[36:37]
	v_div_fixup_f64 v[12:13], v[12:13], v[28:29], 1.0
	v_mul_f64 v[12:13], v[10:11], v[12:13]
	v_mul_f64 v[32:33], v[30:31], v[12:13]
	v_fma_f64 v[12:13], v[30:31], v[12:13], 1.0
	v_div_scale_f64 v[30:31], null, v[12:13], v[12:13], 1.0
	v_rcp_f64_e32 v[34:35], v[30:31]
	v_fma_f64 v[36:37], -v[30:31], v[34:35], 1.0
	v_fma_f64 v[34:35], v[34:35], v[36:37], v[34:35]
	v_fma_f64 v[36:37], -v[30:31], v[34:35], 1.0
	v_fma_f64 v[34:35], v[34:35], v[36:37], v[34:35]
	v_div_scale_f64 v[36:37], vcc_lo, 1.0, v[12:13], 1.0
	v_mul_f64 v[38:39], v[36:37], v[34:35]
	v_fma_f64 v[30:31], -v[30:31], v[38:39], v[36:37]
	v_div_fmas_f64 v[30:31], v[30:31], v[34:35], v[38:39]
	v_div_fixup_f64 v[12:13], v[30:31], v[12:13], 1.0
	v_mul_f64 v[30:31], v[32:33], v[12:13]
	v_max_f64 v[12:13], 0x38100000, v[32:33]
	v_frexp_mant_f64_e32 v[32:33], v[12:13]
	v_frexp_exp_i32_f64_e32 v34, v[12:13]
	v_cmp_gt_f64_e32 vcc_lo, s[52:53], v[32:33]
	v_cndmask_b32_e64 v35, 0, 1, vcc_lo
	v_subrev_co_ci_u32_e64 v46, null, 0, v34, vcc_lo
	v_cmp_neq_f64_e32 vcc_lo, 0x7ff00000, v[12:13]
	v_mul_f64 v[12:13], v[0:1], s[0:1]
	v_ldexp_f64 v[32:33], v[32:33], v35
	s_mov_b32 s0, 0xc6a7ef9e
	s_mov_b32 s1, 0x3fe5374b
	v_add_f64 v[36:37], v[32:33], 1.0
	v_add_f64 v[34:35], v[32:33], -1.0
	v_add_f64 v[38:39], v[36:37], -1.0
	v_add_f64 v[32:33], v[32:33], -v[38:39]
	v_rcp_f64_e32 v[38:39], v[36:37]
	v_fma_f64 v[40:41], -v[36:37], v[38:39], 1.0
	v_fma_f64 v[38:39], v[40:41], v[38:39], v[38:39]
	v_fma_f64 v[40:41], -v[36:37], v[38:39], 1.0
	v_fma_f64 v[38:39], v[40:41], v[38:39], v[38:39]
	v_mul_f64 v[40:41], v[34:35], v[38:39]
	v_mul_f64 v[42:43], v[36:37], v[40:41]
	v_fma_f64 v[36:37], v[40:41], v[36:37], -v[42:43]
	v_fma_f64 v[32:33], v[40:41], v[32:33], v[36:37]
	v_add_f64 v[36:37], v[42:43], v[32:33]
	v_add_f64 v[44:45], v[34:35], -v[36:37]
	v_add_f64 v[42:43], v[36:37], -v[42:43]
	;; [unrolled: 1-line block ×5, first 2 shown]
	v_add_f64 v[32:33], v[32:33], v[34:35]
	v_add_f64 v[32:33], v[44:45], v[32:33]
	v_mul_f64 v[32:33], v[38:39], v[32:33]
	v_add_f64 v[34:35], v[40:41], v[32:33]
	v_add_f64 v[36:37], v[34:35], -v[40:41]
	v_ldexp_f64 v[40:41], v[34:35], 1
	v_add_f64 v[32:33], v[32:33], -v[36:37]
	v_mul_f64 v[36:37], v[34:35], v[34:35]
	v_ldexp_f64 v[32:33], v[32:33], 1
	v_fma_f64 v[38:39], v[36:37], s[40:41], s[38:39]
	v_mul_f64 v[34:35], v[34:35], v[36:37]
	v_fma_f64 v[38:39], v[36:37], v[38:39], s[42:43]
	v_fma_f64 v[38:39], v[36:37], v[38:39], s[44:45]
	;; [unrolled: 1-line block ×5, first 2 shown]
	v_mul_f64 v[34:35], v[34:35], v[38:39]
	v_add_f64 v[36:37], v[40:41], v[34:35]
	v_add_f64 v[38:39], v[36:37], -v[40:41]
	v_add_f64 v[34:35], v[34:35], -v[38:39]
	v_add_f64 v[32:33], v[32:33], v[34:35]
	v_add_f64 v[34:35], v[36:37], v[32:33]
	v_add_f64 v[36:37], v[34:35], -v[36:37]
	v_add_f64 v[32:33], v[32:33], -v[36:37]
	v_cvt_f64_i32_e32 v[36:37], v46
	v_mul_f64 v[38:39], v[36:37], s[34:35]
	v_fma_f64 v[40:41], v[36:37], s[34:35], -v[38:39]
	v_fma_f64 v[36:37], v[36:37], s[36:37], v[40:41]
	v_add_f64 v[40:41], v[38:39], v[36:37]
	v_add_f64 v[38:39], v[40:41], -v[38:39]
	v_add_f64 v[36:37], v[36:37], -v[38:39]
	v_mul_f64 v[38:39], v[34:35], s[30:31]
	v_fma_f64 v[42:43], v[34:35], s[30:31], -v[38:39]
	v_fma_f64 v[32:33], v[32:33], s[30:31], v[42:43]
	v_fma_f64 v[32:33], v[34:35], s[28:29], v[32:33]
	v_add_f64 v[34:35], v[38:39], v[32:33]
	v_add_f64 v[38:39], v[34:35], -v[38:39]
	v_add_f64 v[32:33], v[32:33], -v[38:39]
	v_add_f64 v[38:39], v[40:41], v[34:35]
	v_add_f64 v[42:43], v[38:39], -v[40:41]
	v_add_f64 v[44:45], v[38:39], -v[42:43]
	;; [unrolled: 1-line block ×4, first 2 shown]
	v_add_f64 v[34:35], v[34:35], v[40:41]
	v_add_f64 v[40:41], v[36:37], v[32:33]
	v_add_f64 v[42:43], v[40:41], -v[36:37]
	v_add_f64 v[34:35], v[40:41], v[34:35]
	v_add_f64 v[44:45], v[40:41], -v[42:43]
	v_add_f64 v[32:33], v[32:33], -v[42:43]
	;; [unrolled: 1-line block ×3, first 2 shown]
	v_add_f64 v[32:33], v[32:33], v[36:37]
	v_add_f64 v[36:37], v[38:39], v[34:35]
	v_add_f64 v[38:39], v[36:37], -v[38:39]
	v_add_f64 v[34:35], v[34:35], -v[38:39]
	v_add_f64 v[32:33], v[32:33], v[34:35]
	v_mul_f64 v[34:35], v[12:13], s[58:59]
	v_add_f64 v[32:33], v[36:37], v[32:33]
	v_rndne_f64_e32 v[34:35], v[34:35]
	v_cndmask_b32_e32 v33, 0x7ff00000, v33, vcc_lo
	v_fma_f64 v[36:37], v[34:35], s[56:57], v[12:13]
	v_cndmask_b32_e32 v32, 0, v32, vcc_lo
	v_cmp_nlt_f64_e32 vcc_lo, 0x40900000, v[12:13]
	v_fma_f64 v[36:37], v[34:35], s[54:55], v[36:37]
	v_cvt_i32_f64_e32 v34, v[34:35]
	v_fma_f64 v[38:39], v[36:37], s[4:5], s[2:3]
	v_fma_f64 v[38:39], v[36:37], v[38:39], s[6:7]
	;; [unrolled: 1-line block ×9, first 2 shown]
	v_fma_f64 v[38:39], v[36:37], v[38:39], 1.0
	v_fma_f64 v[36:37], v[36:37], v[38:39], 1.0
	v_ldexp_f64 v[34:35], v[36:37], v34
	v_mul_f64 v[34:35], v[34:35], s[0:1]
	v_cmp_ngt_f64_e64 s0, 0xc090cc00, v[12:13]
	v_cndmask_b32_e32 v35, 0x7ff00000, v35, vcc_lo
	s_and_b32 vcc_lo, s0, vcc_lo
	v_cndmask_b32_e32 v12, 0, v34, vcc_lo
	v_cndmask_b32_e64 v13, 0, v35, s0
	v_mul_f64 v[34:35], v[0:1], s[78:79]
	s_mov_b32 s0, 0x72b020c5
	s_mov_b32 s1, 0x3fd59168
	;; [unrolled: 1-line block ×3, first 2 shown]
	v_mul_f64 v[36:37], v[34:35], s[58:59]
	v_cmp_nlt_f64_e32 vcc_lo, 0x40900000, v[34:35]
	v_rndne_f64_e32 v[36:37], v[36:37]
	v_fma_f64 v[38:39], v[36:37], s[56:57], v[34:35]
	v_fma_f64 v[38:39], v[36:37], s[54:55], v[38:39]
	v_cvt_i32_f64_e32 v36, v[36:37]
	v_fma_f64 v[40:41], v[38:39], s[4:5], s[2:3]
	v_fma_f64 v[40:41], v[38:39], v[40:41], s[6:7]
	;; [unrolled: 1-line block ×9, first 2 shown]
	v_fma_f64 v[40:41], v[38:39], v[40:41], 1.0
	v_fma_f64 v[38:39], v[38:39], v[40:41], 1.0
	v_ldexp_f64 v[36:37], v[38:39], v36
	v_mul_f64 v[36:37], v[36:37], s[0:1]
	v_cmp_ngt_f64_e64 s0, 0xc090cc00, v[34:35]
	v_cndmask_b32_e32 v37, 0x7ff00000, v37, vcc_lo
	s_and_b32 vcc_lo, s0, vcc_lo
	v_cndmask_b32_e32 v34, 0, v36, vcc_lo
	v_cndmask_b32_e64 v35, 0, v37, s0
	v_add_f64 v[34:35], v[12:13], v[34:35]
	v_div_scale_f64 v[12:13], null, v[0:1], v[0:1], 1.0
	v_rcp_f64_e32 v[36:37], v[12:13]
	v_fma_f64 v[38:39], -v[12:13], v[36:37], 1.0
	v_fma_f64 v[36:37], v[36:37], v[38:39], v[36:37]
	v_fma_f64 v[38:39], -v[12:13], v[36:37], 1.0
	v_fma_f64 v[36:37], v[36:37], v[38:39], v[36:37]
	v_div_scale_f64 v[38:39], vcc_lo, 1.0, v[0:1], 1.0
	v_mul_f64 v[40:41], v[38:39], v[36:37]
	v_fma_f64 v[12:13], -v[12:13], v[40:41], v[38:39]
	v_div_fmas_f64 v[12:13], v[12:13], v[36:37], v[40:41]
	v_div_fixup_f64 v[12:13], v[12:13], v[0:1], 1.0
	v_mul_f64 v[36:37], 0xc0b02300, v[12:13]
	v_mul_f64 v[38:39], v[36:37], s[58:59]
	v_cmp_nlt_f64_e32 vcc_lo, 0x40900000, v[36:37]
	v_cmp_ngt_f64_e64 s0, 0xc090cc00, v[36:37]
	v_rndne_f64_e32 v[38:39], v[38:39]
	v_fma_f64 v[40:41], v[38:39], s[56:57], v[36:37]
	v_fma_f64 v[40:41], v[38:39], s[54:55], v[40:41]
	v_cvt_i32_f64_e32 v38, v[38:39]
	v_fma_f64 v[42:43], v[40:41], s[4:5], s[2:3]
	v_fma_f64 v[42:43], v[40:41], v[42:43], s[6:7]
	;; [unrolled: 1-line block ×9, first 2 shown]
	v_fma_f64 v[42:43], v[40:41], v[42:43], 1.0
	v_fma_f64 v[40:41], v[40:41], v[42:43], 1.0
	v_ldexp_f64 v[38:39], v[40:41], v38
	v_cndmask_b32_e32 v39, 0x7ff00000, v39, vcc_lo
	s_and_b32 vcc_lo, s0, vcc_lo
	v_cndmask_b32_e32 v36, 0, v38, vcc_lo
	v_cndmask_b32_e64 v37, 0, v39, s0
	v_add_f64 v[34:35], v[36:37], v[34:35]
	v_max_f64 v[34:35], 0x38100000, v[34:35]
	v_frexp_mant_f64_e32 v[36:37], v[34:35]
	v_frexp_exp_i32_f64_e32 v38, v[34:35]
	v_cmp_gt_f64_e32 vcc_lo, s[52:53], v[36:37]
	v_cndmask_b32_e64 v39, 0, 1, vcc_lo
	v_subrev_co_ci_u32_e64 v50, null, 0, v38, vcc_lo
	v_cmp_neq_f64_e32 vcc_lo, 0x7ff00000, v[34:35]
	v_ldexp_f64 v[36:37], v[36:37], v39
	v_add_f64 v[40:41], v[36:37], 1.0
	v_add_f64 v[38:39], v[36:37], -1.0
	v_add_f64 v[42:43], v[40:41], -1.0
	v_add_f64 v[36:37], v[36:37], -v[42:43]
	v_rcp_f64_e32 v[42:43], v[40:41]
	v_fma_f64 v[44:45], -v[40:41], v[42:43], 1.0
	v_fma_f64 v[42:43], v[44:45], v[42:43], v[42:43]
	v_fma_f64 v[44:45], -v[40:41], v[42:43], 1.0
	v_fma_f64 v[42:43], v[44:45], v[42:43], v[42:43]
	v_mul_f64 v[44:45], v[38:39], v[42:43]
	v_mul_f64 v[46:47], v[40:41], v[44:45]
	v_fma_f64 v[40:41], v[44:45], v[40:41], -v[46:47]
	v_fma_f64 v[36:37], v[44:45], v[36:37], v[40:41]
	v_add_f64 v[40:41], v[46:47], v[36:37]
	v_add_f64 v[48:49], v[38:39], -v[40:41]
	v_add_f64 v[46:47], v[40:41], -v[46:47]
	;; [unrolled: 1-line block ×5, first 2 shown]
	v_add_f64 v[36:37], v[36:37], v[38:39]
	v_add_f64 v[36:37], v[48:49], v[36:37]
	v_mul_f64 v[36:37], v[42:43], v[36:37]
	v_add_f64 v[38:39], v[44:45], v[36:37]
	v_add_f64 v[40:41], v[38:39], -v[44:45]
	v_ldexp_f64 v[44:45], v[38:39], 1
	v_add_f64 v[36:37], v[36:37], -v[40:41]
	v_mul_f64 v[40:41], v[38:39], v[38:39]
	v_ldexp_f64 v[36:37], v[36:37], 1
	v_fma_f64 v[42:43], v[40:41], s[40:41], s[38:39]
	v_mul_f64 v[38:39], v[38:39], v[40:41]
	v_fma_f64 v[42:43], v[40:41], v[42:43], s[42:43]
	v_fma_f64 v[42:43], v[40:41], v[42:43], s[44:45]
	;; [unrolled: 1-line block ×5, first 2 shown]
	v_mul_f64 v[38:39], v[38:39], v[42:43]
	v_add_f64 v[40:41], v[44:45], v[38:39]
	v_add_f64 v[42:43], v[40:41], -v[44:45]
	v_add_f64 v[38:39], v[38:39], -v[42:43]
	v_add_f64 v[36:37], v[36:37], v[38:39]
	v_add_f64 v[38:39], v[40:41], v[36:37]
	v_add_f64 v[40:41], v[38:39], -v[40:41]
	v_add_f64 v[36:37], v[36:37], -v[40:41]
	v_cvt_f64_i32_e32 v[40:41], v50
	v_mul_f64 v[42:43], v[40:41], s[34:35]
	v_fma_f64 v[44:45], v[40:41], s[34:35], -v[42:43]
	v_fma_f64 v[40:41], v[40:41], s[36:37], v[44:45]
	v_add_f64 v[44:45], v[42:43], v[40:41]
	v_add_f64 v[42:43], v[44:45], -v[42:43]
	v_add_f64 v[40:41], v[40:41], -v[42:43]
	v_mul_f64 v[42:43], v[38:39], s[30:31]
	v_fma_f64 v[46:47], v[38:39], s[30:31], -v[42:43]
	v_fma_f64 v[36:37], v[36:37], s[30:31], v[46:47]
	v_fma_f64 v[36:37], v[38:39], s[28:29], v[36:37]
	v_add_f64 v[38:39], v[42:43], v[36:37]
	v_add_f64 v[42:43], v[38:39], -v[42:43]
	v_add_f64 v[36:37], v[36:37], -v[42:43]
	v_add_f64 v[42:43], v[44:45], v[38:39]
	v_add_f64 v[46:47], v[42:43], -v[44:45]
	v_add_f64 v[48:49], v[42:43], -v[46:47]
	;; [unrolled: 1-line block ×4, first 2 shown]
	v_add_f64 v[38:39], v[38:39], v[44:45]
	v_add_f64 v[44:45], v[40:41], v[36:37]
	v_add_f64 v[46:47], v[44:45], -v[40:41]
	v_add_f64 v[38:39], v[44:45], v[38:39]
	v_add_f64 v[48:49], v[44:45], -v[46:47]
	v_add_f64 v[36:37], v[36:37], -v[46:47]
	;; [unrolled: 1-line block ×3, first 2 shown]
	v_add_f64 v[36:37], v[36:37], v[40:41]
	v_add_f64 v[40:41], v[42:43], v[38:39]
	v_add_f64 v[42:43], v[40:41], -v[42:43]
	v_add_f64 v[38:39], v[38:39], -v[42:43]
	v_add_f64 v[36:37], v[36:37], v[38:39]
	v_add_f64 v[36:37], v[40:41], v[36:37]
	v_cndmask_b32_e32 v35, 0x7ff00000, v37, vcc_lo
	v_cndmask_b32_e32 v34, 0, v36, vcc_lo
	v_fma_f64 v[38:39], v[34:35], s[76:77], s[74:75]
	v_fma_f64 v[36:37], v[34:35], s[72:73], 0x3fe80000
	v_add_f64 v[32:33], v[32:33], -v[38:39]
	v_fma_f64 v[36:37], v[32:33], s[70:71], v[36:37]
	v_div_scale_f64 v[38:39], null, v[36:37], v[36:37], 1.0
	v_rcp_f64_e32 v[40:41], v[38:39]
	v_fma_f64 v[42:43], -v[38:39], v[40:41], 1.0
	v_fma_f64 v[40:41], v[40:41], v[42:43], v[40:41]
	v_fma_f64 v[42:43], -v[38:39], v[40:41], 1.0
	v_fma_f64 v[40:41], v[40:41], v[42:43], v[40:41]
	v_div_scale_f64 v[42:43], vcc_lo, 1.0, v[36:37], 1.0
	v_mul_f64 v[44:45], v[42:43], v[40:41]
	v_fma_f64 v[38:39], -v[38:39], v[44:45], v[42:43]
	v_div_fmas_f64 v[38:39], v[38:39], v[40:41], v[44:45]
	v_div_fixup_f64 v[36:37], v[38:39], v[36:37], 1.0
	v_mul_f64 v[32:33], v[32:33], v[36:37]
	v_fma_f64 v[32:33], v[32:33], v[32:33], 1.0
	v_div_scale_f64 v[36:37], null, v[32:33], v[32:33], 1.0
	v_rcp_f64_e32 v[38:39], v[36:37]
	v_fma_f64 v[40:41], -v[36:37], v[38:39], 1.0
	v_fma_f64 v[38:39], v[38:39], v[40:41], v[38:39]
	v_fma_f64 v[40:41], -v[36:37], v[38:39], 1.0
	v_fma_f64 v[38:39], v[38:39], v[40:41], v[38:39]
	v_div_scale_f64 v[40:41], vcc_lo, 1.0, v[32:33], 1.0
	v_mul_f64 v[42:43], v[40:41], v[38:39]
	v_fma_f64 v[36:37], -v[36:37], v[42:43], v[40:41]
	v_div_fmas_f64 v[36:37], v[36:37], v[38:39], v[42:43]
	v_div_fixup_f64 v[32:33], v[36:37], v[32:33], 1.0
	v_mul_f64 v[32:33], v[34:35], v[32:33]
	v_mul_f64 v[34:35], v[32:33], s[60:61]
	v_cmp_nlt_f64_e32 vcc_lo, 0x40900000, v[32:33]
	v_cmp_ngt_f64_e64 s0, 0xc090cc00, v[32:33]
	v_rndne_f64_e32 v[34:35], v[34:35]
	v_fma_f64 v[36:37], v[34:35], s[62:63], v[32:33]
	v_fma_f64 v[36:37], v[34:35], s[64:65], v[36:37]
	v_cvt_i32_f64_e32 v34, v[34:35]
	v_mul_f64 v[38:39], v[36:37], s[66:67]
	v_fma_f64 v[36:37], v[36:37], s[68:69], v[38:39]
	v_fma_f64 v[38:39], v[36:37], s[4:5], s[2:3]
	;; [unrolled: 1-line block ×10, first 2 shown]
	v_fma_f64 v[38:39], v[36:37], v[38:39], 1.0
	v_fma_f64 v[36:37], v[36:37], v[38:39], 1.0
	v_ldexp_f64 v[34:35], v[36:37], v34
	v_cndmask_b32_e32 v35, 0x7ff00000, v35, vcc_lo
	s_and_b32 vcc_lo, s0, vcc_lo
	v_cndmask_b32_e32 v32, 0, v34, vcc_lo
	v_add_co_u32 v24, vcc_lo, s14, v24
	v_cndmask_b32_e64 v33, 0, v35, s0
	v_add_co_ci_u32_e64 v25, null, s15, v25, vcc_lo
	v_add_co_u32 v22, vcc_lo, s16, v22
	v_mul_f64 v[30:31], v[30:31], v[32:33]
	v_add_co_ci_u32_e64 v23, null, s17, v23, vcc_lo
	s_mov_b32 s0, 0xd9232955
	s_mov_b32 s1, 0xbf73bd60
	v_mul_f64 v[28:29], v[28:29], v[30:31]
	global_store_dwordx2 v[26:27], v[28:29], off
	global_load_dwordx2 v[26:27], v[24:25], off
	s_waitcnt vmcnt(0)
	v_mul_f64 v[26:27], v[26:27], v[30:31]
	global_load_dwordx2 v[29:30], v[22:23], off
	v_mad_u64_u32 v[22:23], null, s33, 6, v[2:3]
	v_mov_b32_e32 v23, v3
	global_store_dwordx2 v[24:25], v[26:27], off
	v_lshlrev_b64 v[23:24], 3, v[22:23]
	v_add_co_u32 v25, vcc_lo, s12, v23
	v_add_co_ci_u32_e64 v26, null, s13, v24, vcc_lo
	global_load_dwordx2 v[27:28], v[25:26], off
	s_waitcnt vmcnt(0)
	v_div_scale_f64 v[31:32], null, v[27:28], v[27:28], 1.0
	v_rcp_f64_e32 v[33:34], v[31:32]
	v_fma_f64 v[35:36], -v[31:32], v[33:34], 1.0
	v_fma_f64 v[33:34], v[33:34], v[35:36], v[33:34]
	v_fma_f64 v[35:36], -v[31:32], v[33:34], 1.0
	v_fma_f64 v[33:34], v[33:34], v[35:36], v[33:34]
	v_div_scale_f64 v[35:36], vcc_lo, 1.0, v[27:28], 1.0
	v_mul_f64 v[37:38], v[35:36], v[33:34]
	v_fma_f64 v[31:32], -v[31:32], v[37:38], v[35:36]
	v_div_fmas_f64 v[31:32], v[31:32], v[33:34], v[37:38]
	v_div_fixup_f64 v[31:32], v[31:32], v[27:28], 1.0
	v_mul_f64 v[31:32], v[10:11], v[31:32]
	v_mul_f64 v[33:34], v[29:30], v[31:32]
	v_fma_f64 v[29:30], v[29:30], v[31:32], 1.0
	v_div_scale_f64 v[31:32], null, v[29:30], v[29:30], 1.0
	v_rcp_f64_e32 v[35:36], v[31:32]
	v_fma_f64 v[37:38], -v[31:32], v[35:36], 1.0
	v_fma_f64 v[35:36], v[35:36], v[37:38], v[35:36]
	v_fma_f64 v[37:38], -v[31:32], v[35:36], 1.0
	v_fma_f64 v[35:36], v[35:36], v[37:38], v[35:36]
	v_div_scale_f64 v[37:38], vcc_lo, 1.0, v[29:30], 1.0
	v_mul_f64 v[39:40], v[37:38], v[35:36]
	v_fma_f64 v[31:32], -v[31:32], v[39:40], v[37:38]
	v_div_fmas_f64 v[31:32], v[31:32], v[35:36], v[39:40]
	v_div_fixup_f64 v[29:30], v[31:32], v[29:30], 1.0
	v_max_f64 v[31:32], 0x38100000, v[33:34]
	v_mul_f64 v[29:30], v[33:34], v[29:30]
	v_frexp_mant_f64_e32 v[33:34], v[31:32]
	v_frexp_exp_i32_f64_e32 v2, v[31:32]
	v_cmp_gt_f64_e32 vcc_lo, s[52:53], v[33:34]
	v_cndmask_b32_e64 v35, 0, 1, vcc_lo
	v_subrev_co_ci_u32_e64 v2, null, 0, v2, vcc_lo
	v_cmp_neq_f64_e32 vcc_lo, 0x7ff00000, v[31:32]
	v_ldexp_f64 v[33:34], v[33:34], v35
	v_add_f64 v[37:38], v[33:34], 1.0
	v_add_f64 v[35:36], v[33:34], -1.0
	v_add_f64 v[39:40], v[37:38], -1.0
	v_add_f64 v[33:34], v[33:34], -v[39:40]
	v_rcp_f64_e32 v[39:40], v[37:38]
	v_fma_f64 v[41:42], -v[37:38], v[39:40], 1.0
	v_fma_f64 v[39:40], v[41:42], v[39:40], v[39:40]
	v_fma_f64 v[41:42], -v[37:38], v[39:40], 1.0
	v_fma_f64 v[39:40], v[41:42], v[39:40], v[39:40]
	v_mul_f64 v[41:42], v[35:36], v[39:40]
	v_mul_f64 v[43:44], v[37:38], v[41:42]
	v_fma_f64 v[37:38], v[41:42], v[37:38], -v[43:44]
	v_fma_f64 v[33:34], v[41:42], v[33:34], v[37:38]
	v_add_f64 v[37:38], v[43:44], v[33:34]
	v_add_f64 v[45:46], v[35:36], -v[37:38]
	v_add_f64 v[43:44], v[37:38], -v[43:44]
	;; [unrolled: 1-line block ×5, first 2 shown]
	v_add_f64 v[33:34], v[33:34], v[35:36]
	v_add_f64 v[33:34], v[45:46], v[33:34]
	v_mul_f64 v[33:34], v[39:40], v[33:34]
	v_add_f64 v[35:36], v[41:42], v[33:34]
	v_add_f64 v[37:38], v[35:36], -v[41:42]
	v_ldexp_f64 v[41:42], v[35:36], 1
	v_add_f64 v[33:34], v[33:34], -v[37:38]
	v_mul_f64 v[37:38], v[35:36], v[35:36]
	v_ldexp_f64 v[33:34], v[33:34], 1
	v_fma_f64 v[39:40], v[37:38], s[40:41], s[38:39]
	v_mul_f64 v[35:36], v[35:36], v[37:38]
	v_fma_f64 v[39:40], v[37:38], v[39:40], s[42:43]
	v_fma_f64 v[39:40], v[37:38], v[39:40], s[44:45]
	v_fma_f64 v[39:40], v[37:38], v[39:40], s[46:47]
	v_fma_f64 v[39:40], v[37:38], v[39:40], s[48:49]
	v_fma_f64 v[39:40], v[37:38], v[39:40], s[50:51]
	v_mul_f64 v[35:36], v[35:36], v[39:40]
	v_add_f64 v[37:38], v[41:42], v[35:36]
	v_add_f64 v[39:40], v[37:38], -v[41:42]
	v_add_f64 v[35:36], v[35:36], -v[39:40]
	v_add_f64 v[33:34], v[33:34], v[35:36]
	v_add_f64 v[35:36], v[37:38], v[33:34]
	v_add_f64 v[37:38], v[35:36], -v[37:38]
	v_add_f64 v[33:34], v[33:34], -v[37:38]
	v_cvt_f64_i32_e32 v[37:38], v2
	v_mul_f64 v[39:40], v[37:38], s[34:35]
	v_fma_f64 v[41:42], v[37:38], s[34:35], -v[39:40]
	v_fma_f64 v[37:38], v[37:38], s[36:37], v[41:42]
	v_add_f64 v[41:42], v[39:40], v[37:38]
	v_add_f64 v[39:40], v[41:42], -v[39:40]
	v_add_f64 v[37:38], v[37:38], -v[39:40]
	v_mul_f64 v[39:40], v[35:36], s[30:31]
	v_fma_f64 v[43:44], v[35:36], s[30:31], -v[39:40]
	v_fma_f64 v[33:34], v[33:34], s[30:31], v[43:44]
	v_fma_f64 v[33:34], v[35:36], s[28:29], v[33:34]
	v_add_f64 v[35:36], v[39:40], v[33:34]
	v_add_f64 v[39:40], v[35:36], -v[39:40]
	v_add_f64 v[33:34], v[33:34], -v[39:40]
	v_add_f64 v[39:40], v[41:42], v[35:36]
	v_add_f64 v[43:44], v[39:40], -v[41:42]
	v_add_f64 v[45:46], v[39:40], -v[43:44]
	;; [unrolled: 1-line block ×4, first 2 shown]
	v_add_f64 v[35:36], v[35:36], v[41:42]
	v_add_f64 v[41:42], v[37:38], v[33:34]
	v_add_f64 v[43:44], v[41:42], -v[37:38]
	v_add_f64 v[35:36], v[41:42], v[35:36]
	v_add_f64 v[45:46], v[41:42], -v[43:44]
	v_add_f64 v[33:34], v[33:34], -v[43:44]
	;; [unrolled: 1-line block ×3, first 2 shown]
	v_add_f64 v[33:34], v[33:34], v[37:38]
	v_add_f64 v[37:38], v[39:40], v[35:36]
	v_add_f64 v[39:40], v[37:38], -v[39:40]
	v_add_f64 v[35:36], v[35:36], -v[39:40]
	v_add_f64 v[33:34], v[33:34], v[35:36]
	v_add_f64 v[33:34], v[37:38], v[33:34]
	v_cndmask_b32_e32 v32, 0x7ff00000, v34, vcc_lo
	v_cndmask_b32_e32 v31, 0, v33, vcc_lo
	v_mul_f64 v[33:34], v[0:1], s[0:1]
	s_mov_b32 s0, 0x8b439581
	s_mov_b32 s1, 0x3fcbe76c
	v_mul_f64 v[35:36], v[33:34], s[58:59]
	v_cmp_nlt_f64_e32 vcc_lo, 0x40900000, v[33:34]
	v_rndne_f64_e32 v[35:36], v[35:36]
	v_fma_f64 v[37:38], v[35:36], s[56:57], v[33:34]
	v_cvt_i32_f64_e32 v2, v[35:36]
	v_fma_f64 v[37:38], v[35:36], s[54:55], v[37:38]
	v_fma_f64 v[39:40], v[37:38], s[4:5], s[2:3]
	;; [unrolled: 1-line block ×10, first 2 shown]
	v_fma_f64 v[39:40], v[37:38], v[39:40], 1.0
	v_fma_f64 v[37:38], v[37:38], v[39:40], 1.0
	v_ldexp_f64 v[35:36], v[37:38], v2
	v_mul_f64 v[35:36], v[35:36], s[0:1]
	v_cmp_ngt_f64_e64 s0, 0xc090cc00, v[33:34]
	v_cndmask_b32_e32 v2, 0x7ff00000, v36, vcc_lo
	s_and_b32 vcc_lo, s0, vcc_lo
	v_cndmask_b32_e32 v33, 0, v35, vcc_lo
	v_cndmask_b32_e64 v34, 0, v2, s0
	s_mov_b32 s0, 0x60b57f60
	s_mov_b32 s1, 0xbf389c1e
	v_mul_f64 v[35:36], v[0:1], s[0:1]
	s_mov_b32 s0, 0xdd2f1aa0
	s_mov_b32 s1, 0x3fe90624
	v_mul_f64 v[37:38], v[35:36], s[58:59]
	v_cmp_nlt_f64_e32 vcc_lo, 0x40900000, v[35:36]
	v_rndne_f64_e32 v[37:38], v[37:38]
	v_fma_f64 v[39:40], v[37:38], s[56:57], v[35:36]
	v_cvt_i32_f64_e32 v2, v[37:38]
	v_fma_f64 v[39:40], v[37:38], s[54:55], v[39:40]
	v_fma_f64 v[41:42], v[39:40], s[4:5], s[2:3]
	;; [unrolled: 1-line block ×10, first 2 shown]
	v_fma_f64 v[41:42], v[39:40], v[41:42], 1.0
	v_fma_f64 v[39:40], v[39:40], v[41:42], 1.0
	v_ldexp_f64 v[37:38], v[39:40], v2
	v_mul_f64 v[37:38], v[37:38], s[0:1]
	v_cmp_ngt_f64_e64 s0, 0xc090cc00, v[35:36]
	v_cndmask_b32_e32 v2, 0x7ff00000, v38, vcc_lo
	s_and_b32 vcc_lo, s0, vcc_lo
	v_cndmask_b32_e32 v35, 0, v37, vcc_lo
	v_cndmask_b32_e64 v36, 0, v2, s0
	v_add_f64 v[33:34], v[33:34], v[35:36]
	v_mul_f64 v[35:36], 0xc0b7cf00, v[12:13]
	v_mul_f64 v[37:38], v[35:36], s[58:59]
	v_cmp_nlt_f64_e32 vcc_lo, 0x40900000, v[35:36]
	v_cmp_ngt_f64_e64 s0, 0xc090cc00, v[35:36]
	v_rndne_f64_e32 v[37:38], v[37:38]
	v_fma_f64 v[39:40], v[37:38], s[56:57], v[35:36]
	v_cvt_i32_f64_e32 v2, v[37:38]
	v_fma_f64 v[39:40], v[37:38], s[54:55], v[39:40]
	v_fma_f64 v[41:42], v[39:40], s[4:5], s[2:3]
	;; [unrolled: 1-line block ×10, first 2 shown]
	v_fma_f64 v[41:42], v[39:40], v[41:42], 1.0
	v_fma_f64 v[39:40], v[39:40], v[41:42], 1.0
	v_ldexp_f64 v[37:38], v[39:40], v2
	v_cndmask_b32_e32 v2, 0x7ff00000, v38, vcc_lo
	s_and_b32 vcc_lo, s0, vcc_lo
	v_cndmask_b32_e32 v35, 0, v37, vcc_lo
	v_cndmask_b32_e64 v36, 0, v2, s0
	v_add_f64 v[33:34], v[35:36], v[33:34]
	v_max_f64 v[33:34], 0x38100000, v[33:34]
	v_frexp_mant_f64_e32 v[35:36], v[33:34]
	v_frexp_exp_i32_f64_e32 v2, v[33:34]
	v_cmp_gt_f64_e32 vcc_lo, s[52:53], v[35:36]
	v_cndmask_b32_e64 v37, 0, 1, vcc_lo
	v_subrev_co_ci_u32_e64 v2, null, 0, v2, vcc_lo
	v_cmp_neq_f64_e32 vcc_lo, 0x7ff00000, v[33:34]
	v_ldexp_f64 v[35:36], v[35:36], v37
	v_add_f64 v[39:40], v[35:36], 1.0
	v_add_f64 v[37:38], v[35:36], -1.0
	v_add_f64 v[41:42], v[39:40], -1.0
	v_add_f64 v[35:36], v[35:36], -v[41:42]
	v_rcp_f64_e32 v[41:42], v[39:40]
	v_fma_f64 v[43:44], -v[39:40], v[41:42], 1.0
	v_fma_f64 v[41:42], v[43:44], v[41:42], v[41:42]
	v_fma_f64 v[43:44], -v[39:40], v[41:42], 1.0
	v_fma_f64 v[41:42], v[43:44], v[41:42], v[41:42]
	v_mul_f64 v[43:44], v[37:38], v[41:42]
	v_mul_f64 v[45:46], v[39:40], v[43:44]
	v_fma_f64 v[39:40], v[43:44], v[39:40], -v[45:46]
	v_fma_f64 v[35:36], v[43:44], v[35:36], v[39:40]
	v_add_f64 v[39:40], v[45:46], v[35:36]
	v_add_f64 v[47:48], v[37:38], -v[39:40]
	v_add_f64 v[45:46], v[39:40], -v[45:46]
	;; [unrolled: 1-line block ×5, first 2 shown]
	v_add_f64 v[35:36], v[35:36], v[37:38]
	v_add_f64 v[35:36], v[47:48], v[35:36]
	v_mul_f64 v[35:36], v[41:42], v[35:36]
	v_add_f64 v[37:38], v[43:44], v[35:36]
	v_add_f64 v[39:40], v[37:38], -v[43:44]
	v_ldexp_f64 v[43:44], v[37:38], 1
	v_add_f64 v[35:36], v[35:36], -v[39:40]
	v_mul_f64 v[39:40], v[37:38], v[37:38]
	v_ldexp_f64 v[35:36], v[35:36], 1
	v_fma_f64 v[41:42], v[39:40], s[40:41], s[38:39]
	v_mul_f64 v[37:38], v[37:38], v[39:40]
	v_fma_f64 v[41:42], v[39:40], v[41:42], s[42:43]
	v_fma_f64 v[41:42], v[39:40], v[41:42], s[44:45]
	;; [unrolled: 1-line block ×5, first 2 shown]
	v_mul_f64 v[37:38], v[37:38], v[41:42]
	v_add_f64 v[39:40], v[43:44], v[37:38]
	v_add_f64 v[41:42], v[39:40], -v[43:44]
	v_add_f64 v[37:38], v[37:38], -v[41:42]
	v_add_f64 v[35:36], v[35:36], v[37:38]
	v_add_f64 v[37:38], v[39:40], v[35:36]
	v_add_f64 v[39:40], v[37:38], -v[39:40]
	v_add_f64 v[35:36], v[35:36], -v[39:40]
	v_cvt_f64_i32_e32 v[39:40], v2
	v_mul_f64 v[41:42], v[39:40], s[34:35]
	v_fma_f64 v[43:44], v[39:40], s[34:35], -v[41:42]
	v_fma_f64 v[39:40], v[39:40], s[36:37], v[43:44]
	v_add_f64 v[43:44], v[41:42], v[39:40]
	v_add_f64 v[41:42], v[43:44], -v[41:42]
	v_add_f64 v[39:40], v[39:40], -v[41:42]
	v_mul_f64 v[41:42], v[37:38], s[30:31]
	v_fma_f64 v[45:46], v[37:38], s[30:31], -v[41:42]
	v_fma_f64 v[35:36], v[35:36], s[30:31], v[45:46]
	v_fma_f64 v[35:36], v[37:38], s[28:29], v[35:36]
	v_add_f64 v[37:38], v[41:42], v[35:36]
	v_add_f64 v[41:42], v[37:38], -v[41:42]
	v_add_f64 v[35:36], v[35:36], -v[41:42]
	v_add_f64 v[41:42], v[43:44], v[37:38]
	v_add_f64 v[45:46], v[41:42], -v[43:44]
	v_add_f64 v[47:48], v[41:42], -v[45:46]
	;; [unrolled: 1-line block ×4, first 2 shown]
	v_add_f64 v[37:38], v[37:38], v[43:44]
	v_add_f64 v[43:44], v[39:40], v[35:36]
	v_add_f64 v[45:46], v[43:44], -v[39:40]
	v_add_f64 v[37:38], v[43:44], v[37:38]
	v_add_f64 v[47:48], v[43:44], -v[45:46]
	v_add_f64 v[35:36], v[35:36], -v[45:46]
	;; [unrolled: 1-line block ×3, first 2 shown]
	v_add_f64 v[35:36], v[35:36], v[39:40]
	v_add_f64 v[39:40], v[41:42], v[37:38]
	v_add_f64 v[41:42], v[39:40], -v[41:42]
	v_add_f64 v[37:38], v[37:38], -v[41:42]
	v_add_f64 v[35:36], v[35:36], v[37:38]
	v_add_f64 v[35:36], v[39:40], v[35:36]
	v_cndmask_b32_e32 v34, 0x7ff00000, v36, vcc_lo
	v_cndmask_b32_e32 v33, 0, v35, vcc_lo
	v_fma_f64 v[37:38], v[33:34], s[76:77], s[74:75]
	v_fma_f64 v[35:36], v[33:34], s[72:73], 0x3fe80000
	v_add_f64 v[31:32], v[31:32], -v[37:38]
	v_fma_f64 v[35:36], v[31:32], s[70:71], v[35:36]
	v_div_scale_f64 v[37:38], null, v[35:36], v[35:36], 1.0
	v_rcp_f64_e32 v[39:40], v[37:38]
	v_fma_f64 v[41:42], -v[37:38], v[39:40], 1.0
	v_fma_f64 v[39:40], v[39:40], v[41:42], v[39:40]
	v_fma_f64 v[41:42], -v[37:38], v[39:40], 1.0
	v_fma_f64 v[39:40], v[39:40], v[41:42], v[39:40]
	v_div_scale_f64 v[41:42], vcc_lo, 1.0, v[35:36], 1.0
	v_mul_f64 v[43:44], v[41:42], v[39:40]
	v_fma_f64 v[37:38], -v[37:38], v[43:44], v[41:42]
	v_div_fmas_f64 v[37:38], v[37:38], v[39:40], v[43:44]
	v_div_fixup_f64 v[35:36], v[37:38], v[35:36], 1.0
	v_mul_f64 v[31:32], v[31:32], v[35:36]
	v_fma_f64 v[31:32], v[31:32], v[31:32], 1.0
	v_div_scale_f64 v[35:36], null, v[31:32], v[31:32], 1.0
	v_rcp_f64_e32 v[37:38], v[35:36]
	v_fma_f64 v[39:40], -v[35:36], v[37:38], 1.0
	v_fma_f64 v[37:38], v[37:38], v[39:40], v[37:38]
	v_fma_f64 v[39:40], -v[35:36], v[37:38], 1.0
	v_fma_f64 v[37:38], v[37:38], v[39:40], v[37:38]
	v_div_scale_f64 v[39:40], vcc_lo, 1.0, v[31:32], 1.0
	v_mul_f64 v[41:42], v[39:40], v[37:38]
	v_fma_f64 v[35:36], -v[35:36], v[41:42], v[39:40]
	v_div_fmas_f64 v[35:36], v[35:36], v[37:38], v[41:42]
	v_div_fixup_f64 v[31:32], v[35:36], v[31:32], 1.0
	v_mul_f64 v[31:32], v[33:34], v[31:32]
	v_mul_f64 v[33:34], v[31:32], s[60:61]
	v_cmp_nlt_f64_e32 vcc_lo, 0x40900000, v[31:32]
	v_cmp_ngt_f64_e64 s0, 0xc090cc00, v[31:32]
	v_rndne_f64_e32 v[33:34], v[33:34]
	v_fma_f64 v[35:36], v[33:34], s[62:63], v[31:32]
	v_cvt_i32_f64_e32 v2, v[33:34]
	v_fma_f64 v[35:36], v[33:34], s[64:65], v[35:36]
	v_mul_f64 v[37:38], v[35:36], s[66:67]
	v_fma_f64 v[35:36], v[35:36], s[68:69], v[37:38]
	v_fma_f64 v[37:38], v[35:36], s[4:5], s[2:3]
	v_fma_f64 v[37:38], v[35:36], v[37:38], s[6:7]
	v_fma_f64 v[37:38], v[35:36], v[37:38], s[8:9]
	v_fma_f64 v[37:38], v[35:36], v[37:38], s[10:11]
	v_fma_f64 v[37:38], v[35:36], v[37:38], s[18:19]
	v_fma_f64 v[37:38], v[35:36], v[37:38], s[20:21]
	v_fma_f64 v[37:38], v[35:36], v[37:38], s[22:23]
	v_fma_f64 v[37:38], v[35:36], v[37:38], s[24:25]
	v_fma_f64 v[37:38], v[35:36], v[37:38], s[26:27]
	v_fma_f64 v[37:38], v[35:36], v[37:38], 1.0
	v_fma_f64 v[35:36], v[35:36], v[37:38], 1.0
	v_ldexp_f64 v[33:34], v[35:36], v2
	v_cndmask_b32_e32 v2, 0x7ff00000, v34, vcc_lo
	s_and_b32 vcc_lo, s0, vcc_lo
	v_cndmask_b32_e32 v31, 0, v33, vcc_lo
	v_add_co_u32 v23, vcc_lo, s14, v23
	v_cndmask_b32_e64 v32, 0, v2, s0
	v_add_co_ci_u32_e64 v24, null, s15, v24, vcc_lo
	v_add_co_u32 v20, vcc_lo, s16, v20
	v_mul_f64 v[29:30], v[29:30], v[31:32]
	v_add_co_ci_u32_e64 v21, null, s17, v21, vcc_lo
	s_mov_b32 s0, 0x79fc1abc
	s_mov_b32 s1, 0xbf48715a
	v_mul_f64 v[27:28], v[27:28], v[29:30]
	global_store_dwordx2 v[25:26], v[27:28], off
	global_load_dwordx2 v[25:26], v[23:24], off
	global_load_dwordx2 v[27:28], v[20:21], off
	v_mad_u64_u32 v[20:21], null, s33, 13, v[22:23]
	v_mov_b32_e32 v21, v3
	v_lshlrev_b64 v[21:22], 3, v[20:21]
	s_waitcnt vmcnt(1)
	v_mul_f64 v[25:26], v[25:26], v[29:30]
	global_store_dwordx2 v[23:24], v[25:26], off
	v_add_co_u32 v23, vcc_lo, s12, v21
	v_add_co_ci_u32_e64 v24, null, s13, v22, vcc_lo
	global_load_dwordx2 v[25:26], v[23:24], off
	s_waitcnt vmcnt(0)
	v_div_scale_f64 v[29:30], null, v[25:26], v[25:26], 1.0
	v_rcp_f64_e32 v[31:32], v[29:30]
	v_fma_f64 v[33:34], -v[29:30], v[31:32], 1.0
	v_fma_f64 v[31:32], v[31:32], v[33:34], v[31:32]
	v_fma_f64 v[33:34], -v[29:30], v[31:32], 1.0
	v_fma_f64 v[31:32], v[31:32], v[33:34], v[31:32]
	v_div_scale_f64 v[33:34], vcc_lo, 1.0, v[25:26], 1.0
	v_mul_f64 v[35:36], v[33:34], v[31:32]
	v_fma_f64 v[29:30], -v[29:30], v[35:36], v[33:34]
	v_div_fmas_f64 v[29:30], v[29:30], v[31:32], v[35:36]
	v_div_fixup_f64 v[29:30], v[29:30], v[25:26], 1.0
	v_mul_f64 v[29:30], v[10:11], v[29:30]
	v_mul_f64 v[31:32], v[27:28], v[29:30]
	v_fma_f64 v[27:28], v[27:28], v[29:30], 1.0
	v_div_scale_f64 v[29:30], null, v[27:28], v[27:28], 1.0
	v_rcp_f64_e32 v[33:34], v[29:30]
	v_fma_f64 v[35:36], -v[29:30], v[33:34], 1.0
	v_fma_f64 v[33:34], v[33:34], v[35:36], v[33:34]
	v_fma_f64 v[35:36], -v[29:30], v[33:34], 1.0
	v_fma_f64 v[33:34], v[33:34], v[35:36], v[33:34]
	v_div_scale_f64 v[35:36], vcc_lo, 1.0, v[27:28], 1.0
	v_mul_f64 v[37:38], v[35:36], v[33:34]
	v_fma_f64 v[29:30], -v[29:30], v[37:38], v[35:36]
	v_div_fmas_f64 v[29:30], v[29:30], v[33:34], v[37:38]
	v_div_fixup_f64 v[27:28], v[29:30], v[27:28], 1.0
	v_max_f64 v[29:30], 0x38100000, v[31:32]
	v_mul_f64 v[27:28], v[31:32], v[27:28]
	v_frexp_mant_f64_e32 v[31:32], v[29:30]
	v_frexp_exp_i32_f64_e32 v2, v[29:30]
	v_cmp_gt_f64_e32 vcc_lo, s[52:53], v[31:32]
	v_cndmask_b32_e64 v33, 0, 1, vcc_lo
	v_subrev_co_ci_u32_e64 v2, null, 0, v2, vcc_lo
	v_cmp_neq_f64_e32 vcc_lo, 0x7ff00000, v[29:30]
	v_ldexp_f64 v[31:32], v[31:32], v33
	v_add_f64 v[35:36], v[31:32], 1.0
	v_add_f64 v[33:34], v[31:32], -1.0
	v_add_f64 v[37:38], v[35:36], -1.0
	v_add_f64 v[31:32], v[31:32], -v[37:38]
	v_rcp_f64_e32 v[37:38], v[35:36]
	v_fma_f64 v[39:40], -v[35:36], v[37:38], 1.0
	v_fma_f64 v[37:38], v[39:40], v[37:38], v[37:38]
	v_fma_f64 v[39:40], -v[35:36], v[37:38], 1.0
	v_fma_f64 v[37:38], v[39:40], v[37:38], v[37:38]
	v_mul_f64 v[39:40], v[33:34], v[37:38]
	v_mul_f64 v[41:42], v[35:36], v[39:40]
	v_fma_f64 v[35:36], v[39:40], v[35:36], -v[41:42]
	v_fma_f64 v[31:32], v[39:40], v[31:32], v[35:36]
	v_add_f64 v[35:36], v[41:42], v[31:32]
	v_add_f64 v[43:44], v[33:34], -v[35:36]
	v_add_f64 v[41:42], v[35:36], -v[41:42]
	;; [unrolled: 1-line block ×5, first 2 shown]
	v_add_f64 v[31:32], v[31:32], v[33:34]
	v_add_f64 v[31:32], v[43:44], v[31:32]
	v_mul_f64 v[31:32], v[37:38], v[31:32]
	v_add_f64 v[33:34], v[39:40], v[31:32]
	v_add_f64 v[35:36], v[33:34], -v[39:40]
	v_ldexp_f64 v[39:40], v[33:34], 1
	v_add_f64 v[31:32], v[31:32], -v[35:36]
	v_mul_f64 v[35:36], v[33:34], v[33:34]
	v_ldexp_f64 v[31:32], v[31:32], 1
	v_fma_f64 v[37:38], v[35:36], s[40:41], s[38:39]
	v_mul_f64 v[33:34], v[33:34], v[35:36]
	v_fma_f64 v[37:38], v[35:36], v[37:38], s[42:43]
	v_fma_f64 v[37:38], v[35:36], v[37:38], s[44:45]
	;; [unrolled: 1-line block ×5, first 2 shown]
	v_mul_f64 v[33:34], v[33:34], v[37:38]
	v_add_f64 v[35:36], v[39:40], v[33:34]
	v_add_f64 v[37:38], v[35:36], -v[39:40]
	v_add_f64 v[33:34], v[33:34], -v[37:38]
	v_add_f64 v[31:32], v[31:32], v[33:34]
	v_add_f64 v[33:34], v[35:36], v[31:32]
	v_add_f64 v[35:36], v[33:34], -v[35:36]
	v_add_f64 v[31:32], v[31:32], -v[35:36]
	v_cvt_f64_i32_e32 v[35:36], v2
	v_mul_f64 v[37:38], v[35:36], s[34:35]
	v_fma_f64 v[39:40], v[35:36], s[34:35], -v[37:38]
	v_fma_f64 v[35:36], v[35:36], s[36:37], v[39:40]
	v_add_f64 v[39:40], v[37:38], v[35:36]
	v_add_f64 v[37:38], v[39:40], -v[37:38]
	v_add_f64 v[35:36], v[35:36], -v[37:38]
	v_mul_f64 v[37:38], v[33:34], s[30:31]
	v_fma_f64 v[41:42], v[33:34], s[30:31], -v[37:38]
	v_fma_f64 v[31:32], v[31:32], s[30:31], v[41:42]
	v_fma_f64 v[31:32], v[33:34], s[28:29], v[31:32]
	v_add_f64 v[33:34], v[37:38], v[31:32]
	v_add_f64 v[37:38], v[33:34], -v[37:38]
	v_add_f64 v[31:32], v[31:32], -v[37:38]
	v_add_f64 v[37:38], v[39:40], v[33:34]
	v_add_f64 v[41:42], v[37:38], -v[39:40]
	v_add_f64 v[43:44], v[37:38], -v[41:42]
	;; [unrolled: 1-line block ×4, first 2 shown]
	v_add_f64 v[33:34], v[33:34], v[39:40]
	v_add_f64 v[39:40], v[35:36], v[31:32]
	v_add_f64 v[41:42], v[39:40], -v[35:36]
	v_add_f64 v[33:34], v[39:40], v[33:34]
	v_add_f64 v[43:44], v[39:40], -v[41:42]
	v_add_f64 v[31:32], v[31:32], -v[41:42]
	;; [unrolled: 1-line block ×3, first 2 shown]
	v_add_f64 v[31:32], v[31:32], v[35:36]
	v_add_f64 v[35:36], v[37:38], v[33:34]
	v_add_f64 v[37:38], v[35:36], -v[37:38]
	v_add_f64 v[33:34], v[33:34], -v[37:38]
	v_add_f64 v[31:32], v[31:32], v[33:34]
	v_add_f64 v[31:32], v[35:36], v[31:32]
	v_cndmask_b32_e32 v30, 0x7ff00000, v32, vcc_lo
	v_cndmask_b32_e32 v29, 0, v31, vcc_lo
	v_mul_f64 v[31:32], v[0:1], s[0:1]
	v_mul_f64 v[33:34], v[31:32], s[58:59]
	v_cmp_nlt_f64_e32 vcc_lo, 0x40900000, v[31:32]
	v_cmp_ngt_f64_e64 s0, 0xc090cc00, v[31:32]
	v_rndne_f64_e32 v[33:34], v[33:34]
	v_fma_f64 v[35:36], v[33:34], s[56:57], v[31:32]
	v_cvt_i32_f64_e32 v2, v[33:34]
	v_fma_f64 v[35:36], v[33:34], s[54:55], v[35:36]
	v_fma_f64 v[37:38], v[35:36], s[4:5], s[2:3]
	;; [unrolled: 1-line block ×10, first 2 shown]
	v_fma_f64 v[37:38], v[35:36], v[37:38], 1.0
	v_fma_f64 v[35:36], v[35:36], v[37:38], 1.0
	v_ldexp_f64 v[33:34], v[35:36], v2
	v_mul_f64 v[33:34], v[33:34], s[82:83]
	s_mov_b32 s83, 0x3fc66666
	v_cndmask_b32_e32 v2, 0x7ff00000, v34, vcc_lo
	s_and_b32 vcc_lo, s0, vcc_lo
	v_cndmask_b32_e32 v31, 0, v33, vcc_lo
	v_cndmask_b32_e64 v32, 0, v2, s0
	s_mov_b32 s0, 0x9cbd821e
	s_mov_b32 s1, 0xbef179ec
	v_mul_f64 v[33:34], v[0:1], s[0:1]
	v_mul_f64 v[35:36], v[33:34], s[58:59]
	v_cmp_nlt_f64_e32 vcc_lo, 0x40900000, v[33:34]
	v_cmp_ngt_f64_e64 s0, 0xc090cc00, v[33:34]
	v_rndne_f64_e32 v[35:36], v[35:36]
	v_fma_f64 v[37:38], v[35:36], s[56:57], v[33:34]
	v_cvt_i32_f64_e32 v2, v[35:36]
	v_fma_f64 v[37:38], v[35:36], s[54:55], v[37:38]
	v_fma_f64 v[39:40], v[37:38], s[4:5], s[2:3]
	;; [unrolled: 1-line block ×10, first 2 shown]
	v_fma_f64 v[39:40], v[37:38], v[39:40], 1.0
	v_fma_f64 v[37:38], v[37:38], v[39:40], 1.0
	v_ldexp_f64 v[35:36], v[37:38], v2
	v_mul_f64 v[35:36], v[35:36], s[82:83]
	s_mov_b32 s83, 0xc0c3cde6
	v_cndmask_b32_e32 v2, 0x7ff00000, v36, vcc_lo
	s_and_b32 vcc_lo, s0, vcc_lo
	v_cndmask_b32_e32 v33, 0, v35, vcc_lo
	v_cndmask_b32_e64 v34, 0, v2, s0
	v_add_f64 v[31:32], v[31:32], v[33:34]
	v_mul_f64 v[33:34], v[12:13], s[82:83]
	v_mul_f64 v[35:36], v[33:34], s[58:59]
	v_cmp_nlt_f64_e32 vcc_lo, 0x40900000, v[33:34]
	v_cmp_ngt_f64_e64 s0, 0xc090cc00, v[33:34]
	v_rndne_f64_e32 v[35:36], v[35:36]
	v_fma_f64 v[37:38], v[35:36], s[56:57], v[33:34]
	v_cvt_i32_f64_e32 v2, v[35:36]
	v_fma_f64 v[37:38], v[35:36], s[54:55], v[37:38]
	v_fma_f64 v[39:40], v[37:38], s[4:5], s[2:3]
	;; [unrolled: 1-line block ×10, first 2 shown]
	v_fma_f64 v[39:40], v[37:38], v[39:40], 1.0
	v_fma_f64 v[37:38], v[37:38], v[39:40], 1.0
	v_ldexp_f64 v[35:36], v[37:38], v2
	v_cndmask_b32_e32 v2, 0x7ff00000, v36, vcc_lo
	s_and_b32 vcc_lo, s0, vcc_lo
	v_cndmask_b32_e32 v33, 0, v35, vcc_lo
	v_cndmask_b32_e64 v34, 0, v2, s0
	v_add_f64 v[31:32], v[33:34], v[31:32]
	v_max_f64 v[31:32], 0x38100000, v[31:32]
	v_frexp_mant_f64_e32 v[33:34], v[31:32]
	v_frexp_exp_i32_f64_e32 v2, v[31:32]
	v_cmp_gt_f64_e32 vcc_lo, s[52:53], v[33:34]
	v_cndmask_b32_e64 v35, 0, 1, vcc_lo
	v_subrev_co_ci_u32_e64 v2, null, 0, v2, vcc_lo
	v_cmp_neq_f64_e32 vcc_lo, 0x7ff00000, v[31:32]
	v_ldexp_f64 v[33:34], v[33:34], v35
	v_add_f64 v[37:38], v[33:34], 1.0
	v_add_f64 v[35:36], v[33:34], -1.0
	v_add_f64 v[39:40], v[37:38], -1.0
	v_add_f64 v[33:34], v[33:34], -v[39:40]
	v_rcp_f64_e32 v[39:40], v[37:38]
	v_fma_f64 v[41:42], -v[37:38], v[39:40], 1.0
	v_fma_f64 v[39:40], v[41:42], v[39:40], v[39:40]
	v_fma_f64 v[41:42], -v[37:38], v[39:40], 1.0
	v_fma_f64 v[39:40], v[41:42], v[39:40], v[39:40]
	v_mul_f64 v[41:42], v[35:36], v[39:40]
	v_mul_f64 v[43:44], v[37:38], v[41:42]
	v_fma_f64 v[37:38], v[41:42], v[37:38], -v[43:44]
	v_fma_f64 v[33:34], v[41:42], v[33:34], v[37:38]
	v_add_f64 v[37:38], v[43:44], v[33:34]
	v_add_f64 v[45:46], v[35:36], -v[37:38]
	v_add_f64 v[43:44], v[37:38], -v[43:44]
	;; [unrolled: 1-line block ×5, first 2 shown]
	v_add_f64 v[33:34], v[33:34], v[35:36]
	v_add_f64 v[33:34], v[45:46], v[33:34]
	v_mul_f64 v[33:34], v[39:40], v[33:34]
	v_add_f64 v[35:36], v[41:42], v[33:34]
	v_add_f64 v[37:38], v[35:36], -v[41:42]
	v_ldexp_f64 v[41:42], v[35:36], 1
	v_add_f64 v[33:34], v[33:34], -v[37:38]
	v_mul_f64 v[37:38], v[35:36], v[35:36]
	v_ldexp_f64 v[33:34], v[33:34], 1
	v_fma_f64 v[39:40], v[37:38], s[40:41], s[38:39]
	v_mul_f64 v[35:36], v[35:36], v[37:38]
	v_fma_f64 v[39:40], v[37:38], v[39:40], s[42:43]
	v_fma_f64 v[39:40], v[37:38], v[39:40], s[44:45]
	;; [unrolled: 1-line block ×5, first 2 shown]
	v_mul_f64 v[35:36], v[35:36], v[39:40]
	v_add_f64 v[37:38], v[41:42], v[35:36]
	v_add_f64 v[39:40], v[37:38], -v[41:42]
	v_add_f64 v[35:36], v[35:36], -v[39:40]
	v_add_f64 v[33:34], v[33:34], v[35:36]
	v_add_f64 v[35:36], v[37:38], v[33:34]
	v_add_f64 v[37:38], v[35:36], -v[37:38]
	v_add_f64 v[33:34], v[33:34], -v[37:38]
	v_cvt_f64_i32_e32 v[37:38], v2
	v_mul_f64 v[39:40], v[37:38], s[34:35]
	v_fma_f64 v[41:42], v[37:38], s[34:35], -v[39:40]
	v_fma_f64 v[37:38], v[37:38], s[36:37], v[41:42]
	v_add_f64 v[41:42], v[39:40], v[37:38]
	v_add_f64 v[39:40], v[41:42], -v[39:40]
	v_add_f64 v[37:38], v[37:38], -v[39:40]
	v_mul_f64 v[39:40], v[35:36], s[30:31]
	v_fma_f64 v[43:44], v[35:36], s[30:31], -v[39:40]
	v_fma_f64 v[33:34], v[33:34], s[30:31], v[43:44]
	v_fma_f64 v[33:34], v[35:36], s[28:29], v[33:34]
	v_add_f64 v[35:36], v[39:40], v[33:34]
	v_add_f64 v[39:40], v[35:36], -v[39:40]
	v_add_f64 v[33:34], v[33:34], -v[39:40]
	v_add_f64 v[39:40], v[41:42], v[35:36]
	v_add_f64 v[43:44], v[39:40], -v[41:42]
	v_add_f64 v[45:46], v[39:40], -v[43:44]
	;; [unrolled: 1-line block ×4, first 2 shown]
	v_add_f64 v[35:36], v[35:36], v[41:42]
	v_add_f64 v[41:42], v[37:38], v[33:34]
	v_add_f64 v[43:44], v[41:42], -v[37:38]
	v_add_f64 v[35:36], v[41:42], v[35:36]
	v_add_f64 v[45:46], v[41:42], -v[43:44]
	v_add_f64 v[33:34], v[33:34], -v[43:44]
	;; [unrolled: 1-line block ×3, first 2 shown]
	v_add_f64 v[33:34], v[33:34], v[37:38]
	v_add_f64 v[37:38], v[39:40], v[35:36]
	v_add_f64 v[39:40], v[37:38], -v[39:40]
	v_add_f64 v[35:36], v[35:36], -v[39:40]
	v_add_f64 v[33:34], v[33:34], v[35:36]
	v_add_f64 v[33:34], v[37:38], v[33:34]
	v_cndmask_b32_e32 v32, 0x7ff00000, v34, vcc_lo
	v_cndmask_b32_e32 v31, 0, v33, vcc_lo
	v_fma_f64 v[35:36], v[31:32], s[76:77], s[74:75]
	v_fma_f64 v[33:34], v[31:32], s[72:73], 0x3fe80000
	v_add_f64 v[29:30], v[29:30], -v[35:36]
	v_fma_f64 v[33:34], v[29:30], s[70:71], v[33:34]
	v_div_scale_f64 v[35:36], null, v[33:34], v[33:34], 1.0
	v_rcp_f64_e32 v[37:38], v[35:36]
	v_fma_f64 v[39:40], -v[35:36], v[37:38], 1.0
	v_fma_f64 v[37:38], v[37:38], v[39:40], v[37:38]
	v_fma_f64 v[39:40], -v[35:36], v[37:38], 1.0
	v_fma_f64 v[37:38], v[37:38], v[39:40], v[37:38]
	v_div_scale_f64 v[39:40], vcc_lo, 1.0, v[33:34], 1.0
	v_mul_f64 v[41:42], v[39:40], v[37:38]
	v_fma_f64 v[35:36], -v[35:36], v[41:42], v[39:40]
	v_div_fmas_f64 v[35:36], v[35:36], v[37:38], v[41:42]
	v_div_fixup_f64 v[33:34], v[35:36], v[33:34], 1.0
	v_mul_f64 v[29:30], v[29:30], v[33:34]
	v_fma_f64 v[29:30], v[29:30], v[29:30], 1.0
	v_div_scale_f64 v[33:34], null, v[29:30], v[29:30], 1.0
	v_rcp_f64_e32 v[35:36], v[33:34]
	v_fma_f64 v[37:38], -v[33:34], v[35:36], 1.0
	v_fma_f64 v[35:36], v[35:36], v[37:38], v[35:36]
	v_fma_f64 v[37:38], -v[33:34], v[35:36], 1.0
	v_fma_f64 v[35:36], v[35:36], v[37:38], v[35:36]
	v_div_scale_f64 v[37:38], vcc_lo, 1.0, v[29:30], 1.0
	v_mul_f64 v[39:40], v[37:38], v[35:36]
	v_fma_f64 v[33:34], -v[33:34], v[39:40], v[37:38]
	v_div_fmas_f64 v[33:34], v[33:34], v[35:36], v[39:40]
	v_div_fixup_f64 v[29:30], v[33:34], v[29:30], 1.0
	v_mul_f64 v[29:30], v[31:32], v[29:30]
	v_mul_f64 v[31:32], v[29:30], s[60:61]
	v_cmp_nlt_f64_e32 vcc_lo, 0x40900000, v[29:30]
	v_cmp_ngt_f64_e64 s0, 0xc090cc00, v[29:30]
	v_rndne_f64_e32 v[31:32], v[31:32]
	v_fma_f64 v[33:34], v[31:32], s[62:63], v[29:30]
	v_cvt_i32_f64_e32 v2, v[31:32]
	v_fma_f64 v[33:34], v[31:32], s[64:65], v[33:34]
	v_mul_f64 v[35:36], v[33:34], s[66:67]
	v_fma_f64 v[33:34], v[33:34], s[68:69], v[35:36]
	v_fma_f64 v[35:36], v[33:34], s[4:5], s[2:3]
	;; [unrolled: 1-line block ×10, first 2 shown]
	v_fma_f64 v[35:36], v[33:34], v[35:36], 1.0
	v_fma_f64 v[33:34], v[33:34], v[35:36], 1.0
	v_ldexp_f64 v[31:32], v[33:34], v2
	v_cndmask_b32_e32 v2, 0x7ff00000, v32, vcc_lo
	s_and_b32 vcc_lo, s0, vcc_lo
	v_cndmask_b32_e32 v29, 0, v31, vcc_lo
	v_add_co_u32 v21, vcc_lo, s14, v21
	v_cndmask_b32_e64 v30, 0, v2, s0
	v_add_co_ci_u32_e64 v22, null, s15, v22, vcc_lo
	v_add_co_u32 v18, vcc_lo, s16, v18
	v_mul_f64 v[27:28], v[27:28], v[29:30]
	v_add_co_ci_u32_e64 v19, null, s17, v19, vcc_lo
	s_mov_b32 s0, 0x6156683e
	s_mov_b32 s1, 0xbf1d7452
	v_mul_f64 v[25:26], v[25:26], v[27:28]
	global_store_dwordx2 v[23:24], v[25:26], off
	global_load_dwordx2 v[23:24], v[21:22], off
	global_load_dwordx2 v[25:26], v[18:19], off
	v_mad_u64_u32 v[18:19], null, s33, 3, v[20:21]
	v_mov_b32_e32 v19, v3
	v_lshlrev_b64 v[19:20], 3, v[18:19]
	s_waitcnt vmcnt(1)
	v_mul_f64 v[23:24], v[23:24], v[27:28]
	global_store_dwordx2 v[21:22], v[23:24], off
	v_add_co_u32 v21, vcc_lo, s12, v19
	v_add_co_ci_u32_e64 v22, null, s13, v20, vcc_lo
	global_load_dwordx2 v[23:24], v[21:22], off
	s_waitcnt vmcnt(0)
	v_div_scale_f64 v[27:28], null, v[23:24], v[23:24], 1.0
	v_rcp_f64_e32 v[29:30], v[27:28]
	v_fma_f64 v[31:32], -v[27:28], v[29:30], 1.0
	v_fma_f64 v[29:30], v[29:30], v[31:32], v[29:30]
	v_fma_f64 v[31:32], -v[27:28], v[29:30], 1.0
	v_fma_f64 v[29:30], v[29:30], v[31:32], v[29:30]
	v_div_scale_f64 v[31:32], vcc_lo, 1.0, v[23:24], 1.0
	v_mul_f64 v[33:34], v[31:32], v[29:30]
	v_fma_f64 v[27:28], -v[27:28], v[33:34], v[31:32]
	v_div_fmas_f64 v[27:28], v[27:28], v[29:30], v[33:34]
	v_div_fixup_f64 v[27:28], v[27:28], v[23:24], 1.0
	v_mul_f64 v[27:28], v[10:11], v[27:28]
	v_mul_f64 v[29:30], v[25:26], v[27:28]
	v_fma_f64 v[25:26], v[25:26], v[27:28], 1.0
	v_div_scale_f64 v[27:28], null, v[25:26], v[25:26], 1.0
	v_rcp_f64_e32 v[31:32], v[27:28]
	v_fma_f64 v[33:34], -v[27:28], v[31:32], 1.0
	v_fma_f64 v[31:32], v[31:32], v[33:34], v[31:32]
	v_fma_f64 v[33:34], -v[27:28], v[31:32], 1.0
	v_fma_f64 v[31:32], v[31:32], v[33:34], v[31:32]
	v_div_scale_f64 v[33:34], vcc_lo, 1.0, v[25:26], 1.0
	v_mul_f64 v[35:36], v[33:34], v[31:32]
	v_fma_f64 v[27:28], -v[27:28], v[35:36], v[33:34]
	v_div_fmas_f64 v[27:28], v[27:28], v[31:32], v[35:36]
	v_div_fixup_f64 v[25:26], v[27:28], v[25:26], 1.0
	v_max_f64 v[27:28], 0x38100000, v[29:30]
	v_mul_f64 v[25:26], v[29:30], v[25:26]
	v_frexp_mant_f64_e32 v[29:30], v[27:28]
	v_frexp_exp_i32_f64_e32 v2, v[27:28]
	v_cmp_gt_f64_e32 vcc_lo, s[52:53], v[29:30]
	v_cndmask_b32_e64 v31, 0, 1, vcc_lo
	v_subrev_co_ci_u32_e64 v2, null, 0, v2, vcc_lo
	v_cmp_neq_f64_e32 vcc_lo, 0x7ff00000, v[27:28]
	v_ldexp_f64 v[29:30], v[29:30], v31
	v_add_f64 v[33:34], v[29:30], 1.0
	v_add_f64 v[31:32], v[29:30], -1.0
	v_add_f64 v[35:36], v[33:34], -1.0
	v_add_f64 v[29:30], v[29:30], -v[35:36]
	v_rcp_f64_e32 v[35:36], v[33:34]
	v_fma_f64 v[37:38], -v[33:34], v[35:36], 1.0
	v_fma_f64 v[35:36], v[37:38], v[35:36], v[35:36]
	v_fma_f64 v[37:38], -v[33:34], v[35:36], 1.0
	v_fma_f64 v[35:36], v[37:38], v[35:36], v[35:36]
	v_mul_f64 v[37:38], v[31:32], v[35:36]
	v_mul_f64 v[39:40], v[33:34], v[37:38]
	v_fma_f64 v[33:34], v[37:38], v[33:34], -v[39:40]
	v_fma_f64 v[29:30], v[37:38], v[29:30], v[33:34]
	v_add_f64 v[33:34], v[39:40], v[29:30]
	v_add_f64 v[41:42], v[31:32], -v[33:34]
	v_add_f64 v[39:40], v[33:34], -v[39:40]
	;; [unrolled: 1-line block ×5, first 2 shown]
	v_add_f64 v[29:30], v[29:30], v[31:32]
	v_add_f64 v[29:30], v[41:42], v[29:30]
	v_mul_f64 v[29:30], v[35:36], v[29:30]
	v_add_f64 v[31:32], v[37:38], v[29:30]
	v_add_f64 v[33:34], v[31:32], -v[37:38]
	v_ldexp_f64 v[37:38], v[31:32], 1
	v_add_f64 v[29:30], v[29:30], -v[33:34]
	v_mul_f64 v[33:34], v[31:32], v[31:32]
	v_ldexp_f64 v[29:30], v[29:30], 1
	v_fma_f64 v[35:36], v[33:34], s[40:41], s[38:39]
	v_mul_f64 v[31:32], v[31:32], v[33:34]
	v_fma_f64 v[35:36], v[33:34], v[35:36], s[42:43]
	v_fma_f64 v[35:36], v[33:34], v[35:36], s[44:45]
	;; [unrolled: 1-line block ×5, first 2 shown]
	v_mul_f64 v[31:32], v[31:32], v[35:36]
	v_add_f64 v[33:34], v[37:38], v[31:32]
	v_add_f64 v[35:36], v[33:34], -v[37:38]
	v_add_f64 v[31:32], v[31:32], -v[35:36]
	v_add_f64 v[29:30], v[29:30], v[31:32]
	v_add_f64 v[31:32], v[33:34], v[29:30]
	v_add_f64 v[33:34], v[31:32], -v[33:34]
	v_add_f64 v[29:30], v[29:30], -v[33:34]
	v_cvt_f64_i32_e32 v[33:34], v2
	v_mul_f64 v[35:36], v[33:34], s[34:35]
	v_fma_f64 v[37:38], v[33:34], s[34:35], -v[35:36]
	v_fma_f64 v[33:34], v[33:34], s[36:37], v[37:38]
	v_add_f64 v[37:38], v[35:36], v[33:34]
	v_add_f64 v[35:36], v[37:38], -v[35:36]
	v_add_f64 v[33:34], v[33:34], -v[35:36]
	v_mul_f64 v[35:36], v[31:32], s[30:31]
	v_fma_f64 v[39:40], v[31:32], s[30:31], -v[35:36]
	v_fma_f64 v[29:30], v[29:30], s[30:31], v[39:40]
	v_fma_f64 v[29:30], v[31:32], s[28:29], v[29:30]
	v_add_f64 v[31:32], v[35:36], v[29:30]
	v_add_f64 v[35:36], v[31:32], -v[35:36]
	v_add_f64 v[29:30], v[29:30], -v[35:36]
	v_add_f64 v[35:36], v[37:38], v[31:32]
	v_add_f64 v[39:40], v[35:36], -v[37:38]
	v_add_f64 v[41:42], v[35:36], -v[39:40]
	v_add_f64 v[31:32], v[31:32], -v[39:40]
	v_add_f64 v[37:38], v[37:38], -v[41:42]
	v_add_f64 v[31:32], v[31:32], v[37:38]
	v_add_f64 v[37:38], v[33:34], v[29:30]
	v_add_f64 v[39:40], v[37:38], -v[33:34]
	v_add_f64 v[31:32], v[37:38], v[31:32]
	v_add_f64 v[41:42], v[37:38], -v[39:40]
	v_add_f64 v[29:30], v[29:30], -v[39:40]
	;; [unrolled: 1-line block ×3, first 2 shown]
	v_add_f64 v[29:30], v[29:30], v[33:34]
	v_add_f64 v[33:34], v[35:36], v[31:32]
	v_add_f64 v[35:36], v[33:34], -v[35:36]
	v_add_f64 v[31:32], v[31:32], -v[35:36]
	v_add_f64 v[29:30], v[29:30], v[31:32]
	v_add_f64 v[29:30], v[33:34], v[29:30]
	v_cndmask_b32_e32 v28, 0x7ff00000, v30, vcc_lo
	v_cndmask_b32_e32 v27, 0, v29, vcc_lo
	v_mul_f64 v[29:30], v[0:1], s[0:1]
	v_mul_f64 v[31:32], v[29:30], s[58:59]
	v_cmp_nlt_f64_e32 vcc_lo, 0x40900000, v[29:30]
	v_cmp_ngt_f64_e64 s0, 0xc090cc00, v[29:30]
	v_rndne_f64_e32 v[31:32], v[31:32]
	v_fma_f64 v[33:34], v[31:32], s[56:57], v[29:30]
	v_cvt_i32_f64_e32 v2, v[31:32]
	v_fma_f64 v[33:34], v[31:32], s[54:55], v[33:34]
	v_fma_f64 v[35:36], v[33:34], s[4:5], s[2:3]
	;; [unrolled: 1-line block ×10, first 2 shown]
	v_fma_f64 v[35:36], v[33:34], v[35:36], 1.0
	v_fma_f64 v[33:34], v[33:34], v[35:36], 1.0
	v_ldexp_f64 v[31:32], v[33:34], v2
	v_mul_f64 v[31:32], v[31:32], s[80:81]
	s_mov_b32 s81, 0xbf80624d
	s_mov_b32 s80, 0xd2f1a9fc
	v_cndmask_b32_e32 v2, 0x7ff00000, v32, vcc_lo
	s_and_b32 vcc_lo, s0, vcc_lo
	v_cndmask_b32_e32 v29, 0, v31, vcc_lo
	v_cndmask_b32_e64 v30, 0, v2, s0
	s_mov_b32 s0, 0x9b7bb433
	s_mov_b32 s1, 0xbf2e21a9
	v_mul_f64 v[31:32], v[0:1], s[0:1]
	s_mov_b32 s1, 0x3fe19999
	s_mov_b32 s0, s74
	v_mul_f64 v[33:34], v[31:32], s[58:59]
	v_cmp_nlt_f64_e32 vcc_lo, 0x40900000, v[31:32]
	v_rndne_f64_e32 v[33:34], v[33:34]
	v_fma_f64 v[35:36], v[33:34], s[56:57], v[31:32]
	v_cvt_i32_f64_e32 v2, v[33:34]
	v_fma_f64 v[35:36], v[33:34], s[54:55], v[35:36]
	v_fma_f64 v[37:38], v[35:36], s[4:5], s[2:3]
	;; [unrolled: 1-line block ×10, first 2 shown]
	v_fma_f64 v[37:38], v[35:36], v[37:38], 1.0
	v_fma_f64 v[35:36], v[35:36], v[37:38], 1.0
	v_ldexp_f64 v[33:34], v[35:36], v2
	v_mul_f64 v[33:34], v[33:34], s[0:1]
	v_cmp_ngt_f64_e64 s0, 0xc090cc00, v[31:32]
	v_cndmask_b32_e32 v2, 0x7ff00000, v34, vcc_lo
	s_and_b32 vcc_lo, s0, vcc_lo
	v_cndmask_b32_e32 v31, 0, v33, vcc_lo
	v_cndmask_b32_e64 v32, 0, v2, s0
	v_add_f64 v[29:30], v[29:30], v[31:32]
	v_mul_f64 v[31:32], 0xc0bc4c00, v[12:13]
	v_mul_f64 v[33:34], v[31:32], s[58:59]
	v_cmp_nlt_f64_e32 vcc_lo, 0x40900000, v[31:32]
	v_cmp_ngt_f64_e64 s0, 0xc090cc00, v[31:32]
	v_rndne_f64_e32 v[33:34], v[33:34]
	v_fma_f64 v[35:36], v[33:34], s[56:57], v[31:32]
	v_cvt_i32_f64_e32 v2, v[33:34]
	v_fma_f64 v[35:36], v[33:34], s[54:55], v[35:36]
	v_fma_f64 v[37:38], v[35:36], s[4:5], s[2:3]
	;; [unrolled: 1-line block ×10, first 2 shown]
	v_fma_f64 v[37:38], v[35:36], v[37:38], 1.0
	v_fma_f64 v[35:36], v[35:36], v[37:38], 1.0
	v_ldexp_f64 v[33:34], v[35:36], v2
	v_cndmask_b32_e32 v2, 0x7ff00000, v34, vcc_lo
	s_and_b32 vcc_lo, s0, vcc_lo
	v_cndmask_b32_e32 v31, 0, v33, vcc_lo
	v_cndmask_b32_e64 v32, 0, v2, s0
	v_add_f64 v[29:30], v[31:32], v[29:30]
	v_max_f64 v[29:30], 0x38100000, v[29:30]
	v_frexp_mant_f64_e32 v[31:32], v[29:30]
	v_frexp_exp_i32_f64_e32 v2, v[29:30]
	v_cmp_gt_f64_e32 vcc_lo, s[52:53], v[31:32]
	v_cndmask_b32_e64 v33, 0, 1, vcc_lo
	v_subrev_co_ci_u32_e64 v2, null, 0, v2, vcc_lo
	v_cmp_neq_f64_e32 vcc_lo, 0x7ff00000, v[29:30]
	v_ldexp_f64 v[31:32], v[31:32], v33
	v_add_f64 v[35:36], v[31:32], 1.0
	v_add_f64 v[33:34], v[31:32], -1.0
	v_add_f64 v[37:38], v[35:36], -1.0
	v_add_f64 v[31:32], v[31:32], -v[37:38]
	v_rcp_f64_e32 v[37:38], v[35:36]
	v_fma_f64 v[39:40], -v[35:36], v[37:38], 1.0
	v_fma_f64 v[37:38], v[39:40], v[37:38], v[37:38]
	v_fma_f64 v[39:40], -v[35:36], v[37:38], 1.0
	v_fma_f64 v[37:38], v[39:40], v[37:38], v[37:38]
	v_mul_f64 v[39:40], v[33:34], v[37:38]
	v_mul_f64 v[41:42], v[35:36], v[39:40]
	v_fma_f64 v[35:36], v[39:40], v[35:36], -v[41:42]
	v_fma_f64 v[31:32], v[39:40], v[31:32], v[35:36]
	v_add_f64 v[35:36], v[41:42], v[31:32]
	v_add_f64 v[43:44], v[33:34], -v[35:36]
	v_add_f64 v[41:42], v[35:36], -v[41:42]
	;; [unrolled: 1-line block ×5, first 2 shown]
	v_add_f64 v[31:32], v[31:32], v[33:34]
	v_add_f64 v[31:32], v[43:44], v[31:32]
	v_mul_f64 v[31:32], v[37:38], v[31:32]
	v_add_f64 v[33:34], v[39:40], v[31:32]
	v_add_f64 v[35:36], v[33:34], -v[39:40]
	v_ldexp_f64 v[39:40], v[33:34], 1
	v_add_f64 v[31:32], v[31:32], -v[35:36]
	v_mul_f64 v[35:36], v[33:34], v[33:34]
	v_ldexp_f64 v[31:32], v[31:32], 1
	v_fma_f64 v[37:38], v[35:36], s[40:41], s[38:39]
	v_mul_f64 v[33:34], v[33:34], v[35:36]
	v_fma_f64 v[37:38], v[35:36], v[37:38], s[42:43]
	v_fma_f64 v[37:38], v[35:36], v[37:38], s[44:45]
	;; [unrolled: 1-line block ×5, first 2 shown]
	v_mul_f64 v[33:34], v[33:34], v[37:38]
	v_add_f64 v[35:36], v[39:40], v[33:34]
	v_add_f64 v[37:38], v[35:36], -v[39:40]
	v_add_f64 v[33:34], v[33:34], -v[37:38]
	v_add_f64 v[31:32], v[31:32], v[33:34]
	v_add_f64 v[33:34], v[35:36], v[31:32]
	v_add_f64 v[35:36], v[33:34], -v[35:36]
	v_add_f64 v[31:32], v[31:32], -v[35:36]
	v_cvt_f64_i32_e32 v[35:36], v2
	v_mul_f64 v[37:38], v[35:36], s[34:35]
	v_fma_f64 v[39:40], v[35:36], s[34:35], -v[37:38]
	v_fma_f64 v[35:36], v[35:36], s[36:37], v[39:40]
	v_add_f64 v[39:40], v[37:38], v[35:36]
	v_add_f64 v[37:38], v[39:40], -v[37:38]
	v_add_f64 v[35:36], v[35:36], -v[37:38]
	v_mul_f64 v[37:38], v[33:34], s[30:31]
	v_fma_f64 v[41:42], v[33:34], s[30:31], -v[37:38]
	v_fma_f64 v[31:32], v[31:32], s[30:31], v[41:42]
	v_fma_f64 v[31:32], v[33:34], s[28:29], v[31:32]
	v_add_f64 v[33:34], v[37:38], v[31:32]
	v_add_f64 v[37:38], v[33:34], -v[37:38]
	v_add_f64 v[31:32], v[31:32], -v[37:38]
	v_add_f64 v[37:38], v[39:40], v[33:34]
	v_add_f64 v[41:42], v[37:38], -v[39:40]
	v_add_f64 v[43:44], v[37:38], -v[41:42]
	;; [unrolled: 1-line block ×4, first 2 shown]
	v_add_f64 v[33:34], v[33:34], v[39:40]
	v_add_f64 v[39:40], v[35:36], v[31:32]
	v_add_f64 v[41:42], v[39:40], -v[35:36]
	v_add_f64 v[33:34], v[39:40], v[33:34]
	v_add_f64 v[43:44], v[39:40], -v[41:42]
	v_add_f64 v[31:32], v[31:32], -v[41:42]
	;; [unrolled: 1-line block ×3, first 2 shown]
	v_add_f64 v[31:32], v[31:32], v[35:36]
	v_add_f64 v[35:36], v[37:38], v[33:34]
	v_add_f64 v[37:38], v[35:36], -v[37:38]
	v_add_f64 v[33:34], v[33:34], -v[37:38]
	v_add_f64 v[31:32], v[31:32], v[33:34]
	v_add_f64 v[31:32], v[35:36], v[31:32]
	v_cndmask_b32_e32 v30, 0x7ff00000, v32, vcc_lo
	v_cndmask_b32_e32 v29, 0, v31, vcc_lo
	v_fma_f64 v[33:34], v[29:30], s[76:77], s[74:75]
	v_fma_f64 v[31:32], v[29:30], s[72:73], 0x3fe80000
	v_add_f64 v[27:28], v[27:28], -v[33:34]
	v_fma_f64 v[31:32], v[27:28], s[70:71], v[31:32]
	v_div_scale_f64 v[33:34], null, v[31:32], v[31:32], 1.0
	v_rcp_f64_e32 v[35:36], v[33:34]
	v_fma_f64 v[37:38], -v[33:34], v[35:36], 1.0
	v_fma_f64 v[35:36], v[35:36], v[37:38], v[35:36]
	v_fma_f64 v[37:38], -v[33:34], v[35:36], 1.0
	v_fma_f64 v[35:36], v[35:36], v[37:38], v[35:36]
	v_div_scale_f64 v[37:38], vcc_lo, 1.0, v[31:32], 1.0
	v_mul_f64 v[39:40], v[37:38], v[35:36]
	v_fma_f64 v[33:34], -v[33:34], v[39:40], v[37:38]
	v_div_fmas_f64 v[33:34], v[33:34], v[35:36], v[39:40]
	v_div_fixup_f64 v[31:32], v[33:34], v[31:32], 1.0
	v_mul_f64 v[27:28], v[27:28], v[31:32]
	v_fma_f64 v[27:28], v[27:28], v[27:28], 1.0
	v_div_scale_f64 v[31:32], null, v[27:28], v[27:28], 1.0
	v_rcp_f64_e32 v[33:34], v[31:32]
	v_fma_f64 v[35:36], -v[31:32], v[33:34], 1.0
	v_fma_f64 v[33:34], v[33:34], v[35:36], v[33:34]
	v_fma_f64 v[35:36], -v[31:32], v[33:34], 1.0
	v_fma_f64 v[33:34], v[33:34], v[35:36], v[33:34]
	v_div_scale_f64 v[35:36], vcc_lo, 1.0, v[27:28], 1.0
	v_mul_f64 v[37:38], v[35:36], v[33:34]
	v_fma_f64 v[31:32], -v[31:32], v[37:38], v[35:36]
	v_div_fmas_f64 v[31:32], v[31:32], v[33:34], v[37:38]
	v_div_fixup_f64 v[27:28], v[31:32], v[27:28], 1.0
	v_mul_f64 v[27:28], v[29:30], v[27:28]
	v_mul_f64 v[29:30], v[27:28], s[60:61]
	v_cmp_nlt_f64_e32 vcc_lo, 0x40900000, v[27:28]
	v_cmp_ngt_f64_e64 s0, 0xc090cc00, v[27:28]
	v_rndne_f64_e32 v[29:30], v[29:30]
	v_fma_f64 v[31:32], v[29:30], s[62:63], v[27:28]
	v_cvt_i32_f64_e32 v2, v[29:30]
	v_fma_f64 v[31:32], v[29:30], s[64:65], v[31:32]
	v_mul_f64 v[33:34], v[31:32], s[66:67]
	v_fma_f64 v[31:32], v[31:32], s[68:69], v[33:34]
	v_fma_f64 v[33:34], v[31:32], s[4:5], s[2:3]
	;; [unrolled: 1-line block ×10, first 2 shown]
	v_fma_f64 v[33:34], v[31:32], v[33:34], 1.0
	v_fma_f64 v[31:32], v[31:32], v[33:34], 1.0
	v_ldexp_f64 v[29:30], v[31:32], v2
	v_cndmask_b32_e32 v2, 0x7ff00000, v30, vcc_lo
	s_and_b32 vcc_lo, s0, vcc_lo
	v_cndmask_b32_e32 v27, 0, v29, vcc_lo
	v_add_co_u32 v19, vcc_lo, s14, v19
	v_cndmask_b32_e64 v28, 0, v2, s0
	v_add_co_ci_u32_e64 v20, null, s15, v20, vcc_lo
	s_mov_b32 s0, 0x16c16c17
	s_mov_b32 s1, 0xbf76c16c
	v_mul_f64 v[25:26], v[25:26], v[27:28]
	v_mul_f64 v[23:24], v[23:24], v[25:26]
	global_store_dwordx2 v[21:22], v[23:24], off
	global_load_dwordx2 v[21:22], v[19:20], off
	s_waitcnt vmcnt(0)
	v_mul_f64 v[21:22], v[21:22], v[25:26]
	global_store_dwordx2 v[19:20], v[21:22], off
	v_mad_u64_u32 v[18:19], null, 0xffffff7d, s33, v[18:19]
	v_mov_b32_e32 v19, v3
	v_lshlrev_b64 v[20:21], 3, v[18:19]
	v_mad_u64_u32 v[18:19], null, 0x8a, s33, v[18:19]
	v_mov_b32_e32 v19, v3
	v_add_co_u32 v20, vcc_lo, s16, v20
	v_add_co_ci_u32_e64 v21, null, s17, v21, vcc_lo
	global_load_dwordx2 v[25:26], v[20:21], off
	v_lshlrev_b64 v[19:20], 3, v[18:19]
	v_add_co_u32 v21, vcc_lo, s12, v19
	v_add_co_ci_u32_e64 v22, null, s13, v20, vcc_lo
	global_load_dwordx2 v[23:24], v[21:22], off
	s_waitcnt vmcnt(0)
	v_div_scale_f64 v[27:28], null, v[23:24], v[23:24], 1.0
	v_rcp_f64_e32 v[29:30], v[27:28]
	v_fma_f64 v[31:32], -v[27:28], v[29:30], 1.0
	v_fma_f64 v[29:30], v[29:30], v[31:32], v[29:30]
	v_fma_f64 v[31:32], -v[27:28], v[29:30], 1.0
	v_fma_f64 v[29:30], v[29:30], v[31:32], v[29:30]
	v_div_scale_f64 v[31:32], vcc_lo, 1.0, v[23:24], 1.0
	v_mul_f64 v[33:34], v[31:32], v[29:30]
	v_fma_f64 v[27:28], -v[27:28], v[33:34], v[31:32]
	v_div_fmas_f64 v[27:28], v[27:28], v[29:30], v[33:34]
	v_div_fixup_f64 v[27:28], v[27:28], v[23:24], 1.0
	v_mul_f64 v[27:28], v[10:11], v[27:28]
	v_mul_f64 v[29:30], v[25:26], v[27:28]
	v_fma_f64 v[25:26], v[25:26], v[27:28], 1.0
	v_div_scale_f64 v[27:28], null, v[25:26], v[25:26], 1.0
	v_rcp_f64_e32 v[31:32], v[27:28]
	v_fma_f64 v[33:34], -v[27:28], v[31:32], 1.0
	v_fma_f64 v[31:32], v[31:32], v[33:34], v[31:32]
	v_fma_f64 v[33:34], -v[27:28], v[31:32], 1.0
	v_fma_f64 v[31:32], v[31:32], v[33:34], v[31:32]
	v_div_scale_f64 v[33:34], vcc_lo, 1.0, v[25:26], 1.0
	v_mul_f64 v[35:36], v[33:34], v[31:32]
	v_fma_f64 v[27:28], -v[27:28], v[35:36], v[33:34]
	v_div_fmas_f64 v[27:28], v[27:28], v[31:32], v[35:36]
	v_div_fixup_f64 v[25:26], v[27:28], v[25:26], 1.0
	v_max_f64 v[27:28], 0x38100000, v[29:30]
	v_mul_f64 v[25:26], v[29:30], v[25:26]
	v_frexp_mant_f64_e32 v[29:30], v[27:28]
	v_frexp_exp_i32_f64_e32 v2, v[27:28]
	v_cmp_gt_f64_e32 vcc_lo, s[52:53], v[29:30]
	v_cndmask_b32_e64 v31, 0, 1, vcc_lo
	v_subrev_co_ci_u32_e64 v2, null, 0, v2, vcc_lo
	v_cmp_neq_f64_e32 vcc_lo, 0x7ff00000, v[27:28]
	v_ldexp_f64 v[29:30], v[29:30], v31
	v_add_f64 v[33:34], v[29:30], 1.0
	v_add_f64 v[31:32], v[29:30], -1.0
	v_add_f64 v[35:36], v[33:34], -1.0
	v_add_f64 v[29:30], v[29:30], -v[35:36]
	v_rcp_f64_e32 v[35:36], v[33:34]
	v_fma_f64 v[37:38], -v[33:34], v[35:36], 1.0
	v_fma_f64 v[35:36], v[37:38], v[35:36], v[35:36]
	v_fma_f64 v[37:38], -v[33:34], v[35:36], 1.0
	v_fma_f64 v[35:36], v[37:38], v[35:36], v[35:36]
	v_mul_f64 v[37:38], v[31:32], v[35:36]
	v_mul_f64 v[39:40], v[33:34], v[37:38]
	v_fma_f64 v[33:34], v[37:38], v[33:34], -v[39:40]
	v_fma_f64 v[29:30], v[37:38], v[29:30], v[33:34]
	v_add_f64 v[33:34], v[39:40], v[29:30]
	v_add_f64 v[41:42], v[31:32], -v[33:34]
	v_add_f64 v[39:40], v[33:34], -v[39:40]
	;; [unrolled: 1-line block ×5, first 2 shown]
	v_add_f64 v[29:30], v[29:30], v[31:32]
	v_add_f64 v[29:30], v[41:42], v[29:30]
	v_mul_f64 v[29:30], v[35:36], v[29:30]
	v_add_f64 v[31:32], v[37:38], v[29:30]
	v_add_f64 v[33:34], v[31:32], -v[37:38]
	v_ldexp_f64 v[37:38], v[31:32], 1
	v_add_f64 v[29:30], v[29:30], -v[33:34]
	v_mul_f64 v[33:34], v[31:32], v[31:32]
	v_ldexp_f64 v[29:30], v[29:30], 1
	v_fma_f64 v[35:36], v[33:34], s[40:41], s[38:39]
	v_mul_f64 v[31:32], v[31:32], v[33:34]
	v_fma_f64 v[35:36], v[33:34], v[35:36], s[42:43]
	v_fma_f64 v[35:36], v[33:34], v[35:36], s[44:45]
	;; [unrolled: 1-line block ×5, first 2 shown]
	v_mul_f64 v[31:32], v[31:32], v[35:36]
	v_add_f64 v[33:34], v[37:38], v[31:32]
	v_add_f64 v[35:36], v[33:34], -v[37:38]
	v_add_f64 v[31:32], v[31:32], -v[35:36]
	v_add_f64 v[29:30], v[29:30], v[31:32]
	v_add_f64 v[31:32], v[33:34], v[29:30]
	v_add_f64 v[33:34], v[31:32], -v[33:34]
	v_add_f64 v[29:30], v[29:30], -v[33:34]
	v_cvt_f64_i32_e32 v[33:34], v2
	v_mul_f64 v[35:36], v[33:34], s[34:35]
	v_fma_f64 v[37:38], v[33:34], s[34:35], -v[35:36]
	v_fma_f64 v[33:34], v[33:34], s[36:37], v[37:38]
	v_add_f64 v[37:38], v[35:36], v[33:34]
	v_add_f64 v[35:36], v[37:38], -v[35:36]
	v_add_f64 v[33:34], v[33:34], -v[35:36]
	v_mul_f64 v[35:36], v[31:32], s[30:31]
	v_fma_f64 v[39:40], v[31:32], s[30:31], -v[35:36]
	v_fma_f64 v[29:30], v[29:30], s[30:31], v[39:40]
	v_fma_f64 v[29:30], v[31:32], s[28:29], v[29:30]
	v_add_f64 v[31:32], v[35:36], v[29:30]
	v_add_f64 v[35:36], v[31:32], -v[35:36]
	v_add_f64 v[29:30], v[29:30], -v[35:36]
	v_add_f64 v[35:36], v[37:38], v[31:32]
	v_add_f64 v[39:40], v[35:36], -v[37:38]
	v_add_f64 v[41:42], v[35:36], -v[39:40]
	;; [unrolled: 1-line block ×4, first 2 shown]
	v_add_f64 v[31:32], v[31:32], v[37:38]
	v_add_f64 v[37:38], v[33:34], v[29:30]
	v_add_f64 v[39:40], v[37:38], -v[33:34]
	v_add_f64 v[31:32], v[37:38], v[31:32]
	v_add_f64 v[41:42], v[37:38], -v[39:40]
	v_add_f64 v[29:30], v[29:30], -v[39:40]
	;; [unrolled: 1-line block ×3, first 2 shown]
	v_add_f64 v[29:30], v[29:30], v[33:34]
	v_add_f64 v[33:34], v[35:36], v[31:32]
	v_add_f64 v[35:36], v[33:34], -v[35:36]
	v_add_f64 v[31:32], v[31:32], -v[35:36]
	v_add_f64 v[29:30], v[29:30], v[31:32]
	v_add_f64 v[29:30], v[33:34], v[29:30]
	v_cndmask_b32_e32 v28, 0x7ff00000, v30, vcc_lo
	v_cndmask_b32_e32 v27, 0, v29, vcc_lo
	v_mul_f64 v[29:30], v[0:1], s[0:1]
	s_mov_b32 s0, 0xb645a1cb
	s_mov_b32 s1, 0x3fd0fdf3
	v_mul_f64 v[31:32], v[29:30], s[58:59]
	v_cmp_nlt_f64_e32 vcc_lo, 0x40900000, v[29:30]
	v_rndne_f64_e32 v[31:32], v[31:32]
	v_fma_f64 v[33:34], v[31:32], s[56:57], v[29:30]
	v_cvt_i32_f64_e32 v2, v[31:32]
	v_fma_f64 v[33:34], v[31:32], s[54:55], v[33:34]
	v_fma_f64 v[35:36], v[33:34], s[4:5], s[2:3]
	;; [unrolled: 1-line block ×10, first 2 shown]
	v_fma_f64 v[35:36], v[33:34], v[35:36], 1.0
	v_fma_f64 v[33:34], v[33:34], v[35:36], 1.0
	v_ldexp_f64 v[31:32], v[33:34], v2
	v_mul_f64 v[31:32], v[31:32], s[0:1]
	v_cmp_ngt_f64_e64 s0, 0xc090cc00, v[29:30]
	v_cndmask_b32_e32 v2, 0x7ff00000, v32, vcc_lo
	s_and_b32 vcc_lo, s0, vcc_lo
	v_cndmask_b32_e32 v29, 0, v31, vcc_lo
	v_cndmask_b32_e64 v30, 0, v2, s0
	s_mov_b32 s0, 0x6d92aca5
	s_mov_b32 s1, 0xbf4fa8ef
	v_mul_f64 v[31:32], v[0:1], s[0:1]
	s_mov_b32 s0, 0x24dd2f1b
	s_mov_b32 s1, 0x3fe78106
	v_mul_f64 v[33:34], v[31:32], s[58:59]
	v_cmp_nlt_f64_e32 vcc_lo, 0x40900000, v[31:32]
	v_rndne_f64_e32 v[33:34], v[33:34]
	v_fma_f64 v[35:36], v[33:34], s[56:57], v[31:32]
	v_cvt_i32_f64_e32 v2, v[33:34]
	v_fma_f64 v[35:36], v[33:34], s[54:55], v[35:36]
	v_fma_f64 v[37:38], v[35:36], s[4:5], s[2:3]
	;; [unrolled: 1-line block ×10, first 2 shown]
	v_fma_f64 v[37:38], v[35:36], v[37:38], 1.0
	v_fma_f64 v[35:36], v[35:36], v[37:38], 1.0
	v_ldexp_f64 v[33:34], v[35:36], v2
	v_mul_f64 v[33:34], v[33:34], s[0:1]
	v_cmp_ngt_f64_e64 s0, 0xc090cc00, v[31:32]
	v_cndmask_b32_e32 v2, 0x7ff00000, v34, vcc_lo
	s_and_b32 vcc_lo, s0, vcc_lo
	v_cndmask_b32_e32 v31, 0, v33, vcc_lo
	v_cndmask_b32_e64 v32, 0, v2, s0
	v_add_f64 v[29:30], v[29:30], v[31:32]
	v_mul_f64 v[31:32], 0xc0b52900, v[12:13]
	v_mul_f64 v[33:34], v[31:32], s[58:59]
	v_cmp_nlt_f64_e32 vcc_lo, 0x40900000, v[31:32]
	v_cmp_ngt_f64_e64 s0, 0xc090cc00, v[31:32]
	v_rndne_f64_e32 v[33:34], v[33:34]
	v_fma_f64 v[35:36], v[33:34], s[56:57], v[31:32]
	v_cvt_i32_f64_e32 v2, v[33:34]
	v_fma_f64 v[35:36], v[33:34], s[54:55], v[35:36]
	v_fma_f64 v[37:38], v[35:36], s[4:5], s[2:3]
	;; [unrolled: 1-line block ×10, first 2 shown]
	v_fma_f64 v[37:38], v[35:36], v[37:38], 1.0
	v_fma_f64 v[35:36], v[35:36], v[37:38], 1.0
	v_ldexp_f64 v[33:34], v[35:36], v2
	v_cndmask_b32_e32 v2, 0x7ff00000, v34, vcc_lo
	s_and_b32 vcc_lo, s0, vcc_lo
	v_cndmask_b32_e32 v31, 0, v33, vcc_lo
	v_cndmask_b32_e64 v32, 0, v2, s0
	v_add_f64 v[29:30], v[31:32], v[29:30]
	v_max_f64 v[29:30], 0x38100000, v[29:30]
	v_frexp_mant_f64_e32 v[31:32], v[29:30]
	v_frexp_exp_i32_f64_e32 v2, v[29:30]
	v_cmp_gt_f64_e32 vcc_lo, s[52:53], v[31:32]
	v_cndmask_b32_e64 v33, 0, 1, vcc_lo
	v_subrev_co_ci_u32_e64 v2, null, 0, v2, vcc_lo
	v_cmp_neq_f64_e32 vcc_lo, 0x7ff00000, v[29:30]
	v_ldexp_f64 v[31:32], v[31:32], v33
	v_add_f64 v[35:36], v[31:32], 1.0
	v_add_f64 v[33:34], v[31:32], -1.0
	v_add_f64 v[37:38], v[35:36], -1.0
	v_add_f64 v[31:32], v[31:32], -v[37:38]
	v_rcp_f64_e32 v[37:38], v[35:36]
	v_fma_f64 v[39:40], -v[35:36], v[37:38], 1.0
	v_fma_f64 v[37:38], v[39:40], v[37:38], v[37:38]
	v_fma_f64 v[39:40], -v[35:36], v[37:38], 1.0
	v_fma_f64 v[37:38], v[39:40], v[37:38], v[37:38]
	v_mul_f64 v[39:40], v[33:34], v[37:38]
	v_mul_f64 v[41:42], v[35:36], v[39:40]
	v_fma_f64 v[35:36], v[39:40], v[35:36], -v[41:42]
	v_fma_f64 v[31:32], v[39:40], v[31:32], v[35:36]
	v_add_f64 v[35:36], v[41:42], v[31:32]
	v_add_f64 v[43:44], v[33:34], -v[35:36]
	v_add_f64 v[41:42], v[35:36], -v[41:42]
	;; [unrolled: 1-line block ×5, first 2 shown]
	v_add_f64 v[31:32], v[31:32], v[33:34]
	v_add_f64 v[31:32], v[43:44], v[31:32]
	v_mul_f64 v[31:32], v[37:38], v[31:32]
	v_add_f64 v[33:34], v[39:40], v[31:32]
	v_add_f64 v[35:36], v[33:34], -v[39:40]
	v_ldexp_f64 v[39:40], v[33:34], 1
	v_add_f64 v[31:32], v[31:32], -v[35:36]
	v_mul_f64 v[35:36], v[33:34], v[33:34]
	v_ldexp_f64 v[31:32], v[31:32], 1
	v_fma_f64 v[37:38], v[35:36], s[40:41], s[38:39]
	v_mul_f64 v[33:34], v[33:34], v[35:36]
	v_fma_f64 v[37:38], v[35:36], v[37:38], s[42:43]
	v_fma_f64 v[37:38], v[35:36], v[37:38], s[44:45]
	;; [unrolled: 1-line block ×5, first 2 shown]
	v_mul_f64 v[33:34], v[33:34], v[37:38]
	v_add_f64 v[35:36], v[39:40], v[33:34]
	v_add_f64 v[37:38], v[35:36], -v[39:40]
	v_add_f64 v[33:34], v[33:34], -v[37:38]
	v_add_f64 v[31:32], v[31:32], v[33:34]
	v_add_f64 v[33:34], v[35:36], v[31:32]
	v_add_f64 v[35:36], v[33:34], -v[35:36]
	v_add_f64 v[31:32], v[31:32], -v[35:36]
	v_cvt_f64_i32_e32 v[35:36], v2
	v_mul_f64 v[37:38], v[35:36], s[34:35]
	v_fma_f64 v[39:40], v[35:36], s[34:35], -v[37:38]
	v_fma_f64 v[35:36], v[35:36], s[36:37], v[39:40]
	v_add_f64 v[39:40], v[37:38], v[35:36]
	v_add_f64 v[37:38], v[39:40], -v[37:38]
	v_add_f64 v[35:36], v[35:36], -v[37:38]
	v_mul_f64 v[37:38], v[33:34], s[30:31]
	v_fma_f64 v[41:42], v[33:34], s[30:31], -v[37:38]
	v_fma_f64 v[31:32], v[31:32], s[30:31], v[41:42]
	v_fma_f64 v[31:32], v[33:34], s[28:29], v[31:32]
	v_add_f64 v[33:34], v[37:38], v[31:32]
	v_add_f64 v[37:38], v[33:34], -v[37:38]
	v_add_f64 v[31:32], v[31:32], -v[37:38]
	v_add_f64 v[37:38], v[39:40], v[33:34]
	v_add_f64 v[41:42], v[37:38], -v[39:40]
	v_add_f64 v[43:44], v[37:38], -v[41:42]
	;; [unrolled: 1-line block ×4, first 2 shown]
	v_add_f64 v[33:34], v[33:34], v[39:40]
	v_add_f64 v[39:40], v[35:36], v[31:32]
	v_add_f64 v[41:42], v[39:40], -v[35:36]
	v_add_f64 v[33:34], v[39:40], v[33:34]
	v_add_f64 v[43:44], v[39:40], -v[41:42]
	v_add_f64 v[31:32], v[31:32], -v[41:42]
	;; [unrolled: 1-line block ×3, first 2 shown]
	v_add_f64 v[31:32], v[31:32], v[35:36]
	v_add_f64 v[35:36], v[37:38], v[33:34]
	v_add_f64 v[37:38], v[35:36], -v[37:38]
	v_add_f64 v[33:34], v[33:34], -v[37:38]
	v_add_f64 v[31:32], v[31:32], v[33:34]
	v_add_f64 v[31:32], v[35:36], v[31:32]
	v_cndmask_b32_e32 v30, 0x7ff00000, v32, vcc_lo
	v_cndmask_b32_e32 v29, 0, v31, vcc_lo
	v_fma_f64 v[33:34], v[29:30], s[76:77], s[74:75]
	v_fma_f64 v[31:32], v[29:30], s[72:73], 0x3fe80000
	v_add_f64 v[27:28], v[27:28], -v[33:34]
	v_fma_f64 v[31:32], v[27:28], s[70:71], v[31:32]
	v_div_scale_f64 v[33:34], null, v[31:32], v[31:32], 1.0
	v_rcp_f64_e32 v[35:36], v[33:34]
	v_fma_f64 v[37:38], -v[33:34], v[35:36], 1.0
	v_fma_f64 v[35:36], v[35:36], v[37:38], v[35:36]
	v_fma_f64 v[37:38], -v[33:34], v[35:36], 1.0
	v_fma_f64 v[35:36], v[35:36], v[37:38], v[35:36]
	v_div_scale_f64 v[37:38], vcc_lo, 1.0, v[31:32], 1.0
	v_mul_f64 v[39:40], v[37:38], v[35:36]
	v_fma_f64 v[33:34], -v[33:34], v[39:40], v[37:38]
	v_div_fmas_f64 v[33:34], v[33:34], v[35:36], v[39:40]
	v_div_fixup_f64 v[31:32], v[33:34], v[31:32], 1.0
	v_mul_f64 v[27:28], v[27:28], v[31:32]
	v_fma_f64 v[27:28], v[27:28], v[27:28], 1.0
	v_div_scale_f64 v[31:32], null, v[27:28], v[27:28], 1.0
	v_rcp_f64_e32 v[33:34], v[31:32]
	v_fma_f64 v[35:36], -v[31:32], v[33:34], 1.0
	v_fma_f64 v[33:34], v[33:34], v[35:36], v[33:34]
	v_fma_f64 v[35:36], -v[31:32], v[33:34], 1.0
	v_fma_f64 v[33:34], v[33:34], v[35:36], v[33:34]
	v_div_scale_f64 v[35:36], vcc_lo, 1.0, v[27:28], 1.0
	v_mul_f64 v[37:38], v[35:36], v[33:34]
	v_fma_f64 v[31:32], -v[31:32], v[37:38], v[35:36]
	v_div_fmas_f64 v[31:32], v[31:32], v[33:34], v[37:38]
	v_div_fixup_f64 v[27:28], v[31:32], v[27:28], 1.0
	v_mul_f64 v[27:28], v[29:30], v[27:28]
	v_mul_f64 v[29:30], v[27:28], s[60:61]
	v_cmp_nlt_f64_e32 vcc_lo, 0x40900000, v[27:28]
	v_cmp_ngt_f64_e64 s0, 0xc090cc00, v[27:28]
	v_rndne_f64_e32 v[29:30], v[29:30]
	v_fma_f64 v[31:32], v[29:30], s[62:63], v[27:28]
	v_cvt_i32_f64_e32 v2, v[29:30]
	v_fma_f64 v[31:32], v[29:30], s[64:65], v[31:32]
	v_mul_f64 v[33:34], v[31:32], s[66:67]
	v_fma_f64 v[31:32], v[31:32], s[68:69], v[33:34]
	v_fma_f64 v[33:34], v[31:32], s[4:5], s[2:3]
	;; [unrolled: 1-line block ×10, first 2 shown]
	v_fma_f64 v[33:34], v[31:32], v[33:34], 1.0
	v_fma_f64 v[31:32], v[31:32], v[33:34], 1.0
	v_ldexp_f64 v[29:30], v[31:32], v2
	v_cndmask_b32_e32 v2, 0x7ff00000, v30, vcc_lo
	s_and_b32 vcc_lo, s0, vcc_lo
	v_cndmask_b32_e32 v27, 0, v29, vcc_lo
	v_add_co_u32 v19, vcc_lo, s14, v19
	v_cndmask_b32_e64 v28, 0, v2, s0
	v_add_co_ci_u32_e64 v20, null, s15, v20, vcc_lo
	v_add_co_u32 v16, vcc_lo, s16, v16
	v_mul_f64 v[25:26], v[25:26], v[27:28]
	v_add_co_ci_u32_e64 v17, null, s17, v17, vcc_lo
	v_add_nc_u32_e32 v2, s33, v18
	s_mov_b32 s0, 0x13813814
	s_mov_b32 s1, 0xbf738138
	v_mul_f64 v[23:24], v[23:24], v[25:26]
	global_store_dwordx2 v[21:22], v[23:24], off
	global_load_dwordx2 v[21:22], v[19:20], off
	s_waitcnt vmcnt(0)
	v_mul_f64 v[21:22], v[21:22], v[25:26]
	global_store_dwordx2 v[19:20], v[21:22], off
	global_load_dwordx2 v[22:23], v[16:17], off
	v_lshlrev_b64 v[16:17], 3, v[2:3]
	v_add_co_u32 v18, vcc_lo, s12, v16
	v_add_co_ci_u32_e64 v19, null, s13, v17, vcc_lo
	global_load_dwordx2 v[20:21], v[18:19], off
	s_waitcnt vmcnt(0)
	v_div_scale_f64 v[24:25], null, v[20:21], v[20:21], 1.0
	v_rcp_f64_e32 v[26:27], v[24:25]
	v_fma_f64 v[28:29], -v[24:25], v[26:27], 1.0
	v_fma_f64 v[26:27], v[26:27], v[28:29], v[26:27]
	v_fma_f64 v[28:29], -v[24:25], v[26:27], 1.0
	v_fma_f64 v[26:27], v[26:27], v[28:29], v[26:27]
	v_div_scale_f64 v[28:29], vcc_lo, 1.0, v[20:21], 1.0
	v_mul_f64 v[30:31], v[28:29], v[26:27]
	v_fma_f64 v[24:25], -v[24:25], v[30:31], v[28:29]
	v_div_fmas_f64 v[24:25], v[24:25], v[26:27], v[30:31]
	v_div_fixup_f64 v[24:25], v[24:25], v[20:21], 1.0
	v_mul_f64 v[24:25], v[10:11], v[24:25]
	v_mul_f64 v[26:27], v[22:23], v[24:25]
	v_fma_f64 v[22:23], v[22:23], v[24:25], 1.0
	v_div_scale_f64 v[24:25], null, v[22:23], v[22:23], 1.0
	v_rcp_f64_e32 v[28:29], v[24:25]
	v_fma_f64 v[30:31], -v[24:25], v[28:29], 1.0
	v_fma_f64 v[28:29], v[28:29], v[30:31], v[28:29]
	v_fma_f64 v[30:31], -v[24:25], v[28:29], 1.0
	v_fma_f64 v[28:29], v[28:29], v[30:31], v[28:29]
	v_div_scale_f64 v[30:31], vcc_lo, 1.0, v[22:23], 1.0
	v_mul_f64 v[32:33], v[30:31], v[28:29]
	v_fma_f64 v[24:25], -v[24:25], v[32:33], v[30:31]
	v_div_fmas_f64 v[24:25], v[24:25], v[28:29], v[32:33]
	v_div_fixup_f64 v[22:23], v[24:25], v[22:23], 1.0
	v_max_f64 v[24:25], 0x38100000, v[26:27]
	v_mul_f64 v[22:23], v[26:27], v[22:23]
	v_frexp_mant_f64_e32 v[26:27], v[24:25]
	v_frexp_exp_i32_f64_e32 v28, v[24:25]
	v_cmp_gt_f64_e32 vcc_lo, s[52:53], v[26:27]
	v_cndmask_b32_e64 v29, 0, 1, vcc_lo
	v_subrev_co_ci_u32_e64 v40, null, 0, v28, vcc_lo
	v_cmp_neq_f64_e32 vcc_lo, 0x7ff00000, v[24:25]
	v_ldexp_f64 v[26:27], v[26:27], v29
	v_add_f64 v[30:31], v[26:27], 1.0
	v_add_f64 v[28:29], v[26:27], -1.0
	v_add_f64 v[32:33], v[30:31], -1.0
	v_add_f64 v[26:27], v[26:27], -v[32:33]
	v_rcp_f64_e32 v[32:33], v[30:31]
	v_fma_f64 v[34:35], -v[30:31], v[32:33], 1.0
	v_fma_f64 v[32:33], v[34:35], v[32:33], v[32:33]
	v_fma_f64 v[34:35], -v[30:31], v[32:33], 1.0
	v_fma_f64 v[32:33], v[34:35], v[32:33], v[32:33]
	v_mul_f64 v[34:35], v[28:29], v[32:33]
	v_mul_f64 v[36:37], v[30:31], v[34:35]
	v_fma_f64 v[30:31], v[34:35], v[30:31], -v[36:37]
	v_fma_f64 v[26:27], v[34:35], v[26:27], v[30:31]
	v_add_f64 v[30:31], v[36:37], v[26:27]
	v_add_f64 v[38:39], v[28:29], -v[30:31]
	v_add_f64 v[36:37], v[30:31], -v[36:37]
	;; [unrolled: 1-line block ×5, first 2 shown]
	v_add_f64 v[26:27], v[26:27], v[28:29]
	v_add_f64 v[26:27], v[38:39], v[26:27]
	v_mul_f64 v[26:27], v[32:33], v[26:27]
	v_add_f64 v[28:29], v[34:35], v[26:27]
	v_add_f64 v[30:31], v[28:29], -v[34:35]
	v_ldexp_f64 v[34:35], v[28:29], 1
	v_add_f64 v[26:27], v[26:27], -v[30:31]
	v_mul_f64 v[30:31], v[28:29], v[28:29]
	v_ldexp_f64 v[26:27], v[26:27], 1
	v_fma_f64 v[32:33], v[30:31], s[40:41], s[38:39]
	v_mul_f64 v[28:29], v[28:29], v[30:31]
	v_fma_f64 v[32:33], v[30:31], v[32:33], s[42:43]
	v_fma_f64 v[32:33], v[30:31], v[32:33], s[44:45]
	;; [unrolled: 1-line block ×5, first 2 shown]
	v_mul_f64 v[28:29], v[28:29], v[32:33]
	v_add_f64 v[30:31], v[34:35], v[28:29]
	v_add_f64 v[32:33], v[30:31], -v[34:35]
	v_add_f64 v[28:29], v[28:29], -v[32:33]
	v_add_f64 v[26:27], v[26:27], v[28:29]
	v_add_f64 v[28:29], v[30:31], v[26:27]
	v_add_f64 v[30:31], v[28:29], -v[30:31]
	v_add_f64 v[26:27], v[26:27], -v[30:31]
	v_cvt_f64_i32_e32 v[30:31], v40
	v_mul_f64 v[32:33], v[30:31], s[34:35]
	v_fma_f64 v[34:35], v[30:31], s[34:35], -v[32:33]
	v_fma_f64 v[30:31], v[30:31], s[36:37], v[34:35]
	v_add_f64 v[34:35], v[32:33], v[30:31]
	v_add_f64 v[32:33], v[34:35], -v[32:33]
	v_add_f64 v[30:31], v[30:31], -v[32:33]
	v_mul_f64 v[32:33], v[28:29], s[30:31]
	v_fma_f64 v[36:37], v[28:29], s[30:31], -v[32:33]
	v_fma_f64 v[26:27], v[26:27], s[30:31], v[36:37]
	v_fma_f64 v[26:27], v[28:29], s[28:29], v[26:27]
	v_add_f64 v[28:29], v[32:33], v[26:27]
	v_add_f64 v[32:33], v[28:29], -v[32:33]
	v_add_f64 v[26:27], v[26:27], -v[32:33]
	v_add_f64 v[32:33], v[34:35], v[28:29]
	v_add_f64 v[36:37], v[32:33], -v[34:35]
	v_add_f64 v[38:39], v[32:33], -v[36:37]
	;; [unrolled: 1-line block ×4, first 2 shown]
	v_add_f64 v[28:29], v[28:29], v[34:35]
	v_add_f64 v[34:35], v[30:31], v[26:27]
	v_add_f64 v[36:37], v[34:35], -v[30:31]
	v_add_f64 v[28:29], v[34:35], v[28:29]
	v_add_f64 v[38:39], v[34:35], -v[36:37]
	v_add_f64 v[26:27], v[26:27], -v[36:37]
	;; [unrolled: 1-line block ×3, first 2 shown]
	v_add_f64 v[26:27], v[26:27], v[30:31]
	v_add_f64 v[30:31], v[32:33], v[28:29]
	v_add_f64 v[32:33], v[30:31], -v[32:33]
	v_add_f64 v[28:29], v[28:29], -v[32:33]
	v_add_f64 v[26:27], v[26:27], v[28:29]
	v_add_f64 v[26:27], v[30:31], v[26:27]
	v_cndmask_b32_e32 v25, 0x7ff00000, v27, vcc_lo
	v_cndmask_b32_e32 v24, 0, v26, vcc_lo
	v_mul_f64 v[26:27], v[0:1], s[0:1]
	s_mov_b32 s0, 0xf0d844d0
	s_mov_b32 s1, 0x3f994af4
	v_mul_f64 v[28:29], v[26:27], s[58:59]
	v_cmp_nlt_f64_e32 vcc_lo, 0x40900000, v[26:27]
	v_rndne_f64_e32 v[28:29], v[28:29]
	v_fma_f64 v[30:31], v[28:29], s[56:57], v[26:27]
	v_fma_f64 v[30:31], v[28:29], s[54:55], v[30:31]
	v_cvt_i32_f64_e32 v28, v[28:29]
	v_fma_f64 v[32:33], v[30:31], s[4:5], s[2:3]
	v_fma_f64 v[32:33], v[30:31], v[32:33], s[6:7]
	;; [unrolled: 1-line block ×9, first 2 shown]
	v_fma_f64 v[32:33], v[30:31], v[32:33], 1.0
	v_fma_f64 v[30:31], v[30:31], v[32:33], 1.0
	v_ldexp_f64 v[28:29], v[30:31], v28
	v_mul_f64 v[28:29], v[28:29], s[0:1]
	v_cmp_ngt_f64_e64 s0, 0xc090cc00, v[26:27]
	v_cndmask_b32_e32 v29, 0x7ff00000, v29, vcc_lo
	s_and_b32 vcc_lo, s0, vcc_lo
	v_cndmask_b32_e32 v26, 0, v28, vcc_lo
	v_cndmask_b32_e64 v27, 0, v29, s0
	s_mov_b32 s0, 0xa6810a7
	s_mov_b32 s1, 0xbf50a681
	v_mul_f64 v[28:29], v[0:1], s[0:1]
	s_mov_b32 s0, 0x58793dd9
	s_mov_b32 s1, 0x3fef35a8
	v_mul_f64 v[30:31], v[28:29], s[58:59]
	v_cmp_nlt_f64_e32 vcc_lo, 0x40900000, v[28:29]
	v_rndne_f64_e32 v[30:31], v[30:31]
	v_fma_f64 v[32:33], v[30:31], s[56:57], v[28:29]
	v_fma_f64 v[32:33], v[30:31], s[54:55], v[32:33]
	v_cvt_i32_f64_e32 v30, v[30:31]
	v_fma_f64 v[34:35], v[32:33], s[4:5], s[2:3]
	v_fma_f64 v[34:35], v[32:33], v[34:35], s[6:7]
	;; [unrolled: 1-line block ×9, first 2 shown]
	v_fma_f64 v[34:35], v[32:33], v[34:35], 1.0
	v_fma_f64 v[32:33], v[32:33], v[34:35], 1.0
	v_ldexp_f64 v[30:31], v[32:33], v30
	v_mul_f64 v[30:31], v[30:31], s[0:1]
	v_cmp_ngt_f64_e64 s0, 0xc090cc00, v[28:29]
	v_cndmask_b32_e32 v31, 0x7ff00000, v31, vcc_lo
	s_and_b32 vcc_lo, s0, vcc_lo
	v_cndmask_b32_e32 v28, 0, v30, vcc_lo
	v_cndmask_b32_e64 v29, 0, v31, s0
	v_add_f64 v[26:27], v[26:27], v[28:29]
	v_mul_f64 v[28:29], 0xc0b11600, v[12:13]
	v_mul_f64 v[30:31], v[28:29], s[58:59]
	v_cmp_nlt_f64_e32 vcc_lo, 0x40900000, v[28:29]
	v_cmp_ngt_f64_e64 s0, 0xc090cc00, v[28:29]
	v_rndne_f64_e32 v[30:31], v[30:31]
	v_fma_f64 v[32:33], v[30:31], s[56:57], v[28:29]
	v_fma_f64 v[32:33], v[30:31], s[54:55], v[32:33]
	v_cvt_i32_f64_e32 v30, v[30:31]
	v_fma_f64 v[34:35], v[32:33], s[4:5], s[2:3]
	v_fma_f64 v[34:35], v[32:33], v[34:35], s[6:7]
	v_fma_f64 v[34:35], v[32:33], v[34:35], s[8:9]
	v_fma_f64 v[34:35], v[32:33], v[34:35], s[10:11]
	v_fma_f64 v[34:35], v[32:33], v[34:35], s[18:19]
	v_fma_f64 v[34:35], v[32:33], v[34:35], s[20:21]
	v_fma_f64 v[34:35], v[32:33], v[34:35], s[22:23]
	v_fma_f64 v[34:35], v[32:33], v[34:35], s[24:25]
	v_fma_f64 v[34:35], v[32:33], v[34:35], s[26:27]
	v_fma_f64 v[34:35], v[32:33], v[34:35], 1.0
	v_fma_f64 v[32:33], v[32:33], v[34:35], 1.0
	v_ldexp_f64 v[30:31], v[32:33], v30
	v_cndmask_b32_e32 v31, 0x7ff00000, v31, vcc_lo
	s_and_b32 vcc_lo, s0, vcc_lo
	v_cndmask_b32_e32 v28, 0, v30, vcc_lo
	v_cndmask_b32_e64 v29, 0, v31, s0
	v_add_f64 v[26:27], v[28:29], v[26:27]
	v_max_f64 v[26:27], 0x38100000, v[26:27]
	v_frexp_mant_f64_e32 v[28:29], v[26:27]
	v_frexp_exp_i32_f64_e32 v30, v[26:27]
	v_cmp_gt_f64_e32 vcc_lo, s[52:53], v[28:29]
	v_cndmask_b32_e64 v31, 0, 1, vcc_lo
	v_subrev_co_ci_u32_e64 v42, null, 0, v30, vcc_lo
	v_cmp_neq_f64_e32 vcc_lo, 0x7ff00000, v[26:27]
	v_ldexp_f64 v[28:29], v[28:29], v31
	v_add_f64 v[32:33], v[28:29], 1.0
	v_add_f64 v[30:31], v[28:29], -1.0
	v_add_f64 v[34:35], v[32:33], -1.0
	v_add_f64 v[28:29], v[28:29], -v[34:35]
	v_rcp_f64_e32 v[34:35], v[32:33]
	v_fma_f64 v[36:37], -v[32:33], v[34:35], 1.0
	v_fma_f64 v[34:35], v[36:37], v[34:35], v[34:35]
	v_fma_f64 v[36:37], -v[32:33], v[34:35], 1.0
	v_fma_f64 v[34:35], v[36:37], v[34:35], v[34:35]
	v_mul_f64 v[36:37], v[30:31], v[34:35]
	v_mul_f64 v[38:39], v[32:33], v[36:37]
	v_fma_f64 v[32:33], v[36:37], v[32:33], -v[38:39]
	v_fma_f64 v[28:29], v[36:37], v[28:29], v[32:33]
	v_add_f64 v[32:33], v[38:39], v[28:29]
	v_add_f64 v[40:41], v[30:31], -v[32:33]
	v_add_f64 v[38:39], v[32:33], -v[38:39]
	;; [unrolled: 1-line block ×5, first 2 shown]
	v_add_f64 v[28:29], v[28:29], v[30:31]
	v_add_f64 v[28:29], v[40:41], v[28:29]
	v_mul_f64 v[28:29], v[34:35], v[28:29]
	v_add_f64 v[30:31], v[36:37], v[28:29]
	v_add_f64 v[32:33], v[30:31], -v[36:37]
	v_ldexp_f64 v[36:37], v[30:31], 1
	v_add_f64 v[28:29], v[28:29], -v[32:33]
	v_mul_f64 v[32:33], v[30:31], v[30:31]
	v_ldexp_f64 v[28:29], v[28:29], 1
	v_fma_f64 v[34:35], v[32:33], s[40:41], s[38:39]
	v_mul_f64 v[30:31], v[30:31], v[32:33]
	v_fma_f64 v[34:35], v[32:33], v[34:35], s[42:43]
	v_fma_f64 v[34:35], v[32:33], v[34:35], s[44:45]
	;; [unrolled: 1-line block ×5, first 2 shown]
	v_mul_f64 v[30:31], v[30:31], v[34:35]
	v_add_f64 v[32:33], v[36:37], v[30:31]
	v_add_f64 v[34:35], v[32:33], -v[36:37]
	v_add_f64 v[30:31], v[30:31], -v[34:35]
	v_add_f64 v[28:29], v[28:29], v[30:31]
	v_add_f64 v[30:31], v[32:33], v[28:29]
	v_add_f64 v[32:33], v[30:31], -v[32:33]
	v_add_f64 v[28:29], v[28:29], -v[32:33]
	v_cvt_f64_i32_e32 v[32:33], v42
	v_mul_f64 v[34:35], v[32:33], s[34:35]
	v_fma_f64 v[36:37], v[32:33], s[34:35], -v[34:35]
	v_fma_f64 v[32:33], v[32:33], s[36:37], v[36:37]
	v_add_f64 v[36:37], v[34:35], v[32:33]
	v_add_f64 v[34:35], v[36:37], -v[34:35]
	v_add_f64 v[32:33], v[32:33], -v[34:35]
	v_mul_f64 v[34:35], v[30:31], s[30:31]
	v_fma_f64 v[38:39], v[30:31], s[30:31], -v[34:35]
	v_fma_f64 v[28:29], v[28:29], s[30:31], v[38:39]
	v_fma_f64 v[28:29], v[30:31], s[28:29], v[28:29]
	v_add_f64 v[30:31], v[34:35], v[28:29]
	v_add_f64 v[34:35], v[30:31], -v[34:35]
	v_add_f64 v[28:29], v[28:29], -v[34:35]
	v_add_f64 v[34:35], v[36:37], v[30:31]
	v_add_f64 v[38:39], v[34:35], -v[36:37]
	v_add_f64 v[40:41], v[34:35], -v[38:39]
	v_add_f64 v[30:31], v[30:31], -v[38:39]
	v_add_f64 v[36:37], v[36:37], -v[40:41]
	v_add_f64 v[30:31], v[30:31], v[36:37]
	v_add_f64 v[36:37], v[32:33], v[28:29]
	v_add_f64 v[38:39], v[36:37], -v[32:33]
	v_add_f64 v[30:31], v[36:37], v[30:31]
	v_add_f64 v[40:41], v[36:37], -v[38:39]
	v_add_f64 v[28:29], v[28:29], -v[38:39]
	v_add_f64 v[32:33], v[32:33], -v[40:41]
	v_add_f64 v[28:29], v[28:29], v[32:33]
	v_add_f64 v[32:33], v[34:35], v[30:31]
	v_add_f64 v[34:35], v[32:33], -v[34:35]
	v_add_f64 v[30:31], v[30:31], -v[34:35]
	v_add_f64 v[28:29], v[28:29], v[30:31]
	v_add_f64 v[28:29], v[32:33], v[28:29]
	v_cndmask_b32_e32 v27, 0x7ff00000, v29, vcc_lo
	v_cndmask_b32_e32 v26, 0, v28, vcc_lo
	v_fma_f64 v[30:31], v[26:27], s[76:77], s[74:75]
	v_fma_f64 v[28:29], v[26:27], s[72:73], 0x3fe80000
	v_add_f64 v[24:25], v[24:25], -v[30:31]
	v_fma_f64 v[28:29], v[24:25], s[70:71], v[28:29]
	v_div_scale_f64 v[30:31], null, v[28:29], v[28:29], 1.0
	v_rcp_f64_e32 v[32:33], v[30:31]
	v_fma_f64 v[34:35], -v[30:31], v[32:33], 1.0
	v_fma_f64 v[32:33], v[32:33], v[34:35], v[32:33]
	v_fma_f64 v[34:35], -v[30:31], v[32:33], 1.0
	v_fma_f64 v[32:33], v[32:33], v[34:35], v[32:33]
	v_div_scale_f64 v[34:35], vcc_lo, 1.0, v[28:29], 1.0
	v_mul_f64 v[36:37], v[34:35], v[32:33]
	v_fma_f64 v[30:31], -v[30:31], v[36:37], v[34:35]
	v_div_fmas_f64 v[30:31], v[30:31], v[32:33], v[36:37]
	v_div_fixup_f64 v[28:29], v[30:31], v[28:29], 1.0
	v_mul_f64 v[24:25], v[24:25], v[28:29]
	v_fma_f64 v[24:25], v[24:25], v[24:25], 1.0
	v_div_scale_f64 v[28:29], null, v[24:25], v[24:25], 1.0
	v_rcp_f64_e32 v[30:31], v[28:29]
	v_fma_f64 v[32:33], -v[28:29], v[30:31], 1.0
	v_fma_f64 v[30:31], v[30:31], v[32:33], v[30:31]
	v_fma_f64 v[32:33], -v[28:29], v[30:31], 1.0
	v_fma_f64 v[30:31], v[30:31], v[32:33], v[30:31]
	v_div_scale_f64 v[32:33], vcc_lo, 1.0, v[24:25], 1.0
	v_mul_f64 v[34:35], v[32:33], v[30:31]
	v_fma_f64 v[28:29], -v[28:29], v[34:35], v[32:33]
	v_div_fmas_f64 v[28:29], v[28:29], v[30:31], v[34:35]
	v_div_fixup_f64 v[24:25], v[28:29], v[24:25], 1.0
	v_mul_f64 v[24:25], v[26:27], v[24:25]
	v_mul_f64 v[26:27], v[24:25], s[60:61]
	v_cmp_nlt_f64_e32 vcc_lo, 0x40900000, v[24:25]
	v_cmp_ngt_f64_e64 s0, 0xc090cc00, v[24:25]
	v_rndne_f64_e32 v[26:27], v[26:27]
	v_fma_f64 v[28:29], v[26:27], s[62:63], v[24:25]
	v_fma_f64 v[28:29], v[26:27], s[64:65], v[28:29]
	v_cvt_i32_f64_e32 v26, v[26:27]
	v_mul_f64 v[30:31], v[28:29], s[66:67]
	v_fma_f64 v[28:29], v[28:29], s[68:69], v[30:31]
	v_fma_f64 v[30:31], v[28:29], s[4:5], s[2:3]
	;; [unrolled: 1-line block ×10, first 2 shown]
	v_fma_f64 v[30:31], v[28:29], v[30:31], 1.0
	v_fma_f64 v[28:29], v[28:29], v[30:31], 1.0
	v_ldexp_f64 v[26:27], v[28:29], v26
	v_cndmask_b32_e32 v27, 0x7ff00000, v27, vcc_lo
	s_and_b32 vcc_lo, s0, vcc_lo
	v_cndmask_b32_e32 v24, 0, v26, vcc_lo
	v_add_co_u32 v16, vcc_lo, s14, v16
	v_cndmask_b32_e64 v25, 0, v27, s0
	v_add_co_ci_u32_e64 v17, null, s15, v17, vcc_lo
	v_add_co_u32 v14, vcc_lo, s16, v14
	v_mul_f64 v[22:23], v[22:23], v[24:25]
	v_add_co_ci_u32_e64 v15, null, s17, v15, vcc_lo
	s_mov_b32 s0, 0x57a786c2
	s_mov_b32 s1, 0x3fc432ca
	v_mul_f64 v[20:21], v[20:21], v[22:23]
	global_store_dwordx2 v[18:19], v[20:21], off
	global_load_dwordx2 v[18:19], v[16:17], off
	s_waitcnt vmcnt(0)
	v_mul_f64 v[18:19], v[18:19], v[22:23]
	global_load_dwordx2 v[21:22], v[14:15], off
	v_mad_u64_u32 v[14:15], null, s33, 14, v[2:3]
	v_mov_b32_e32 v15, v3
	global_store_dwordx2 v[16:17], v[18:19], off
	v_lshlrev_b64 v[15:16], 3, v[14:15]
	v_add_co_u32 v17, vcc_lo, s12, v15
	v_add_co_ci_u32_e64 v18, null, s13, v16, vcc_lo
	global_load_dwordx2 v[19:20], v[17:18], off
	s_waitcnt vmcnt(0)
	v_div_scale_f64 v[23:24], null, v[19:20], v[19:20], 1.0
	v_rcp_f64_e32 v[25:26], v[23:24]
	v_fma_f64 v[27:28], -v[23:24], v[25:26], 1.0
	v_fma_f64 v[25:26], v[25:26], v[27:28], v[25:26]
	v_fma_f64 v[27:28], -v[23:24], v[25:26], 1.0
	v_fma_f64 v[25:26], v[25:26], v[27:28], v[25:26]
	v_div_scale_f64 v[27:28], vcc_lo, 1.0, v[19:20], 1.0
	v_mul_f64 v[29:30], v[27:28], v[25:26]
	v_fma_f64 v[23:24], -v[23:24], v[29:30], v[27:28]
	v_div_fmas_f64 v[23:24], v[23:24], v[25:26], v[29:30]
	v_div_fixup_f64 v[23:24], v[23:24], v[19:20], 1.0
	v_mul_f64 v[23:24], v[10:11], v[23:24]
	v_mul_f64 v[25:26], v[21:22], v[23:24]
	v_fma_f64 v[21:22], v[21:22], v[23:24], 1.0
	v_div_scale_f64 v[23:24], null, v[21:22], v[21:22], 1.0
	v_rcp_f64_e32 v[27:28], v[23:24]
	v_fma_f64 v[29:30], -v[23:24], v[27:28], 1.0
	v_fma_f64 v[27:28], v[27:28], v[29:30], v[27:28]
	v_fma_f64 v[29:30], -v[23:24], v[27:28], 1.0
	v_fma_f64 v[27:28], v[27:28], v[29:30], v[27:28]
	v_div_scale_f64 v[29:30], vcc_lo, 1.0, v[21:22], 1.0
	v_mul_f64 v[31:32], v[29:30], v[27:28]
	v_fma_f64 v[23:24], -v[23:24], v[31:32], v[29:30]
	v_div_fmas_f64 v[23:24], v[23:24], v[27:28], v[31:32]
	v_div_fixup_f64 v[21:22], v[23:24], v[21:22], 1.0
	v_max_f64 v[23:24], 0x38100000, v[25:26]
	v_mul_f64 v[21:22], v[25:26], v[21:22]
	v_frexp_mant_f64_e32 v[25:26], v[23:24]
	v_frexp_exp_i32_f64_e32 v2, v[23:24]
	v_cmp_gt_f64_e32 vcc_lo, s[52:53], v[25:26]
	v_cndmask_b32_e64 v27, 0, 1, vcc_lo
	v_subrev_co_ci_u32_e64 v2, null, 0, v2, vcc_lo
	v_cmp_neq_f64_e32 vcc_lo, 0x7ff00000, v[23:24]
	v_ldexp_f64 v[25:26], v[25:26], v27
	v_add_f64 v[29:30], v[25:26], 1.0
	v_add_f64 v[27:28], v[25:26], -1.0
	v_add_f64 v[31:32], v[29:30], -1.0
	v_add_f64 v[25:26], v[25:26], -v[31:32]
	v_rcp_f64_e32 v[31:32], v[29:30]
	v_fma_f64 v[33:34], -v[29:30], v[31:32], 1.0
	v_fma_f64 v[31:32], v[33:34], v[31:32], v[31:32]
	v_fma_f64 v[33:34], -v[29:30], v[31:32], 1.0
	v_fma_f64 v[31:32], v[33:34], v[31:32], v[31:32]
	v_mul_f64 v[33:34], v[27:28], v[31:32]
	v_mul_f64 v[35:36], v[29:30], v[33:34]
	v_fma_f64 v[29:30], v[33:34], v[29:30], -v[35:36]
	v_fma_f64 v[25:26], v[33:34], v[25:26], v[29:30]
	v_add_f64 v[29:30], v[35:36], v[25:26]
	v_add_f64 v[37:38], v[27:28], -v[29:30]
	v_add_f64 v[35:36], v[29:30], -v[35:36]
	;; [unrolled: 1-line block ×5, first 2 shown]
	v_add_f64 v[25:26], v[25:26], v[27:28]
	v_add_f64 v[25:26], v[37:38], v[25:26]
	v_mul_f64 v[25:26], v[31:32], v[25:26]
	v_add_f64 v[27:28], v[33:34], v[25:26]
	v_add_f64 v[29:30], v[27:28], -v[33:34]
	v_ldexp_f64 v[33:34], v[27:28], 1
	v_add_f64 v[25:26], v[25:26], -v[29:30]
	v_mul_f64 v[29:30], v[27:28], v[27:28]
	v_ldexp_f64 v[25:26], v[25:26], 1
	v_fma_f64 v[31:32], v[29:30], s[40:41], s[38:39]
	v_mul_f64 v[27:28], v[27:28], v[29:30]
	v_fma_f64 v[31:32], v[29:30], v[31:32], s[42:43]
	v_fma_f64 v[31:32], v[29:30], v[31:32], s[44:45]
	;; [unrolled: 1-line block ×5, first 2 shown]
	v_mul_f64 v[27:28], v[27:28], v[31:32]
	v_add_f64 v[29:30], v[33:34], v[27:28]
	v_add_f64 v[31:32], v[29:30], -v[33:34]
	v_add_f64 v[27:28], v[27:28], -v[31:32]
	v_add_f64 v[25:26], v[25:26], v[27:28]
	v_add_f64 v[27:28], v[29:30], v[25:26]
	v_add_f64 v[29:30], v[27:28], -v[29:30]
	v_add_f64 v[25:26], v[25:26], -v[29:30]
	v_cvt_f64_i32_e32 v[29:30], v2
	v_mul_f64 v[31:32], v[29:30], s[34:35]
	v_fma_f64 v[33:34], v[29:30], s[34:35], -v[31:32]
	v_fma_f64 v[29:30], v[29:30], s[36:37], v[33:34]
	v_add_f64 v[33:34], v[31:32], v[29:30]
	v_add_f64 v[31:32], v[33:34], -v[31:32]
	v_add_f64 v[29:30], v[29:30], -v[31:32]
	v_mul_f64 v[31:32], v[27:28], s[30:31]
	v_fma_f64 v[35:36], v[27:28], s[30:31], -v[31:32]
	v_fma_f64 v[25:26], v[25:26], s[30:31], v[35:36]
	v_fma_f64 v[25:26], v[27:28], s[28:29], v[25:26]
	v_add_f64 v[27:28], v[31:32], v[25:26]
	v_add_f64 v[31:32], v[27:28], -v[31:32]
	v_add_f64 v[25:26], v[25:26], -v[31:32]
	v_add_f64 v[31:32], v[33:34], v[27:28]
	v_add_f64 v[35:36], v[31:32], -v[33:34]
	v_add_f64 v[37:38], v[31:32], -v[35:36]
	;; [unrolled: 1-line block ×4, first 2 shown]
	v_add_f64 v[27:28], v[27:28], v[33:34]
	v_add_f64 v[33:34], v[29:30], v[25:26]
	v_add_f64 v[35:36], v[33:34], -v[29:30]
	v_add_f64 v[27:28], v[33:34], v[27:28]
	v_add_f64 v[37:38], v[33:34], -v[35:36]
	v_add_f64 v[25:26], v[25:26], -v[35:36]
	;; [unrolled: 1-line block ×3, first 2 shown]
	v_add_f64 v[25:26], v[25:26], v[29:30]
	v_add_f64 v[29:30], v[31:32], v[27:28]
	v_add_f64 v[31:32], v[29:30], -v[31:32]
	v_add_f64 v[27:28], v[27:28], -v[31:32]
	v_add_f64 v[25:26], v[25:26], v[27:28]
	v_add_f64 v[25:26], v[29:30], v[25:26]
	v_cndmask_b32_e32 v24, 0x7ff00000, v26, vcc_lo
	v_cndmask_b32_e32 v23, 0, v25, vcc_lo
	v_mul_f64 v[25:26], v[0:1], s[80:81]
	s_mov_b32 s81, 0xbf50624d
	v_mul_f64 v[27:28], v[25:26], s[58:59]
	v_cmp_nlt_f64_e32 vcc_lo, 0x40900000, v[25:26]
	v_rndne_f64_e32 v[27:28], v[27:28]
	v_fma_f64 v[29:30], v[27:28], s[56:57], v[25:26]
	v_cvt_i32_f64_e32 v2, v[27:28]
	v_fma_f64 v[29:30], v[27:28], s[54:55], v[29:30]
	v_fma_f64 v[31:32], v[29:30], s[4:5], s[2:3]
	v_fma_f64 v[31:32], v[29:30], v[31:32], s[6:7]
	v_fma_f64 v[31:32], v[29:30], v[31:32], s[8:9]
	v_fma_f64 v[31:32], v[29:30], v[31:32], s[10:11]
	v_fma_f64 v[31:32], v[29:30], v[31:32], s[18:19]
	v_fma_f64 v[31:32], v[29:30], v[31:32], s[20:21]
	v_fma_f64 v[31:32], v[29:30], v[31:32], s[22:23]
	v_fma_f64 v[31:32], v[29:30], v[31:32], s[24:25]
	v_fma_f64 v[31:32], v[29:30], v[31:32], s[26:27]
	v_fma_f64 v[31:32], v[29:30], v[31:32], 1.0
	v_fma_f64 v[29:30], v[29:30], v[31:32], 1.0
	v_ldexp_f64 v[27:28], v[29:30], v2
	v_mul_f64 v[27:28], v[27:28], s[0:1]
	v_cmp_ngt_f64_e64 s0, 0xc090cc00, v[25:26]
	v_cndmask_b32_e32 v2, 0x7ff00000, v28, vcc_lo
	s_and_b32 vcc_lo, s0, vcc_lo
	v_cndmask_b32_e32 v25, 0, v27, vcc_lo
	v_cndmask_b32_e64 v26, 0, v2, s0
	s_mov_b32 s0, 0xd19f527d
	s_mov_b32 s1, 0xbf3d88b5
	v_mul_f64 v[27:28], v[0:1], s[0:1]
	s_mov_b32 s0, 0x6a161e4f
	s_mov_b32 s1, 0x3feaf34d
	v_mul_f64 v[29:30], v[27:28], s[58:59]
	v_cmp_nlt_f64_e32 vcc_lo, 0x40900000, v[27:28]
	v_rndne_f64_e32 v[29:30], v[29:30]
	v_fma_f64 v[31:32], v[29:30], s[56:57], v[27:28]
	v_cvt_i32_f64_e32 v2, v[29:30]
	v_fma_f64 v[31:32], v[29:30], s[54:55], v[31:32]
	v_fma_f64 v[33:34], v[31:32], s[4:5], s[2:3]
	;; [unrolled: 1-line block ×10, first 2 shown]
	v_fma_f64 v[33:34], v[31:32], v[33:34], 1.0
	v_fma_f64 v[31:32], v[31:32], v[33:34], 1.0
	v_ldexp_f64 v[29:30], v[31:32], v2
	v_mul_f64 v[29:30], v[29:30], s[0:1]
	v_cmp_ngt_f64_e64 s0, 0xc090cc00, v[27:28]
	v_cndmask_b32_e32 v2, 0x7ff00000, v30, vcc_lo
	s_and_b32 vcc_lo, s0, vcc_lo
	v_cndmask_b32_e32 v27, 0, v29, vcc_lo
	v_cndmask_b32_e64 v28, 0, v2, s0
	v_add_f64 v[25:26], v[25:26], v[27:28]
	v_mul_f64 v[27:28], 0xc0bae200, v[12:13]
	v_mul_f64 v[29:30], v[27:28], s[58:59]
	v_cmp_nlt_f64_e32 vcc_lo, 0x40900000, v[27:28]
	v_cmp_ngt_f64_e64 s0, 0xc090cc00, v[27:28]
	v_rndne_f64_e32 v[29:30], v[29:30]
	v_fma_f64 v[31:32], v[29:30], s[56:57], v[27:28]
	v_cvt_i32_f64_e32 v2, v[29:30]
	v_fma_f64 v[31:32], v[29:30], s[54:55], v[31:32]
	v_fma_f64 v[33:34], v[31:32], s[4:5], s[2:3]
	;; [unrolled: 1-line block ×10, first 2 shown]
	v_fma_f64 v[33:34], v[31:32], v[33:34], 1.0
	v_fma_f64 v[31:32], v[31:32], v[33:34], 1.0
	v_ldexp_f64 v[29:30], v[31:32], v2
	v_cndmask_b32_e32 v2, 0x7ff00000, v30, vcc_lo
	s_and_b32 vcc_lo, s0, vcc_lo
	v_cndmask_b32_e32 v27, 0, v29, vcc_lo
	v_cndmask_b32_e64 v28, 0, v2, s0
	v_add_f64 v[25:26], v[27:28], v[25:26]
	v_max_f64 v[25:26], 0x38100000, v[25:26]
	v_frexp_mant_f64_e32 v[27:28], v[25:26]
	v_frexp_exp_i32_f64_e32 v2, v[25:26]
	v_cmp_gt_f64_e32 vcc_lo, s[52:53], v[27:28]
	v_cndmask_b32_e64 v29, 0, 1, vcc_lo
	v_subrev_co_ci_u32_e64 v2, null, 0, v2, vcc_lo
	v_cmp_neq_f64_e32 vcc_lo, 0x7ff00000, v[25:26]
	v_ldexp_f64 v[27:28], v[27:28], v29
	v_add_f64 v[31:32], v[27:28], 1.0
	v_add_f64 v[29:30], v[27:28], -1.0
	v_add_f64 v[33:34], v[31:32], -1.0
	v_add_f64 v[27:28], v[27:28], -v[33:34]
	v_rcp_f64_e32 v[33:34], v[31:32]
	v_fma_f64 v[35:36], -v[31:32], v[33:34], 1.0
	v_fma_f64 v[33:34], v[35:36], v[33:34], v[33:34]
	v_fma_f64 v[35:36], -v[31:32], v[33:34], 1.0
	v_fma_f64 v[33:34], v[35:36], v[33:34], v[33:34]
	v_mul_f64 v[35:36], v[29:30], v[33:34]
	v_mul_f64 v[37:38], v[31:32], v[35:36]
	v_fma_f64 v[31:32], v[35:36], v[31:32], -v[37:38]
	v_fma_f64 v[27:28], v[35:36], v[27:28], v[31:32]
	v_add_f64 v[31:32], v[37:38], v[27:28]
	v_add_f64 v[39:40], v[29:30], -v[31:32]
	v_add_f64 v[37:38], v[31:32], -v[37:38]
	;; [unrolled: 1-line block ×5, first 2 shown]
	v_add_f64 v[27:28], v[27:28], v[29:30]
	v_add_f64 v[27:28], v[39:40], v[27:28]
	v_mul_f64 v[27:28], v[33:34], v[27:28]
	v_add_f64 v[29:30], v[35:36], v[27:28]
	v_add_f64 v[31:32], v[29:30], -v[35:36]
	v_ldexp_f64 v[35:36], v[29:30], 1
	v_add_f64 v[27:28], v[27:28], -v[31:32]
	v_mul_f64 v[31:32], v[29:30], v[29:30]
	v_ldexp_f64 v[27:28], v[27:28], 1
	v_fma_f64 v[33:34], v[31:32], s[40:41], s[38:39]
	v_mul_f64 v[29:30], v[29:30], v[31:32]
	v_fma_f64 v[33:34], v[31:32], v[33:34], s[42:43]
	v_fma_f64 v[33:34], v[31:32], v[33:34], s[44:45]
	v_fma_f64 v[33:34], v[31:32], v[33:34], s[46:47]
	v_fma_f64 v[33:34], v[31:32], v[33:34], s[48:49]
	v_fma_f64 v[33:34], v[31:32], v[33:34], s[50:51]
	v_mul_f64 v[29:30], v[29:30], v[33:34]
	v_add_f64 v[31:32], v[35:36], v[29:30]
	v_add_f64 v[33:34], v[31:32], -v[35:36]
	v_add_f64 v[29:30], v[29:30], -v[33:34]
	v_add_f64 v[27:28], v[27:28], v[29:30]
	v_add_f64 v[29:30], v[31:32], v[27:28]
	v_add_f64 v[31:32], v[29:30], -v[31:32]
	v_add_f64 v[27:28], v[27:28], -v[31:32]
	v_cvt_f64_i32_e32 v[31:32], v2
	v_mul_f64 v[33:34], v[31:32], s[34:35]
	v_fma_f64 v[35:36], v[31:32], s[34:35], -v[33:34]
	v_fma_f64 v[31:32], v[31:32], s[36:37], v[35:36]
	v_add_f64 v[35:36], v[33:34], v[31:32]
	v_add_f64 v[33:34], v[35:36], -v[33:34]
	v_add_f64 v[31:32], v[31:32], -v[33:34]
	v_mul_f64 v[33:34], v[29:30], s[30:31]
	v_fma_f64 v[37:38], v[29:30], s[30:31], -v[33:34]
	v_fma_f64 v[27:28], v[27:28], s[30:31], v[37:38]
	v_fma_f64 v[27:28], v[29:30], s[28:29], v[27:28]
	v_add_f64 v[29:30], v[33:34], v[27:28]
	v_add_f64 v[33:34], v[29:30], -v[33:34]
	v_add_f64 v[27:28], v[27:28], -v[33:34]
	v_add_f64 v[33:34], v[35:36], v[29:30]
	v_add_f64 v[37:38], v[33:34], -v[35:36]
	v_add_f64 v[39:40], v[33:34], -v[37:38]
	;; [unrolled: 1-line block ×4, first 2 shown]
	v_add_f64 v[29:30], v[29:30], v[35:36]
	v_add_f64 v[35:36], v[31:32], v[27:28]
	v_add_f64 v[37:38], v[35:36], -v[31:32]
	v_add_f64 v[29:30], v[35:36], v[29:30]
	v_add_f64 v[39:40], v[35:36], -v[37:38]
	v_add_f64 v[27:28], v[27:28], -v[37:38]
	;; [unrolled: 1-line block ×3, first 2 shown]
	v_add_f64 v[27:28], v[27:28], v[31:32]
	v_add_f64 v[31:32], v[33:34], v[29:30]
	v_add_f64 v[33:34], v[31:32], -v[33:34]
	v_add_f64 v[29:30], v[29:30], -v[33:34]
	v_add_f64 v[27:28], v[27:28], v[29:30]
	v_add_f64 v[27:28], v[31:32], v[27:28]
	v_cndmask_b32_e32 v26, 0x7ff00000, v28, vcc_lo
	v_cndmask_b32_e32 v25, 0, v27, vcc_lo
	v_fma_f64 v[29:30], v[25:26], s[76:77], s[74:75]
	v_fma_f64 v[27:28], v[25:26], s[72:73], 0x3fe80000
	v_add_f64 v[23:24], v[23:24], -v[29:30]
	v_fma_f64 v[27:28], v[23:24], s[70:71], v[27:28]
	v_div_scale_f64 v[29:30], null, v[27:28], v[27:28], 1.0
	v_rcp_f64_e32 v[31:32], v[29:30]
	v_fma_f64 v[33:34], -v[29:30], v[31:32], 1.0
	v_fma_f64 v[31:32], v[31:32], v[33:34], v[31:32]
	v_fma_f64 v[33:34], -v[29:30], v[31:32], 1.0
	v_fma_f64 v[31:32], v[31:32], v[33:34], v[31:32]
	v_div_scale_f64 v[33:34], vcc_lo, 1.0, v[27:28], 1.0
	v_mul_f64 v[35:36], v[33:34], v[31:32]
	v_fma_f64 v[29:30], -v[29:30], v[35:36], v[33:34]
	v_div_fmas_f64 v[29:30], v[29:30], v[31:32], v[35:36]
	v_div_fixup_f64 v[27:28], v[29:30], v[27:28], 1.0
	v_mul_f64 v[23:24], v[23:24], v[27:28]
	v_fma_f64 v[23:24], v[23:24], v[23:24], 1.0
	v_div_scale_f64 v[27:28], null, v[23:24], v[23:24], 1.0
	v_rcp_f64_e32 v[29:30], v[27:28]
	v_fma_f64 v[31:32], -v[27:28], v[29:30], 1.0
	v_fma_f64 v[29:30], v[29:30], v[31:32], v[29:30]
	v_fma_f64 v[31:32], -v[27:28], v[29:30], 1.0
	v_fma_f64 v[29:30], v[29:30], v[31:32], v[29:30]
	v_div_scale_f64 v[31:32], vcc_lo, 1.0, v[23:24], 1.0
	v_mul_f64 v[33:34], v[31:32], v[29:30]
	v_fma_f64 v[27:28], -v[27:28], v[33:34], v[31:32]
	v_div_fmas_f64 v[27:28], v[27:28], v[29:30], v[33:34]
	v_div_fixup_f64 v[23:24], v[27:28], v[23:24], 1.0
	v_mul_f64 v[23:24], v[25:26], v[23:24]
	v_mul_f64 v[25:26], v[23:24], s[60:61]
	v_cmp_nlt_f64_e32 vcc_lo, 0x40900000, v[23:24]
	v_cmp_ngt_f64_e64 s0, 0xc090cc00, v[23:24]
	v_rndne_f64_e32 v[25:26], v[25:26]
	v_fma_f64 v[27:28], v[25:26], s[62:63], v[23:24]
	v_cvt_i32_f64_e32 v2, v[25:26]
	v_fma_f64 v[27:28], v[25:26], s[64:65], v[27:28]
	v_mul_f64 v[29:30], v[27:28], s[66:67]
	v_fma_f64 v[27:28], v[27:28], s[68:69], v[29:30]
	v_fma_f64 v[29:30], v[27:28], s[4:5], s[2:3]
	;; [unrolled: 1-line block ×10, first 2 shown]
	v_fma_f64 v[29:30], v[27:28], v[29:30], 1.0
	v_fma_f64 v[27:28], v[27:28], v[29:30], 1.0
	v_ldexp_f64 v[25:26], v[27:28], v2
	v_cndmask_b32_e32 v2, 0x7ff00000, v26, vcc_lo
	s_and_b32 vcc_lo, s0, vcc_lo
	v_cndmask_b32_e32 v23, 0, v25, vcc_lo
	v_add_co_u32 v15, vcc_lo, s14, v15
	v_cndmask_b32_e64 v24, 0, v2, s0
	v_add_co_ci_u32_e64 v16, null, s15, v16, vcc_lo
	v_add_co_u32 v8, vcc_lo, s16, v8
	v_mul_f64 v[21:22], v[21:22], v[23:24]
	v_add_co_ci_u32_e64 v9, null, s17, v9, vcc_lo
	s_mov_b32 s0, 0xd2922395
	s_mov_b32 s1, 0xbf4de1a6
	v_mul_f64 v[19:20], v[19:20], v[21:22]
	global_store_dwordx2 v[17:18], v[19:20], off
	global_load_dwordx2 v[17:18], v[15:16], off
	s_waitcnt vmcnt(0)
	v_mul_f64 v[17:18], v[17:18], v[21:22]
	global_load_dwordx2 v[20:21], v[8:9], off
	v_mad_u64_u32 v[8:9], null, s33, 15, v[14:15]
	v_mov_b32_e32 v9, v3
	global_store_dwordx2 v[15:16], v[17:18], off
	v_lshlrev_b64 v[14:15], 3, v[8:9]
	v_add_co_u32 v16, vcc_lo, s12, v14
	v_add_co_ci_u32_e64 v17, null, s13, v15, vcc_lo
	global_load_dwordx2 v[18:19], v[16:17], off
	s_waitcnt vmcnt(0)
	v_div_scale_f64 v[22:23], null, v[18:19], v[18:19], 1.0
	v_rcp_f64_e32 v[24:25], v[22:23]
	v_fma_f64 v[26:27], -v[22:23], v[24:25], 1.0
	v_fma_f64 v[24:25], v[24:25], v[26:27], v[24:25]
	v_fma_f64 v[26:27], -v[22:23], v[24:25], 1.0
	v_fma_f64 v[24:25], v[24:25], v[26:27], v[24:25]
	v_div_scale_f64 v[26:27], vcc_lo, 1.0, v[18:19], 1.0
	v_mul_f64 v[28:29], v[26:27], v[24:25]
	v_fma_f64 v[22:23], -v[22:23], v[28:29], v[26:27]
	v_div_fmas_f64 v[22:23], v[22:23], v[24:25], v[28:29]
	v_div_fixup_f64 v[22:23], v[22:23], v[18:19], 1.0
	v_mul_f64 v[9:10], v[10:11], v[22:23]
	v_mul_f64 v[22:23], v[20:21], v[9:10]
	v_fma_f64 v[9:10], v[20:21], v[9:10], 1.0
	v_div_scale_f64 v[20:21], null, v[9:10], v[9:10], 1.0
	v_rcp_f64_e32 v[24:25], v[20:21]
	v_fma_f64 v[26:27], -v[20:21], v[24:25], 1.0
	v_fma_f64 v[24:25], v[24:25], v[26:27], v[24:25]
	v_fma_f64 v[26:27], -v[20:21], v[24:25], 1.0
	v_fma_f64 v[24:25], v[24:25], v[26:27], v[24:25]
	v_div_scale_f64 v[26:27], vcc_lo, 1.0, v[9:10], 1.0
	v_mul_f64 v[28:29], v[26:27], v[24:25]
	v_fma_f64 v[20:21], -v[20:21], v[28:29], v[26:27]
	v_div_fmas_f64 v[20:21], v[20:21], v[24:25], v[28:29]
	v_div_fixup_f64 v[9:10], v[20:21], v[9:10], 1.0
	v_max_f64 v[20:21], 0x38100000, v[22:23]
	v_mul_f64 v[9:10], v[22:23], v[9:10]
	v_frexp_mant_f64_e32 v[22:23], v[20:21]
	v_frexp_exp_i32_f64_e32 v2, v[20:21]
	v_cmp_gt_f64_e32 vcc_lo, s[52:53], v[22:23]
	v_cndmask_b32_e64 v11, 0, 1, vcc_lo
	v_subrev_co_ci_u32_e64 v2, null, 0, v2, vcc_lo
	v_cmp_neq_f64_e32 vcc_lo, 0x7ff00000, v[20:21]
	v_ldexp_f64 v[22:23], v[22:23], v11
	v_add_f64 v[26:27], v[22:23], 1.0
	v_add_f64 v[24:25], v[22:23], -1.0
	v_add_f64 v[28:29], v[26:27], -1.0
	v_add_f64 v[22:23], v[22:23], -v[28:29]
	v_rcp_f64_e32 v[28:29], v[26:27]
	v_fma_f64 v[30:31], -v[26:27], v[28:29], 1.0
	v_fma_f64 v[28:29], v[30:31], v[28:29], v[28:29]
	v_fma_f64 v[30:31], -v[26:27], v[28:29], 1.0
	v_fma_f64 v[28:29], v[30:31], v[28:29], v[28:29]
	v_mul_f64 v[30:31], v[24:25], v[28:29]
	v_mul_f64 v[32:33], v[26:27], v[30:31]
	v_fma_f64 v[26:27], v[30:31], v[26:27], -v[32:33]
	v_fma_f64 v[22:23], v[30:31], v[22:23], v[26:27]
	v_add_f64 v[26:27], v[32:33], v[22:23]
	v_add_f64 v[34:35], v[24:25], -v[26:27]
	v_add_f64 v[32:33], v[26:27], -v[32:33]
	;; [unrolled: 1-line block ×5, first 2 shown]
	v_add_f64 v[22:23], v[22:23], v[24:25]
	v_add_f64 v[22:23], v[34:35], v[22:23]
	v_mul_f64 v[22:23], v[28:29], v[22:23]
	v_add_f64 v[24:25], v[30:31], v[22:23]
	v_add_f64 v[26:27], v[24:25], -v[30:31]
	v_ldexp_f64 v[30:31], v[24:25], 1
	v_add_f64 v[22:23], v[22:23], -v[26:27]
	v_mul_f64 v[26:27], v[24:25], v[24:25]
	v_ldexp_f64 v[22:23], v[22:23], 1
	v_fma_f64 v[28:29], v[26:27], s[40:41], s[38:39]
	v_mul_f64 v[24:25], v[24:25], v[26:27]
	v_fma_f64 v[28:29], v[26:27], v[28:29], s[42:43]
	v_fma_f64 v[28:29], v[26:27], v[28:29], s[44:45]
	;; [unrolled: 1-line block ×5, first 2 shown]
	v_mul_f64 v[24:25], v[24:25], v[28:29]
	v_add_f64 v[26:27], v[30:31], v[24:25]
	v_add_f64 v[28:29], v[26:27], -v[30:31]
	v_add_f64 v[24:25], v[24:25], -v[28:29]
	v_add_f64 v[22:23], v[22:23], v[24:25]
	v_add_f64 v[24:25], v[26:27], v[22:23]
	v_add_f64 v[26:27], v[24:25], -v[26:27]
	v_add_f64 v[22:23], v[22:23], -v[26:27]
	v_cvt_f64_i32_e32 v[26:27], v2
	v_mul_f64 v[28:29], v[26:27], s[34:35]
	v_fma_f64 v[30:31], v[26:27], s[34:35], -v[28:29]
	v_fma_f64 v[26:27], v[26:27], s[36:37], v[30:31]
	v_add_f64 v[30:31], v[28:29], v[26:27]
	v_add_f64 v[28:29], v[30:31], -v[28:29]
	v_add_f64 v[26:27], v[26:27], -v[28:29]
	v_mul_f64 v[28:29], v[24:25], s[30:31]
	v_fma_f64 v[32:33], v[24:25], s[30:31], -v[28:29]
	v_fma_f64 v[22:23], v[22:23], s[30:31], v[32:33]
	v_fma_f64 v[22:23], v[24:25], s[28:29], v[22:23]
	v_add_f64 v[24:25], v[28:29], v[22:23]
	v_add_f64 v[28:29], v[24:25], -v[28:29]
	v_add_f64 v[22:23], v[22:23], -v[28:29]
	v_add_f64 v[28:29], v[30:31], v[24:25]
	v_add_f64 v[32:33], v[28:29], -v[30:31]
	v_add_f64 v[34:35], v[28:29], -v[32:33]
	;; [unrolled: 1-line block ×4, first 2 shown]
	v_add_f64 v[24:25], v[24:25], v[30:31]
	v_add_f64 v[30:31], v[26:27], v[22:23]
	v_add_f64 v[32:33], v[30:31], -v[26:27]
	v_add_f64 v[24:25], v[30:31], v[24:25]
	v_add_f64 v[34:35], v[30:31], -v[32:33]
	v_add_f64 v[22:23], v[22:23], -v[32:33]
	;; [unrolled: 1-line block ×3, first 2 shown]
	v_add_f64 v[22:23], v[22:23], v[26:27]
	v_add_f64 v[26:27], v[28:29], v[24:25]
	v_add_f64 v[28:29], v[26:27], -v[28:29]
	v_add_f64 v[24:25], v[24:25], -v[28:29]
	v_add_f64 v[22:23], v[22:23], v[24:25]
	v_add_f64 v[22:23], v[26:27], v[22:23]
	v_cndmask_b32_e32 v21, 0x7ff00000, v23, vcc_lo
	v_cndmask_b32_e32 v20, 0, v22, vcc_lo
	v_mul_f64 v[22:23], v[0:1], s[0:1]
	v_mul_f64 v[24:25], v[22:23], s[58:59]
	v_cmp_nlt_f64_e32 vcc_lo, 0x40900000, v[22:23]
	v_cmp_ngt_f64_e64 s0, 0xc090cc00, v[22:23]
	v_rndne_f64_e32 v[24:25], v[24:25]
	v_fma_f64 v[26:27], v[24:25], s[56:57], v[22:23]
	v_cvt_i32_f64_e32 v2, v[24:25]
	v_fma_f64 v[26:27], v[24:25], s[54:55], v[26:27]
	v_fma_f64 v[28:29], v[26:27], s[4:5], s[2:3]
	;; [unrolled: 1-line block ×10, first 2 shown]
	v_fma_f64 v[28:29], v[26:27], v[28:29], 1.0
	v_fma_f64 v[26:27], v[26:27], v[28:29], 1.0
	v_ldexp_f64 v[24:25], v[26:27], v2
	v_cndmask_b32_e32 v2, 0x7ff00000, v25, vcc_lo
	s_and_b32 vcc_lo, s0, vcc_lo
	v_cndmask_b32_e32 v22, 0, v24, vcc_lo
	v_cndmask_b32_e64 v23, 0, v2, s0
	s_mov_b32 s0, 0xf5c28f5c
	s_mov_b32 s1, 0x3fef5c28
	v_mul_f64 v[24:25], v[22:23], s[78:79]
	v_fma_f64 v[22:23], v[22:23], s[0:1], v[24:25]
	v_mul_f64 v[24:25], 0xc0bacb80, v[12:13]
	v_mul_f64 v[12:13], 0xc0e77c20, v[12:13]
	;; [unrolled: 1-line block ×3, first 2 shown]
	v_cmp_nlt_f64_e32 vcc_lo, 0x40900000, v[24:25]
	v_cmp_ngt_f64_e64 s0, 0xc090cc00, v[24:25]
	v_rndne_f64_e32 v[26:27], v[26:27]
	v_fma_f64 v[28:29], v[26:27], s[56:57], v[24:25]
	v_cvt_i32_f64_e32 v2, v[26:27]
	v_fma_f64 v[28:29], v[26:27], s[54:55], v[28:29]
	v_fma_f64 v[30:31], v[28:29], s[4:5], s[2:3]
	;; [unrolled: 1-line block ×10, first 2 shown]
	v_fma_f64 v[30:31], v[28:29], v[30:31], 1.0
	v_fma_f64 v[28:29], v[28:29], v[30:31], 1.0
	v_ldexp_f64 v[26:27], v[28:29], v2
	v_cndmask_b32_e32 v2, 0x7ff00000, v27, vcc_lo
	s_and_b32 vcc_lo, s0, vcc_lo
	v_cndmask_b32_e32 v24, 0, v26, vcc_lo
	v_cndmask_b32_e64 v25, 0, v2, s0
	v_add_f64 v[22:23], v[24:25], v[22:23]
	v_max_f64 v[22:23], 0x38100000, v[22:23]
	v_frexp_mant_f64_e32 v[24:25], v[22:23]
	v_frexp_exp_i32_f64_e32 v2, v[22:23]
	v_cmp_gt_f64_e32 vcc_lo, s[52:53], v[24:25]
	v_cndmask_b32_e64 v11, 0, 1, vcc_lo
	v_subrev_co_ci_u32_e64 v2, null, 0, v2, vcc_lo
	v_cmp_neq_f64_e32 vcc_lo, 0x7ff00000, v[22:23]
	v_ldexp_f64 v[24:25], v[24:25], v11
	v_add_f64 v[28:29], v[24:25], 1.0
	v_add_f64 v[26:27], v[24:25], -1.0
	v_add_f64 v[30:31], v[28:29], -1.0
	v_add_f64 v[24:25], v[24:25], -v[30:31]
	v_rcp_f64_e32 v[30:31], v[28:29]
	v_fma_f64 v[32:33], -v[28:29], v[30:31], 1.0
	v_fma_f64 v[30:31], v[32:33], v[30:31], v[30:31]
	v_fma_f64 v[32:33], -v[28:29], v[30:31], 1.0
	v_fma_f64 v[30:31], v[32:33], v[30:31], v[30:31]
	v_mul_f64 v[32:33], v[26:27], v[30:31]
	v_mul_f64 v[34:35], v[28:29], v[32:33]
	v_fma_f64 v[28:29], v[32:33], v[28:29], -v[34:35]
	v_fma_f64 v[24:25], v[32:33], v[24:25], v[28:29]
	v_add_f64 v[28:29], v[34:35], v[24:25]
	v_add_f64 v[36:37], v[26:27], -v[28:29]
	v_add_f64 v[34:35], v[28:29], -v[34:35]
	;; [unrolled: 1-line block ×5, first 2 shown]
	v_add_f64 v[24:25], v[24:25], v[26:27]
	v_add_f64 v[24:25], v[36:37], v[24:25]
	v_mul_f64 v[24:25], v[30:31], v[24:25]
	v_add_f64 v[26:27], v[32:33], v[24:25]
	v_add_f64 v[28:29], v[26:27], -v[32:33]
	v_ldexp_f64 v[32:33], v[26:27], 1
	v_add_f64 v[24:25], v[24:25], -v[28:29]
	v_mul_f64 v[28:29], v[26:27], v[26:27]
	v_ldexp_f64 v[24:25], v[24:25], 1
	v_fma_f64 v[30:31], v[28:29], s[40:41], s[38:39]
	v_mul_f64 v[26:27], v[26:27], v[28:29]
	v_fma_f64 v[30:31], v[28:29], v[30:31], s[42:43]
	v_fma_f64 v[30:31], v[28:29], v[30:31], s[44:45]
	;; [unrolled: 1-line block ×5, first 2 shown]
	v_mul_f64 v[26:27], v[26:27], v[30:31]
	v_add_f64 v[28:29], v[32:33], v[26:27]
	v_add_f64 v[30:31], v[28:29], -v[32:33]
	v_add_f64 v[26:27], v[26:27], -v[30:31]
	v_add_f64 v[24:25], v[24:25], v[26:27]
	v_add_f64 v[26:27], v[28:29], v[24:25]
	v_add_f64 v[28:29], v[26:27], -v[28:29]
	v_add_f64 v[24:25], v[24:25], -v[28:29]
	v_cvt_f64_i32_e32 v[28:29], v2
	v_mul_f64 v[30:31], v[28:29], s[34:35]
	v_fma_f64 v[32:33], v[28:29], s[34:35], -v[30:31]
	v_fma_f64 v[28:29], v[28:29], s[36:37], v[32:33]
	v_add_f64 v[32:33], v[30:31], v[28:29]
	v_add_f64 v[30:31], v[32:33], -v[30:31]
	v_add_f64 v[28:29], v[28:29], -v[30:31]
	v_mul_f64 v[30:31], v[26:27], s[30:31]
	v_fma_f64 v[34:35], v[26:27], s[30:31], -v[30:31]
	v_fma_f64 v[24:25], v[24:25], s[30:31], v[34:35]
	v_fma_f64 v[24:25], v[26:27], s[28:29], v[24:25]
	v_add_f64 v[26:27], v[30:31], v[24:25]
	v_add_f64 v[30:31], v[26:27], -v[30:31]
	v_add_f64 v[24:25], v[24:25], -v[30:31]
	v_add_f64 v[30:31], v[32:33], v[26:27]
	v_add_f64 v[34:35], v[30:31], -v[32:33]
	v_add_f64 v[36:37], v[30:31], -v[34:35]
	;; [unrolled: 1-line block ×4, first 2 shown]
	v_add_f64 v[26:27], v[26:27], v[32:33]
	v_add_f64 v[32:33], v[28:29], v[24:25]
	v_add_f64 v[34:35], v[32:33], -v[28:29]
	v_add_f64 v[26:27], v[32:33], v[26:27]
	v_add_f64 v[36:37], v[32:33], -v[34:35]
	v_add_f64 v[24:25], v[24:25], -v[34:35]
	;; [unrolled: 1-line block ×3, first 2 shown]
	v_add_f64 v[24:25], v[24:25], v[28:29]
	v_add_f64 v[28:29], v[30:31], v[26:27]
	v_add_f64 v[30:31], v[28:29], -v[30:31]
	v_add_f64 v[26:27], v[26:27], -v[30:31]
	v_add_f64 v[24:25], v[24:25], v[26:27]
	v_add_f64 v[24:25], v[28:29], v[24:25]
	v_cndmask_b32_e32 v23, 0x7ff00000, v25, vcc_lo
	v_cndmask_b32_e32 v22, 0, v24, vcc_lo
	v_fma_f64 v[26:27], v[22:23], s[76:77], s[74:75]
	v_fma_f64 v[24:25], v[22:23], s[72:73], 0x3fe80000
	v_add_f64 v[20:21], v[20:21], -v[26:27]
	v_fma_f64 v[24:25], v[20:21], s[70:71], v[24:25]
	v_div_scale_f64 v[26:27], null, v[24:25], v[24:25], 1.0
	v_rcp_f64_e32 v[28:29], v[26:27]
	v_fma_f64 v[30:31], -v[26:27], v[28:29], 1.0
	v_fma_f64 v[28:29], v[28:29], v[30:31], v[28:29]
	v_fma_f64 v[30:31], -v[26:27], v[28:29], 1.0
	v_fma_f64 v[28:29], v[28:29], v[30:31], v[28:29]
	v_div_scale_f64 v[30:31], vcc_lo, 1.0, v[24:25], 1.0
	v_mul_f64 v[32:33], v[30:31], v[28:29]
	v_fma_f64 v[26:27], -v[26:27], v[32:33], v[30:31]
	v_div_fmas_f64 v[26:27], v[26:27], v[28:29], v[32:33]
	v_div_fixup_f64 v[24:25], v[26:27], v[24:25], 1.0
	v_mul_f64 v[20:21], v[20:21], v[24:25]
	v_fma_f64 v[20:21], v[20:21], v[20:21], 1.0
	v_div_scale_f64 v[24:25], null, v[20:21], v[20:21], 1.0
	v_rcp_f64_e32 v[26:27], v[24:25]
	v_fma_f64 v[28:29], -v[24:25], v[26:27], 1.0
	v_fma_f64 v[26:27], v[26:27], v[28:29], v[26:27]
	v_fma_f64 v[28:29], -v[24:25], v[26:27], 1.0
	v_fma_f64 v[26:27], v[26:27], v[28:29], v[26:27]
	v_div_scale_f64 v[28:29], vcc_lo, 1.0, v[20:21], 1.0
	v_mul_f64 v[30:31], v[28:29], v[26:27]
	v_fma_f64 v[24:25], -v[24:25], v[30:31], v[28:29]
	v_div_fmas_f64 v[24:25], v[24:25], v[26:27], v[30:31]
	v_div_fixup_f64 v[20:21], v[24:25], v[20:21], 1.0
	v_mul_f64 v[20:21], v[22:23], v[20:21]
	v_mul_f64 v[22:23], v[20:21], s[60:61]
	v_cmp_nlt_f64_e32 vcc_lo, 0x40900000, v[20:21]
	v_cmp_ngt_f64_e64 s0, 0xc090cc00, v[20:21]
	v_rndne_f64_e32 v[22:23], v[22:23]
	v_fma_f64 v[24:25], v[22:23], s[62:63], v[20:21]
	v_cvt_i32_f64_e32 v2, v[22:23]
	v_fma_f64 v[24:25], v[22:23], s[64:65], v[24:25]
	v_mul_f64 v[26:27], v[24:25], s[66:67]
	v_fma_f64 v[24:25], v[24:25], s[68:69], v[26:27]
	v_fma_f64 v[26:27], v[24:25], s[4:5], s[2:3]
	;; [unrolled: 1-line block ×10, first 2 shown]
	v_fma_f64 v[26:27], v[24:25], v[26:27], 1.0
	v_fma_f64 v[24:25], v[24:25], v[26:27], 1.0
	v_ldexp_f64 v[22:23], v[24:25], v2
	v_cndmask_b32_e32 v2, 0x7ff00000, v23, vcc_lo
	s_and_b32 vcc_lo, s0, vcc_lo
	v_cndmask_b32_e32 v20, 0, v22, vcc_lo
	v_add_co_u32 v14, vcc_lo, s14, v14
	v_cndmask_b32_e64 v21, 0, v2, s0
	v_add_co_ci_u32_e64 v15, null, s15, v15, vcc_lo
	v_add_nc_u32_e32 v2, s84, v8
	v_add_co_u32 v4, vcc_lo, s16, v4
	v_mul_f64 v[9:10], v[9:10], v[20:21]
	v_add_co_ci_u32_e64 v5, null, s17, v5, vcc_lo
	v_lshlrev_b64 v[2:3], 3, v[2:3]
	v_mul_f64 v[18:19], v[18:19], v[9:10]
	global_store_dwordx2 v[16:17], v[18:19], off
	global_load_dwordx2 v[16:17], v[14:15], off
	s_waitcnt vmcnt(0)
	v_mul_f64 v[9:10], v[16:17], v[9:10]
	global_store_dwordx2 v[14:15], v[9:10], off
	global_load_dwordx2 v[10:11], v[4:5], off
	v_add_co_u32 v4, vcc_lo, s12, v2
	v_add_co_ci_u32_e64 v5, null, s13, v3, vcc_lo
	global_load_dwordx2 v[8:9], v[4:5], off
	s_waitcnt vmcnt(0)
	v_div_scale_f64 v[14:15], null, v[8:9], v[8:9], 1.0
	v_rcp_f64_e32 v[16:17], v[14:15]
	v_fma_f64 v[18:19], -v[14:15], v[16:17], 1.0
	v_fma_f64 v[16:17], v[16:17], v[18:19], v[16:17]
	v_fma_f64 v[18:19], -v[14:15], v[16:17], 1.0
	v_fma_f64 v[16:17], v[16:17], v[18:19], v[16:17]
	v_div_scale_f64 v[18:19], vcc_lo, 1.0, v[8:9], 1.0
	v_mul_f64 v[20:21], v[18:19], v[16:17]
	v_fma_f64 v[14:15], -v[14:15], v[20:21], v[18:19]
	v_div_fmas_f64 v[14:15], v[14:15], v[16:17], v[20:21]
	v_div_fixup_f64 v[14:15], v[14:15], v[8:9], 1.0
	v_mul_f64 v[6:7], v[6:7], v[14:15]
	v_mul_f64 v[14:15], v[10:11], v[6:7]
	v_fma_f64 v[6:7], v[10:11], v[6:7], 1.0
	v_div_scale_f64 v[10:11], null, v[6:7], v[6:7], 1.0
	v_rcp_f64_e32 v[16:17], v[10:11]
	v_fma_f64 v[18:19], -v[10:11], v[16:17], 1.0
	v_fma_f64 v[16:17], v[16:17], v[18:19], v[16:17]
	v_fma_f64 v[18:19], -v[10:11], v[16:17], 1.0
	v_fma_f64 v[16:17], v[16:17], v[18:19], v[16:17]
	v_div_scale_f64 v[18:19], vcc_lo, 1.0, v[6:7], 1.0
	v_mul_f64 v[20:21], v[18:19], v[16:17]
	v_fma_f64 v[10:11], -v[10:11], v[20:21], v[18:19]
	v_div_fmas_f64 v[10:11], v[10:11], v[16:17], v[20:21]
	v_div_fixup_f64 v[6:7], v[10:11], v[6:7], 1.0
	v_max_f64 v[10:11], 0x38100000, v[14:15]
	v_mul_f64 v[6:7], v[14:15], v[6:7]
	v_frexp_mant_f64_e32 v[14:15], v[10:11]
	v_frexp_exp_i32_f64_e32 v16, v[10:11]
	v_cmp_gt_f64_e32 vcc_lo, s[52:53], v[14:15]
	v_cndmask_b32_e64 v17, 0, 1, vcc_lo
	v_subrev_co_ci_u32_e64 v28, null, 0, v16, vcc_lo
	v_cmp_neq_f64_e32 vcc_lo, 0x7ff00000, v[10:11]
	v_ldexp_f64 v[14:15], v[14:15], v17
	v_add_f64 v[18:19], v[14:15], 1.0
	v_add_f64 v[16:17], v[14:15], -1.0
	v_add_f64 v[20:21], v[18:19], -1.0
	v_add_f64 v[14:15], v[14:15], -v[20:21]
	v_rcp_f64_e32 v[20:21], v[18:19]
	v_fma_f64 v[22:23], -v[18:19], v[20:21], 1.0
	v_fma_f64 v[20:21], v[22:23], v[20:21], v[20:21]
	v_fma_f64 v[22:23], -v[18:19], v[20:21], 1.0
	v_fma_f64 v[20:21], v[22:23], v[20:21], v[20:21]
	v_mul_f64 v[22:23], v[16:17], v[20:21]
	v_mul_f64 v[24:25], v[18:19], v[22:23]
	v_fma_f64 v[18:19], v[22:23], v[18:19], -v[24:25]
	v_fma_f64 v[14:15], v[22:23], v[14:15], v[18:19]
	v_add_f64 v[18:19], v[24:25], v[14:15]
	v_add_f64 v[26:27], v[16:17], -v[18:19]
	v_add_f64 v[24:25], v[18:19], -v[24:25]
	;; [unrolled: 1-line block ×5, first 2 shown]
	v_add_f64 v[14:15], v[14:15], v[16:17]
	v_add_f64 v[14:15], v[26:27], v[14:15]
	v_mul_f64 v[14:15], v[20:21], v[14:15]
	v_add_f64 v[16:17], v[22:23], v[14:15]
	v_add_f64 v[18:19], v[16:17], -v[22:23]
	v_ldexp_f64 v[22:23], v[16:17], 1
	v_add_f64 v[14:15], v[14:15], -v[18:19]
	v_mul_f64 v[18:19], v[16:17], v[16:17]
	v_ldexp_f64 v[14:15], v[14:15], 1
	v_fma_f64 v[20:21], v[18:19], s[40:41], s[38:39]
	v_mul_f64 v[16:17], v[16:17], v[18:19]
	v_fma_f64 v[20:21], v[18:19], v[20:21], s[42:43]
	v_fma_f64 v[20:21], v[18:19], v[20:21], s[44:45]
	;; [unrolled: 1-line block ×5, first 2 shown]
	v_mul_f64 v[16:17], v[16:17], v[20:21]
	v_add_f64 v[18:19], v[22:23], v[16:17]
	v_add_f64 v[20:21], v[18:19], -v[22:23]
	v_add_f64 v[16:17], v[16:17], -v[20:21]
	v_add_f64 v[14:15], v[14:15], v[16:17]
	v_add_f64 v[16:17], v[18:19], v[14:15]
	v_add_f64 v[18:19], v[16:17], -v[18:19]
	v_add_f64 v[14:15], v[14:15], -v[18:19]
	v_cvt_f64_i32_e32 v[18:19], v28
	v_mul_f64 v[20:21], v[18:19], s[34:35]
	v_fma_f64 v[22:23], v[18:19], s[34:35], -v[20:21]
	v_fma_f64 v[18:19], v[18:19], s[36:37], v[22:23]
	v_add_f64 v[22:23], v[20:21], v[18:19]
	v_add_f64 v[20:21], v[22:23], -v[20:21]
	v_add_f64 v[18:19], v[18:19], -v[20:21]
	v_mul_f64 v[20:21], v[16:17], s[30:31]
	v_fma_f64 v[24:25], v[16:17], s[30:31], -v[20:21]
	v_fma_f64 v[14:15], v[14:15], s[30:31], v[24:25]
	v_fma_f64 v[14:15], v[16:17], s[28:29], v[14:15]
	v_add_f64 v[16:17], v[20:21], v[14:15]
	v_add_f64 v[20:21], v[16:17], -v[20:21]
	v_add_f64 v[14:15], v[14:15], -v[20:21]
	v_add_f64 v[20:21], v[22:23], v[16:17]
	v_add_f64 v[24:25], v[20:21], -v[22:23]
	v_add_f64 v[26:27], v[20:21], -v[24:25]
	;; [unrolled: 1-line block ×4, first 2 shown]
	v_add_f64 v[16:17], v[16:17], v[22:23]
	v_add_f64 v[22:23], v[18:19], v[14:15]
	v_add_f64 v[24:25], v[22:23], -v[18:19]
	v_add_f64 v[16:17], v[22:23], v[16:17]
	v_add_f64 v[26:27], v[22:23], -v[24:25]
	v_add_f64 v[14:15], v[14:15], -v[24:25]
	;; [unrolled: 1-line block ×3, first 2 shown]
	v_add_f64 v[14:15], v[14:15], v[18:19]
	v_add_f64 v[18:19], v[20:21], v[16:17]
	v_add_f64 v[20:21], v[18:19], -v[20:21]
	v_add_f64 v[16:17], v[16:17], -v[20:21]
	v_add_f64 v[14:15], v[14:15], v[16:17]
	v_add_f64 v[14:15], v[18:19], v[14:15]
	v_cndmask_b32_e32 v11, 0x7ff00000, v15, vcc_lo
	v_cndmask_b32_e32 v10, 0, v14, vcc_lo
	v_mul_f64 v[14:15], v[0:1], s[80:81]
	v_mul_f64 v[16:17], v[14:15], s[58:59]
	v_cmp_nlt_f64_e32 vcc_lo, 0x40900000, v[14:15]
	v_cmp_ngt_f64_e64 s0, 0xc090cc00, v[14:15]
	v_rndne_f64_e32 v[16:17], v[16:17]
	v_fma_f64 v[18:19], v[16:17], s[56:57], v[14:15]
	v_fma_f64 v[18:19], v[16:17], s[54:55], v[18:19]
	v_cvt_i32_f64_e32 v16, v[16:17]
	v_fma_f64 v[20:21], v[18:19], s[4:5], s[2:3]
	v_fma_f64 v[20:21], v[18:19], v[20:21], s[6:7]
	v_fma_f64 v[20:21], v[18:19], v[20:21], s[8:9]
	v_fma_f64 v[20:21], v[18:19], v[20:21], s[10:11]
	v_fma_f64 v[20:21], v[18:19], v[20:21], s[18:19]
	v_fma_f64 v[20:21], v[18:19], v[20:21], s[20:21]
	v_fma_f64 v[20:21], v[18:19], v[20:21], s[22:23]
	v_fma_f64 v[20:21], v[18:19], v[20:21], s[24:25]
	v_fma_f64 v[20:21], v[18:19], v[20:21], s[26:27]
	v_fma_f64 v[20:21], v[18:19], v[20:21], 1.0
	v_fma_f64 v[18:19], v[18:19], v[20:21], 1.0
	v_ldexp_f64 v[16:17], v[18:19], v16
	v_mul_f64 v[16:17], v[16:17], 0
	v_cndmask_b32_e32 v17, 0x7ff80000, v17, vcc_lo
	s_and_b32 vcc_lo, s0, vcc_lo
	v_cndmask_b32_e32 v14, 0, v16, vcc_lo
	v_cndmask_b32_e64 v15, 0, v17, s0
	s_mov_b32 s0, 0x7ea1cec1
	s_mov_b32 s1, 0xbf490384
	v_mul_f64 v[0:1], v[0:1], s[0:1]
	v_mul_f64 v[16:17], v[0:1], s[58:59]
	v_cmp_nlt_f64_e32 vcc_lo, 0x40900000, v[0:1]
	v_cmp_ngt_f64_e64 s0, 0xc090cc00, v[0:1]
	v_rndne_f64_e32 v[16:17], v[16:17]
	v_fma_f64 v[18:19], v[16:17], s[56:57], v[0:1]
	v_fma_f64 v[18:19], v[16:17], s[54:55], v[18:19]
	v_cvt_i32_f64_e32 v16, v[16:17]
	v_fma_f64 v[20:21], v[18:19], s[4:5], s[2:3]
	v_fma_f64 v[20:21], v[18:19], v[20:21], s[6:7]
	;; [unrolled: 1-line block ×9, first 2 shown]
	v_fma_f64 v[20:21], v[18:19], v[20:21], 1.0
	v_fma_f64 v[18:19], v[18:19], v[20:21], 1.0
	v_ldexp_f64 v[16:17], v[18:19], v16
	v_cndmask_b32_e32 v17, 0x7ff00000, v17, vcc_lo
	s_and_b32 vcc_lo, s0, vcc_lo
	v_cndmask_b32_e32 v0, 0, v16, vcc_lo
	v_cmp_nlt_f64_e32 vcc_lo, 0x40900000, v[12:13]
	v_cndmask_b32_e64 v1, 0, v17, s0
	v_cmp_ngt_f64_e64 s0, 0xc090cc00, v[12:13]
	v_add_f64 v[0:1], v[0:1], v[14:15]
	v_mul_f64 v[14:15], v[12:13], s[58:59]
	v_rndne_f64_e32 v[14:15], v[14:15]
	v_fma_f64 v[16:17], v[14:15], s[56:57], v[12:13]
	v_fma_f64 v[16:17], v[14:15], s[54:55], v[16:17]
	v_cvt_i32_f64_e32 v14, v[14:15]
	v_fma_f64 v[18:19], v[16:17], s[4:5], s[2:3]
	v_fma_f64 v[18:19], v[16:17], v[18:19], s[6:7]
	;; [unrolled: 1-line block ×9, first 2 shown]
	v_fma_f64 v[18:19], v[16:17], v[18:19], 1.0
	v_fma_f64 v[16:17], v[16:17], v[18:19], 1.0
	v_ldexp_f64 v[14:15], v[16:17], v14
	v_cndmask_b32_e32 v15, 0x7ff00000, v15, vcc_lo
	s_and_b32 vcc_lo, s0, vcc_lo
	v_cndmask_b32_e32 v12, 0, v14, vcc_lo
	v_cndmask_b32_e64 v13, 0, v15, s0
	v_add_f64 v[0:1], v[12:13], v[0:1]
	v_max_f64 v[0:1], 0x38100000, v[0:1]
	v_frexp_mant_f64_e32 v[12:13], v[0:1]
	v_frexp_exp_i32_f64_e32 v14, v[0:1]
	v_cmp_gt_f64_e32 vcc_lo, s[52:53], v[12:13]
	v_cndmask_b32_e64 v15, 0, 1, vcc_lo
	v_subrev_co_ci_u32_e64 v16, null, 0, v14, vcc_lo
	v_cmp_neq_f64_e32 vcc_lo, 0x7ff00000, v[0:1]
	v_ldexp_f64 v[12:13], v[12:13], v15
	v_add_f64 v[17:18], v[12:13], 1.0
	v_add_f64 v[14:15], v[12:13], -1.0
	v_add_f64 v[19:20], v[17:18], -1.0
	v_add_f64 v[12:13], v[12:13], -v[19:20]
	v_rcp_f64_e32 v[19:20], v[17:18]
	v_fma_f64 v[21:22], -v[17:18], v[19:20], 1.0
	v_fma_f64 v[19:20], v[21:22], v[19:20], v[19:20]
	v_fma_f64 v[21:22], -v[17:18], v[19:20], 1.0
	v_fma_f64 v[19:20], v[21:22], v[19:20], v[19:20]
	v_mul_f64 v[21:22], v[14:15], v[19:20]
	v_mul_f64 v[23:24], v[17:18], v[21:22]
	v_fma_f64 v[17:18], v[21:22], v[17:18], -v[23:24]
	v_fma_f64 v[12:13], v[21:22], v[12:13], v[17:18]
	v_add_f64 v[17:18], v[23:24], v[12:13]
	v_add_f64 v[25:26], v[14:15], -v[17:18]
	v_add_f64 v[23:24], v[17:18], -v[23:24]
	;; [unrolled: 1-line block ×5, first 2 shown]
	v_add_f64 v[12:13], v[12:13], v[14:15]
	v_add_f64 v[12:13], v[25:26], v[12:13]
	v_mul_f64 v[12:13], v[19:20], v[12:13]
	v_add_f64 v[14:15], v[21:22], v[12:13]
	v_add_f64 v[17:18], v[14:15], -v[21:22]
	v_ldexp_f64 v[21:22], v[14:15], 1
	v_add_f64 v[12:13], v[12:13], -v[17:18]
	v_mul_f64 v[17:18], v[14:15], v[14:15]
	v_ldexp_f64 v[12:13], v[12:13], 1
	v_fma_f64 v[19:20], v[17:18], s[40:41], s[38:39]
	v_mul_f64 v[14:15], v[14:15], v[17:18]
	v_fma_f64 v[19:20], v[17:18], v[19:20], s[42:43]
	v_fma_f64 v[19:20], v[17:18], v[19:20], s[44:45]
	;; [unrolled: 1-line block ×5, first 2 shown]
	v_mul_f64 v[14:15], v[14:15], v[19:20]
	v_add_f64 v[17:18], v[21:22], v[14:15]
	v_add_f64 v[19:20], v[17:18], -v[21:22]
	v_add_f64 v[14:15], v[14:15], -v[19:20]
	v_add_f64 v[14:15], v[12:13], v[14:15]
	v_add_f64 v[12:13], v[17:18], v[14:15]
	v_add_f64 v[17:18], v[12:13], -v[17:18]
	v_add_f64 v[14:15], v[14:15], -v[17:18]
	v_cvt_f64_i32_e32 v[16:17], v16
	v_mul_f64 v[18:19], v[16:17], s[34:35]
	v_fma_f64 v[20:21], v[16:17], s[34:35], -v[18:19]
	v_fma_f64 v[16:17], v[16:17], s[36:37], v[20:21]
	v_add_f64 v[20:21], v[18:19], v[16:17]
	v_add_f64 v[18:19], v[20:21], -v[18:19]
	v_add_f64 v[16:17], v[16:17], -v[18:19]
	v_mul_f64 v[18:19], v[12:13], s[30:31]
	v_fma_f64 v[22:23], v[12:13], s[30:31], -v[18:19]
	v_fma_f64 v[14:15], v[14:15], s[30:31], v[22:23]
	v_fma_f64 v[12:13], v[12:13], s[28:29], v[14:15]
	v_add_f64 v[14:15], v[18:19], v[12:13]
	v_add_f64 v[18:19], v[14:15], -v[18:19]
	v_add_f64 v[12:13], v[12:13], -v[18:19]
	v_add_f64 v[18:19], v[20:21], v[14:15]
	v_add_f64 v[22:23], v[18:19], -v[20:21]
	v_add_f64 v[24:25], v[18:19], -v[22:23]
	;; [unrolled: 1-line block ×4, first 2 shown]
	v_add_f64 v[14:15], v[14:15], v[20:21]
	v_add_f64 v[20:21], v[16:17], v[12:13]
	v_add_f64 v[22:23], v[20:21], -v[16:17]
	v_add_f64 v[14:15], v[20:21], v[14:15]
	v_add_f64 v[24:25], v[20:21], -v[22:23]
	v_add_f64 v[12:13], v[12:13], -v[22:23]
	;; [unrolled: 1-line block ×3, first 2 shown]
	v_add_f64 v[12:13], v[12:13], v[16:17]
	v_add_f64 v[16:17], v[18:19], v[14:15]
	v_add_f64 v[18:19], v[16:17], -v[18:19]
	v_add_f64 v[14:15], v[14:15], -v[18:19]
	v_add_f64 v[12:13], v[12:13], v[14:15]
	v_add_f64 v[12:13], v[16:17], v[12:13]
	v_cndmask_b32_e32 v1, 0x7ff00000, v13, vcc_lo
	v_cndmask_b32_e32 v0, 0, v12, vcc_lo
	v_fma_f64 v[14:15], v[0:1], s[76:77], s[74:75]
	v_fma_f64 v[12:13], v[0:1], s[72:73], 0x3fe80000
	v_add_f64 v[10:11], v[10:11], -v[14:15]
	v_fma_f64 v[12:13], v[10:11], s[70:71], v[12:13]
	v_div_scale_f64 v[14:15], null, v[12:13], v[12:13], 1.0
	v_rcp_f64_e32 v[16:17], v[14:15]
	v_fma_f64 v[18:19], -v[14:15], v[16:17], 1.0
	v_fma_f64 v[16:17], v[16:17], v[18:19], v[16:17]
	v_fma_f64 v[18:19], -v[14:15], v[16:17], 1.0
	v_fma_f64 v[16:17], v[16:17], v[18:19], v[16:17]
	v_div_scale_f64 v[18:19], vcc_lo, 1.0, v[12:13], 1.0
	v_mul_f64 v[20:21], v[18:19], v[16:17]
	v_fma_f64 v[14:15], -v[14:15], v[20:21], v[18:19]
	v_div_fmas_f64 v[14:15], v[14:15], v[16:17], v[20:21]
	v_div_fixup_f64 v[12:13], v[14:15], v[12:13], 1.0
	v_mul_f64 v[10:11], v[10:11], v[12:13]
	v_fma_f64 v[10:11], v[10:11], v[10:11], 1.0
	v_div_scale_f64 v[12:13], null, v[10:11], v[10:11], 1.0
	v_rcp_f64_e32 v[14:15], v[12:13]
	v_fma_f64 v[16:17], -v[12:13], v[14:15], 1.0
	v_fma_f64 v[14:15], v[14:15], v[16:17], v[14:15]
	v_fma_f64 v[16:17], -v[12:13], v[14:15], 1.0
	v_fma_f64 v[14:15], v[14:15], v[16:17], v[14:15]
	v_div_scale_f64 v[16:17], vcc_lo, 1.0, v[10:11], 1.0
	v_mul_f64 v[18:19], v[16:17], v[14:15]
	v_fma_f64 v[12:13], -v[12:13], v[18:19], v[16:17]
	v_div_fmas_f64 v[12:13], v[12:13], v[14:15], v[18:19]
	v_div_fixup_f64 v[10:11], v[12:13], v[10:11], 1.0
	v_mul_f64 v[0:1], v[0:1], v[10:11]
	v_mul_f64 v[10:11], v[0:1], s[60:61]
	v_cmp_nlt_f64_e32 vcc_lo, 0x40900000, v[0:1]
	v_cmp_ngt_f64_e64 s0, 0xc090cc00, v[0:1]
	v_rndne_f64_e32 v[10:11], v[10:11]
	v_fma_f64 v[12:13], v[10:11], s[62:63], v[0:1]
	v_fma_f64 v[12:13], v[10:11], s[64:65], v[12:13]
	v_cvt_i32_f64_e32 v10, v[10:11]
	v_mul_f64 v[14:15], v[12:13], s[66:67]
	v_fma_f64 v[12:13], v[12:13], s[68:69], v[14:15]
	v_fma_f64 v[14:15], v[12:13], s[4:5], s[2:3]
	;; [unrolled: 1-line block ×10, first 2 shown]
	v_fma_f64 v[14:15], v[12:13], v[14:15], 1.0
	v_fma_f64 v[12:13], v[12:13], v[14:15], 1.0
	v_ldexp_f64 v[10:11], v[12:13], v10
	v_cndmask_b32_e32 v11, 0x7ff00000, v11, vcc_lo
	s_and_b32 vcc_lo, s0, vcc_lo
	v_cndmask_b32_e32 v0, 0, v10, vcc_lo
	v_add_co_u32 v2, vcc_lo, s14, v2
	v_cndmask_b32_e64 v1, 0, v11, s0
	v_add_co_ci_u32_e64 v3, null, s15, v3, vcc_lo
	v_mul_f64 v[0:1], v[6:7], v[0:1]
	v_mul_f64 v[6:7], v[8:9], v[0:1]
	global_store_dwordx2 v[4:5], v[6:7], off
	global_load_dwordx2 v[4:5], v[2:3], off
	s_waitcnt vmcnt(0)
	v_mul_f64 v[0:1], v[4:5], v[0:1]
	global_store_dwordx2 v[2:3], v[0:1], off
	s_endpgm
	.section	.rodata,"a",@progbits
	.p2align	6, 0x0
	.amdhsa_kernel _Z12ratxb_kernelIdEvPKT_S2_PS0_S3_S2_S0_
		.amdhsa_group_segment_fixed_size 0
		.amdhsa_private_segment_fixed_size 0
		.amdhsa_kernarg_size 304
		.amdhsa_user_sgpr_count 6
		.amdhsa_user_sgpr_private_segment_buffer 1
		.amdhsa_user_sgpr_dispatch_ptr 0
		.amdhsa_user_sgpr_queue_ptr 0
		.amdhsa_user_sgpr_kernarg_segment_ptr 1
		.amdhsa_user_sgpr_dispatch_id 0
		.amdhsa_user_sgpr_flat_scratch_init 0
		.amdhsa_user_sgpr_private_segment_size 0
		.amdhsa_wavefront_size32 1
		.amdhsa_uses_dynamic_stack 0
		.amdhsa_system_sgpr_private_segment_wavefront_offset 0
		.amdhsa_system_sgpr_workgroup_id_x 1
		.amdhsa_system_sgpr_workgroup_id_y 0
		.amdhsa_system_sgpr_workgroup_id_z 0
		.amdhsa_system_sgpr_workgroup_info 0
		.amdhsa_system_vgpr_workitem_id 0
		.amdhsa_next_free_vgpr 72
		.amdhsa_next_free_sgpr 85
		.amdhsa_reserve_vcc 1
		.amdhsa_reserve_flat_scratch 0
		.amdhsa_float_round_mode_32 0
		.amdhsa_float_round_mode_16_64 0
		.amdhsa_float_denorm_mode_32 3
		.amdhsa_float_denorm_mode_16_64 3
		.amdhsa_dx10_clamp 1
		.amdhsa_ieee_mode 1
		.amdhsa_fp16_overflow 0
		.amdhsa_workgroup_processor_mode 1
		.amdhsa_memory_ordered 1
		.amdhsa_forward_progress 1
		.amdhsa_shared_vgpr_count 0
		.amdhsa_exception_fp_ieee_invalid_op 0
		.amdhsa_exception_fp_denorm_src 0
		.amdhsa_exception_fp_ieee_div_zero 0
		.amdhsa_exception_fp_ieee_overflow 0
		.amdhsa_exception_fp_ieee_underflow 0
		.amdhsa_exception_fp_ieee_inexact 0
		.amdhsa_exception_int_div_zero 0
	.end_amdhsa_kernel
	.section	.text._Z12ratxb_kernelIdEvPKT_S2_PS0_S3_S2_S0_,"axG",@progbits,_Z12ratxb_kernelIdEvPKT_S2_PS0_S3_S2_S0_,comdat
.Lfunc_end40:
	.size	_Z12ratxb_kernelIdEvPKT_S2_PS0_S3_S2_S0_, .Lfunc_end40-_Z12ratxb_kernelIdEvPKT_S2_PS0_S3_S2_S0_
                                        ; -- End function
	.set _Z12ratxb_kernelIdEvPKT_S2_PS0_S3_S2_S0_.num_vgpr, 72
	.set _Z12ratxb_kernelIdEvPKT_S2_PS0_S3_S2_S0_.num_agpr, 0
	.set _Z12ratxb_kernelIdEvPKT_S2_PS0_S3_S2_S0_.numbered_sgpr, 85
	.set _Z12ratxb_kernelIdEvPKT_S2_PS0_S3_S2_S0_.num_named_barrier, 0
	.set _Z12ratxb_kernelIdEvPKT_S2_PS0_S3_S2_S0_.private_seg_size, 0
	.set _Z12ratxb_kernelIdEvPKT_S2_PS0_S3_S2_S0_.uses_vcc, 1
	.set _Z12ratxb_kernelIdEvPKT_S2_PS0_S3_S2_S0_.uses_flat_scratch, 0
	.set _Z12ratxb_kernelIdEvPKT_S2_PS0_S3_S2_S0_.has_dyn_sized_stack, 0
	.set _Z12ratxb_kernelIdEvPKT_S2_PS0_S3_S2_S0_.has_recursion, 0
	.set _Z12ratxb_kernelIdEvPKT_S2_PS0_S3_S2_S0_.has_indirect_call, 0
	.section	.AMDGPU.csdata,"",@progbits
; Kernel info:
; codeLenInByte = 27536
; TotalNumSgprs: 87
; NumVgprs: 72
; ScratchSize: 0
; MemoryBound: 0
; FloatMode: 240
; IeeeMode: 1
; LDSByteSize: 0 bytes/workgroup (compile time only)
; SGPRBlocks: 0
; VGPRBlocks: 8
; NumSGPRsForWavesPerEU: 87
; NumVGPRsForWavesPerEU: 72
; Occupancy: 12
; WaveLimiterHint : 0
; COMPUTE_PGM_RSRC2:SCRATCH_EN: 0
; COMPUTE_PGM_RSRC2:USER_SGPR: 6
; COMPUTE_PGM_RSRC2:TRAP_HANDLER: 0
; COMPUTE_PGM_RSRC2:TGID_X_EN: 1
; COMPUTE_PGM_RSRC2:TGID_Y_EN: 0
; COMPUTE_PGM_RSRC2:TGID_Z_EN: 0
; COMPUTE_PGM_RSRC2:TIDIG_COMP_CNT: 0
	.section	.text._Z12ratx2_kernelIdEvPKT_PS0_S3_,"axG",@progbits,_Z12ratx2_kernelIdEvPKT_PS0_S3_,comdat
	.protected	_Z12ratx2_kernelIdEvPKT_PS0_S3_ ; -- Begin function _Z12ratx2_kernelIdEvPKT_PS0_S3_
	.globl	_Z12ratx2_kernelIdEvPKT_PS0_S3_
	.p2align	8
	.type	_Z12ratx2_kernelIdEvPKT_PS0_S3_,@function
_Z12ratx2_kernelIdEvPKT_PS0_S3_:        ; @_Z12ratx2_kernelIdEvPKT_PS0_S3_
; %bb.0:
	s_clause 0x2
	s_load_dword s7, s[4:5], 0x24
	s_load_dword s8, s[4:5], 0x18
	s_load_dwordx4 s[0:3], s[4:5], 0x0
	s_waitcnt lgkmcnt(0)
	s_and_b32 s4, s7, 0xffff
	v_mad_u64_u32 v[0:1], null, s6, s4, v[0:1]
	v_mov_b32_e32 v1, 0
	s_mul_i32 s4, s8, s4
	s_lshl_b32 s5, s4, 1
	v_mov_b32_e32 v3, v1
	v_add_nc_u32_e32 v2, s4, v0
	v_lshlrev_b64 v[12:13], 3, v[0:1]
	v_add_nc_u32_e32 v0, s5, v0
	v_lshlrev_b64 v[16:17], 3, v[2:3]
	v_add_nc_u32_e32 v2, s5, v2
	v_add_co_u32 v14, vcc_lo, s2, v12
	v_add_co_ci_u32_e64 v15, null, s3, v13, vcc_lo
	v_add_co_u32 v4, vcc_lo, s0, v16
	v_add_co_ci_u32_e64 v5, null, s1, v17, vcc_lo
	v_lshlrev_b64 v[10:11], 3, v[2:3]
	v_lshlrev_b64 v[32:33], 3, v[0:1]
	global_load_dwordx2 v[18:19], v[14:15], off
	global_load_dwordx2 v[6:7], v[4:5], off
	v_add_nc_u32_e32 v0, s5, v0
	v_add_co_u32 v2, vcc_lo, s0, v10
	v_add_co_ci_u32_e64 v3, null, s1, v11, vcc_lo
	s_clause 0x3
	global_load_dwordx2 v[8:9], v[2:3], off
	global_load_dwordx2 v[22:23], v[4:5], off
	;; [unrolled: 1-line block ×4, first 2 shown]
	v_add_co_u32 v36, vcc_lo, s0, v32
	v_add_co_ci_u32_e64 v37, null, s1, v33, vcc_lo
	v_add_co_u32 v16, vcc_lo, s2, v16
	v_add_co_ci_u32_e64 v17, null, s3, v17, vcc_lo
	;; [unrolled: 2-line block ×3, first 2 shown]
	s_waitcnt vmcnt(4)
	v_mul_f64 v[30:31], v[18:19], v[6:7]
	s_clause 0x3
	global_load_dwordx2 v[28:29], v[2:3], off
	global_load_dwordx2 v[18:19], v[2:3], off
	;; [unrolled: 1-line block ×4, first 2 shown]
	s_waitcnt vmcnt(7)
	v_mul_f64 v[30:31], v[30:31], v[8:9]
	global_store_dwordx2 v[14:15], v[30:31], off
	global_load_dwordx2 v[14:15], v[16:17], off
	s_clause 0x5
	global_load_dwordx2 v[30:31], v[12:13], off
	global_load_dwordx2 v[52:53], v[36:37], off
	;; [unrolled: 1-line block ×6, first 2 shown]
	v_lshlrev_b64 v[12:13], 3, v[0:1]
	v_add_nc_u32_e32 v0, s4, v0
	v_add_co_u32 v12, vcc_lo, s0, v12
	v_add_co_ci_u32_e64 v13, null, s1, v13, vcc_lo
	v_add_co_u32 v32, vcc_lo, s2, v32
	v_add_co_ci_u32_e64 v33, null, s3, v33, vcc_lo
	global_load_dwordx2 v[56:57], v[12:13], off
	v_add_co_u32 v10, vcc_lo, s2, v10
	v_add_co_ci_u32_e64 v11, null, s3, v11, vcc_lo
	s_waitcnt vmcnt(7)
	v_mul_f64 v[14:15], v[14:15], v[48:49]
	s_waitcnt vmcnt(6)
	v_mul_f64 v[14:15], v[14:15], v[30:31]
	global_store_dwordx2 v[16:17], v[14:15], off
	global_load_dwordx2 v[14:15], v[32:33], off
	v_lshlrev_b64 v[16:17], 3, v[0:1]
	v_add_nc_u32_e32 v0, s4, v0
	s_waitcnt vmcnt(0)
	v_mul_f64 v[14:15], v[14:15], v[56:57]
	v_mul_f64 v[14:15], v[30:31], v[14:15]
	global_store_dwordx2 v[32:33], v[14:15], off
	global_load_dwordx2 v[14:15], v[10:11], off
	v_add_co_u32 v32, vcc_lo, s2, v16
	v_add_co_ci_u32_e64 v33, null, s3, v17, vcc_lo
	s_waitcnt vmcnt(0)
	v_mul_f64 v[14:15], v[56:57], v[14:15]
	v_mul_f64 v[14:15], v[56:57], v[14:15]
	global_store_dwordx2 v[10:11], v[14:15], off
	global_load_dwordx2 v[10:11], v[32:33], off
	s_waitcnt vmcnt(0)
	v_mul_f64 v[10:11], v[6:7], v[10:11]
	v_mul_f64 v[10:11], v[6:7], v[10:11]
	v_mul_f64 v[10:11], v[30:31], v[10:11]
	v_lshlrev_b64 v[30:31], 3, v[0:1]
	v_add_nc_u32_e32 v0, s4, v0
	v_lshlrev_b64 v[34:35], 3, v[0:1]
	v_add_co_u32 v14, vcc_lo, s2, v30
	v_add_co_ci_u32_e64 v15, null, s3, v31, vcc_lo
	v_add_co_u32 v16, vcc_lo, s0, v16
	v_add_co_ci_u32_e64 v17, null, s1, v17, vcc_lo
	v_lshl_add_u32 v0, s4, 2, v0
	global_store_dwordx2 v[32:33], v[10:11], off
	global_load_dwordx2 v[10:11], v[14:15], off
	s_clause 0x2
	global_load_dwordx2 v[32:33], v[16:17], off
	global_load_dwordx2 v[72:73], v[16:17], off
	global_load_dwordx2 v[58:59], v[16:17], off
	v_add_co_u32 v16, vcc_lo, s2, v34
	v_add_co_ci_u32_e64 v17, null, s3, v35, vcc_lo
	s_waitcnt vmcnt(3)
	v_mul_f64 v[10:11], v[6:7], v[10:11]
	v_mul_f64 v[10:11], v[6:7], v[10:11]
	s_waitcnt vmcnt(2)
	v_mul_f64 v[10:11], v[32:33], v[10:11]
	global_store_dwordx2 v[14:15], v[10:11], off
	global_load_dwordx2 v[10:11], v[16:17], off
	v_lshlrev_b64 v[14:15], 3, v[0:1]
	v_add_nc_u32_e32 v0, s4, v0
	v_lshlrev_b64 v[62:63], 3, v[0:1]
	v_add_co_u32 v74, vcc_lo, s0, v14
	v_add_co_ci_u32_e64 v75, null, s1, v15, vcc_lo
	v_add_nc_u32_e32 v0, s4, v0
	global_load_dwordx2 v[14:15], v[74:75], off
	v_lshlrev_b64 v[40:41], 3, v[0:1]
	v_add_nc_u32_e32 v0, s4, v0
	s_waitcnt vmcnt(1)
	v_mul_f64 v[10:11], v[6:7], v[10:11]
	v_mul_f64 v[10:11], v[6:7], v[10:11]
	s_waitcnt vmcnt(0)
	v_mul_f64 v[10:11], v[14:15], v[10:11]
	v_add_co_u32 v14, vcc_lo, s2, v62
	v_add_co_ci_u32_e64 v15, null, s3, v63, vcc_lo
	global_store_dwordx2 v[16:17], v[10:11], off
	global_load_dwordx2 v[10:11], v[14:15], off
	v_add_co_u32 v16, vcc_lo, s2, v40
	v_add_co_ci_u32_e64 v17, null, s3, v41, vcc_lo
	s_waitcnt vmcnt(0)
	v_mul_f64 v[10:11], v[6:7], v[10:11]
	v_mul_f64 v[10:11], v[8:9], v[10:11]
	;; [unrolled: 1-line block ×3, first 2 shown]
	global_store_dwordx2 v[14:15], v[10:11], off
	global_load_dwordx2 v[10:11], v[16:17], off
	v_lshlrev_b64 v[14:15], 3, v[0:1]
	s_waitcnt vmcnt(0)
	v_mul_f64 v[10:11], v[6:7], v[10:11]
	v_mul_f64 v[10:11], v[8:9], v[10:11]
	;; [unrolled: 1-line block ×3, first 2 shown]
	v_add_co_u32 v32, vcc_lo, s2, v14
	v_add_co_ci_u32_e64 v33, null, s3, v15, vcc_lo
	global_store_dwordx2 v[16:17], v[10:11], off
	global_load_dwordx2 v[10:11], v[32:33], off
	v_mad_u64_u32 v[16:17], null, s4, 7, v[0:1]
	v_mov_b32_e32 v17, v1
	v_lshlrev_b64 v[54:55], 3, v[16:17]
	v_add_co_u32 v42, vcc_lo, s0, v54
	v_add_co_ci_u32_e64 v43, null, s1, v55, vcc_lo
	global_load_dwordx2 v[46:47], v[42:43], off
	s_waitcnt vmcnt(1)
	v_mul_f64 v[10:11], v[6:7], v[10:11]
	v_mul_f64 v[10:11], v[8:9], v[10:11]
	v_add_co_u32 v8, vcc_lo, s0, v30
	v_add_co_ci_u32_e64 v9, null, s1, v31, vcc_lo
	v_mad_u64_u32 v[30:31], null, s4, -6, v[16:17]
	v_mov_b32_e32 v31, v1
	s_clause 0x2
	global_load_dwordx2 v[76:77], v[8:9], off
	global_load_dwordx2 v[64:65], v[42:43], off
	;; [unrolled: 1-line block ×3, first 2 shown]
	v_lshlrev_b64 v[16:17], 3, v[30:31]
	v_add_nc_u32_e32 v0, s4, v30
	v_add_co_u32 v42, vcc_lo, s2, v16
	v_add_co_ci_u32_e64 v43, null, s3, v17, vcc_lo
	s_waitcnt vmcnt(3)
	v_mul_f64 v[10:11], v[46:47], v[10:11]
	v_lshlrev_b64 v[46:47], 3, v[0:1]
	v_add_nc_u32_e32 v0, s4, v0
	v_add_co_u32 v30, vcc_lo, s2, v46
	v_add_co_ci_u32_e64 v31, null, s3, v47, vcc_lo
	global_store_dwordx2 v[32:33], v[10:11], off
	global_load_dwordx2 v[10:11], v[42:43], off
	s_waitcnt vmcnt(0)
	v_mul_f64 v[10:11], v[56:57], v[10:11]
	v_mul_f64 v[10:11], v[56:57], v[10:11]
	global_store_dwordx2 v[42:43], v[10:11], off
	global_load_dwordx2 v[10:11], v[30:31], off
	v_lshlrev_b64 v[42:43], 3, v[0:1]
	v_add_nc_u32_e32 v0, s4, v0
	v_add_co_u32 v32, vcc_lo, s2, v42
	v_add_co_ci_u32_e64 v33, null, s3, v43, vcc_lo
	s_waitcnt vmcnt(0)
	v_mul_f64 v[10:11], v[10:11], v[60:61]
	v_mul_f64 v[10:11], v[6:7], v[10:11]
	global_store_dwordx2 v[30:31], v[10:11], off
	global_load_dwordx2 v[10:11], v[32:33], off
	v_lshlrev_b64 v[30:31], 3, v[0:1]
	v_add_nc_u32_e32 v0, s4, v0
	v_add_co_u32 v66, vcc_lo, s2, v30
	v_add_co_ci_u32_e64 v67, null, s3, v31, vcc_lo
	v_lshlrev_b64 v[30:31], 3, v[0:1]
	v_add_nc_u32_e32 v0, s4, v0
	v_add_co_u32 v70, vcc_lo, s2, v30
	v_add_co_ci_u32_e64 v71, null, s3, v31, vcc_lo
	s_waitcnt vmcnt(0)
	v_mul_f64 v[10:11], v[60:61], v[10:11]
	v_mul_f64 v[10:11], v[6:7], v[10:11]
	global_store_dwordx2 v[32:33], v[10:11], off
	global_load_dwordx2 v[10:11], v[66:67], off
	v_lshlrev_b64 v[32:33], 3, v[0:1]
	v_add_nc_u32_e32 v0, s5, v0
	s_waitcnt vmcnt(0)
	v_mul_f64 v[10:11], v[60:61], v[10:11]
	v_mul_f64 v[10:11], v[6:7], v[10:11]
	global_store_dwordx2 v[66:67], v[10:11], off
	global_load_dwordx2 v[10:11], v[70:71], off
	s_waitcnt vmcnt(0)
	v_mul_f64 v[10:11], v[60:61], v[10:11]
	v_mul_f64 v[10:11], v[48:49], v[10:11]
	global_store_dwordx2 v[70:71], v[10:11], off
	v_add_co_u32 v10, vcc_lo, s2, v32
	v_add_co_ci_u32_e64 v11, null, s3, v33, vcc_lo
	v_add_co_u32 v54, vcc_lo, s2, v54
	v_add_co_ci_u32_e64 v55, null, s3, v55, vcc_lo
	global_load_dwordx2 v[66:67], v[10:11], off
	s_waitcnt vmcnt(0)
	v_mul_f64 v[66:67], v[60:61], v[66:67]
	v_mul_f64 v[66:67], v[56:57], v[66:67]
	global_store_dwordx2 v[10:11], v[66:67], off
	global_load_dwordx2 v[66:67], v[54:55], off
	v_lshlrev_b64 v[10:11], 3, v[0:1]
	v_add_nc_u32_e32 v0, s4, v0
	v_add_co_u32 v10, vcc_lo, s2, v10
	v_add_co_ci_u32_e64 v11, null, s3, v11, vcc_lo
	s_waitcnt vmcnt(0)
	v_mul_f64 v[66:67], v[60:61], v[66:67]
	v_mul_f64 v[66:67], v[60:61], v[66:67]
	global_store_dwordx2 v[54:55], v[66:67], off
	global_load_dwordx2 v[54:55], v[10:11], off
	v_add_co_u32 v66, vcc_lo, s0, v34
	v_add_co_ci_u32_e64 v67, null, s1, v35, vcc_lo
	s_waitcnt vmcnt(0)
	v_mul_f64 v[54:55], v[60:61], v[54:55]
	v_mul_f64 v[54:55], v[60:61], v[54:55]
	v_lshlrev_b64 v[60:61], 3, v[0:1]
	v_add_nc_u32_e32 v0, s4, v0
	v_add_co_u32 v60, vcc_lo, s2, v60
	v_add_co_ci_u32_e64 v61, null, s3, v61, vcc_lo
	global_store_dwordx2 v[10:11], v[54:55], off
	s_clause 0x3
	global_load_dwordx2 v[70:71], v[66:67], off
	global_load_dwordx2 v[54:55], v[66:67], off
	global_load_dwordx2 v[34:35], v[66:67], off
	global_load_dwordx2 v[10:11], v[66:67], off
	global_load_dwordx2 v[66:67], v[60:61], off
	s_waitcnt vmcnt(0)
	v_mul_f64 v[66:67], v[66:67], v[70:71]
	v_mul_f64 v[66:67], v[6:7], v[66:67]
	global_store_dwordx2 v[60:61], v[66:67], off
	v_lshlrev_b64 v[60:61], 3, v[0:1]
	v_add_nc_u32_e32 v0, s4, v0
	v_add_co_u32 v60, vcc_lo, s2, v60
	v_add_co_ci_u32_e64 v61, null, s3, v61, vcc_lo
	global_load_dwordx2 v[66:67], v[60:61], off
	s_waitcnt vmcnt(0)
	v_mul_f64 v[66:67], v[70:71], v[66:67]
	v_mul_f64 v[6:7], v[6:7], v[66:67]
	global_store_dwordx2 v[60:61], v[6:7], off
	v_lshlrev_b64 v[6:7], 3, v[0:1]
	v_add_nc_u32_e32 v0, s4, v0
	v_add_co_u32 v6, vcc_lo, s2, v6
	v_add_co_ci_u32_e64 v7, null, s3, v7, vcc_lo
	global_load_dwordx2 v[60:61], v[6:7], off
	s_waitcnt vmcnt(0)
	v_mul_f64 v[60:61], v[70:71], v[60:61]
	v_mul_f64 v[48:49], v[48:49], v[60:61]
	v_lshlrev_b64 v[60:61], 3, v[0:1]
	v_add_nc_u32_e32 v0, s4, v0
	v_add_co_u32 v60, vcc_lo, s2, v60
	v_add_co_ci_u32_e64 v61, null, s3, v61, vcc_lo
	global_store_dwordx2 v[6:7], v[48:49], off
	global_load_dwordx2 v[6:7], v[60:61], off
	v_lshlrev_b64 v[48:49], 3, v[0:1]
	v_add_nc_u32_e32 v0, s5, v0
	v_mad_u64_u32 v[80:81], null, 0xffffffed, s4, v[0:1]
	v_mov_b32_e32 v81, v1
	s_waitcnt vmcnt(0)
	v_mul_f64 v[6:7], v[70:71], v[6:7]
	v_mul_f64 v[6:7], v[56:57], v[6:7]
	v_add_co_u32 v56, vcc_lo, s2, v48
	v_add_co_ci_u32_e64 v57, null, s3, v49, vcc_lo
	global_store_dwordx2 v[60:61], v[6:7], off
	global_load_dwordx2 v[6:7], v[56:57], off
	s_clause 0x3
	global_load_dwordx2 v[78:79], v[12:13], off
	global_load_dwordx2 v[66:67], v[12:13], off
	;; [unrolled: 1-line block ×4, first 2 shown]
	s_waitcnt vmcnt(4)
	v_mul_f64 v[6:7], v[6:7], v[70:71]
	s_waitcnt vmcnt(3)
	v_mul_f64 v[6:7], v[6:7], v[78:79]
	global_store_dwordx2 v[56:57], v[6:7], off
	v_lshlrev_b64 v[56:57], 3, v[80:81]
	v_add_co_u32 v6, vcc_lo, s0, v62
	v_add_co_ci_u32_e64 v7, null, s1, v63, vcc_lo
	v_lshlrev_b64 v[62:63], 3, v[0:1]
	v_add_co_u32 v56, vcc_lo, s0, v56
	v_add_co_ci_u32_e64 v57, null, s1, v57, vcc_lo
	v_add_co_u32 v81, vcc_lo, s2, v62
	v_add_co_ci_u32_e64 v82, null, s3, v63, vcc_lo
	s_clause 0x3
	global_load_dwordx2 v[83:84], v[56:57], off
	global_load_dwordx2 v[70:71], v[56:57], off
	;; [unrolled: 1-line block ×5, first 2 shown]
	s_waitcnt vmcnt(0)
	v_mul_f64 v[6:7], v[6:7], v[83:84]
	v_mul_f64 v[6:7], v[6:7], v[78:79]
	global_store_dwordx2 v[81:82], v[6:7], off
	v_mad_u64_u32 v[6:7], null, s4, 20, v[80:81]
	v_mov_b32_e32 v7, v1
	v_lshlrev_b64 v[80:81], 3, v[6:7]
	v_add_nc_u32_e32 v0, s4, v6
	v_add_co_u32 v80, vcc_lo, s2, v80
	v_add_co_ci_u32_e64 v81, null, s3, v81, vcc_lo
	v_lshlrev_b64 v[6:7], 3, v[0:1]
	v_add_nc_u32_e32 v0, s4, v0
	global_load_dwordx2 v[85:86], v[80:81], off
	v_add_co_u32 v6, vcc_lo, s2, v6
	v_add_co_ci_u32_e64 v7, null, s3, v7, vcc_lo
	s_waitcnt vmcnt(0)
	v_mul_f64 v[85:86], v[85:86], v[83:84]
	v_mul_f64 v[85:86], v[85:86], v[68:69]
	global_store_dwordx2 v[80:81], v[85:86], off
	global_load_dwordx2 v[80:81], v[6:7], off
	s_waitcnt vmcnt(0)
	v_mul_f64 v[80:81], v[80:81], v[83:84]
	v_mul_f64 v[80:81], v[80:81], v[28:29]
	global_store_dwordx2 v[6:7], v[80:81], off
	v_lshlrev_b64 v[6:7], 3, v[0:1]
	v_add_nc_u32_e32 v0, s4, v0
	v_add_co_u32 v6, vcc_lo, s2, v6
	v_add_co_ci_u32_e64 v7, null, s3, v7, vcc_lo
	global_load_dwordx2 v[80:81], v[6:7], off
	s_waitcnt vmcnt(0)
	v_mul_f64 v[80:81], v[80:81], v[83:84]
	v_mul_f64 v[76:77], v[80:81], v[76:77]
	global_store_dwordx2 v[6:7], v[76:77], off
	v_lshlrev_b64 v[6:7], 3, v[0:1]
	v_add_nc_u32_e32 v0, s4, v0
	v_add_co_u32 v6, vcc_lo, s2, v6
	v_add_co_ci_u32_e64 v7, null, s3, v7, vcc_lo
	global_load_dwordx2 v[76:77], v[6:7], off
	s_waitcnt vmcnt(0)
	v_mul_f64 v[76:77], v[76:77], v[52:53]
	global_store_dwordx2 v[6:7], v[76:77], off
	v_lshlrev_b64 v[6:7], 3, v[0:1]
	v_add_nc_u32_e32 v0, s4, v0
	v_add_co_u32 v6, vcc_lo, s2, v6
	v_add_co_ci_u32_e64 v7, null, s3, v7, vcc_lo
	global_load_dwordx2 v[76:77], v[6:7], off
	s_waitcnt vmcnt(0)
	;; [unrolled: 8-line block ×5, first 2 shown]
	v_mul_f64 v[68:69], v[68:69], v[28:29]
	global_store_dwordx2 v[6:7], v[68:69], off
	v_lshlrev_b64 v[6:7], 3, v[0:1]
	v_add_nc_u32_e32 v0, s4, v0
	v_add_co_u32 v6, vcc_lo, s2, v6
	v_add_co_ci_u32_e64 v7, null, s3, v7, vcc_lo
	v_lshlrev_b64 v[72:73], 3, v[0:1]
	v_add_nc_u32_e32 v0, s4, v0
	global_load_dwordx2 v[68:69], v[6:7], off
	v_add_co_u32 v72, vcc_lo, s2, v72
	v_add_co_ci_u32_e64 v73, null, s3, v73, vcc_lo
	s_waitcnt vmcnt(0)
	v_mul_f64 v[68:69], v[68:69], v[83:84]
	global_store_dwordx2 v[6:7], v[68:69], off
	global_load_dwordx2 v[6:7], v[72:73], off
	s_clause 0x1
	global_load_dwordx2 v[68:69], v[74:75], off
	global_load_dwordx2 v[74:75], v[74:75], off
	s_waitcnt vmcnt(1)
	v_mul_f64 v[6:7], v[6:7], v[68:69]
	v_lshlrev_b64 v[68:69], 3, v[0:1]
	v_add_nc_u32_e32 v0, s4, v0
	v_add_co_u32 v68, vcc_lo, s2, v68
	v_add_co_ci_u32_e64 v69, null, s3, v69, vcc_lo
	global_store_dwordx2 v[72:73], v[6:7], off
	global_load_dwordx2 v[6:7], v[68:69], off
	v_lshlrev_b64 v[72:73], 3, v[0:1]
	v_add_nc_u32_e32 v0, s4, v0
	s_waitcnt vmcnt(0)
	v_mul_f64 v[6:7], v[6:7], v[22:23]
	global_store_dwordx2 v[68:69], v[6:7], off
	v_add_co_u32 v68, vcc_lo, s2, v72
	v_add_co_ci_u32_e64 v69, null, s3, v73, vcc_lo
	v_lshlrev_b64 v[6:7], 3, v[0:1]
	v_add_nc_u32_e32 v0, s4, v0
	global_load_dwordx2 v[72:73], v[68:69], off
	v_add_co_u32 v6, vcc_lo, s2, v6
	v_add_co_ci_u32_e64 v7, null, s3, v7, vcc_lo
	s_waitcnt vmcnt(0)
	v_mul_f64 v[72:73], v[72:73], v[22:23]
	global_store_dwordx2 v[68:69], v[72:73], off
	global_load_dwordx2 v[68:69], v[6:7], off
	v_lshlrev_b64 v[72:73], 3, v[0:1]
	v_add_nc_u32_e32 v0, s4, v0
	s_waitcnt vmcnt(0)
	v_mul_f64 v[68:69], v[68:69], v[52:53]
	global_store_dwordx2 v[6:7], v[68:69], off
	v_add_co_u32 v68, vcc_lo, s2, v72
	v_add_co_ci_u32_e64 v69, null, s3, v73, vcc_lo
	v_lshlrev_b64 v[6:7], 3, v[0:1]
	v_add_nc_u32_e32 v0, s5, v0
	global_load_dwordx2 v[72:73], v[68:69], off
	v_add_co_u32 v6, vcc_lo, s2, v6
	v_add_co_ci_u32_e64 v7, null, s3, v7, vcc_lo
	s_waitcnt vmcnt(0)
	v_mul_f64 v[72:73], v[72:73], v[52:53]
	;; [unrolled: 16-line block ×3, first 2 shown]
	global_store_dwordx2 v[68:69], v[72:73], off
	global_load_dwordx2 v[68:69], v[6:7], off
	s_waitcnt vmcnt(0)
	v_mul_f64 v[22:23], v[68:69], v[22:23]
	v_lshlrev_b64 v[68:69], 3, v[0:1]
	v_add_nc_u32_e32 v0, s4, v0
	v_add_co_u32 v68, vcc_lo, s2, v68
	v_add_co_ci_u32_e64 v69, null, s3, v69, vcc_lo
	global_store_dwordx2 v[6:7], v[22:23], off
	global_load_dwordx2 v[6:7], v[68:69], off
	v_lshlrev_b64 v[22:23], 3, v[0:1]
	v_add_nc_u32_e32 v0, s4, v0
	v_add_co_u32 v22, vcc_lo, s2, v22
	v_add_co_ci_u32_e64 v23, null, s3, v23, vcc_lo
	s_waitcnt vmcnt(0)
	v_mul_f64 v[6:7], v[6:7], v[50:51]
	global_store_dwordx2 v[68:69], v[6:7], off
	global_load_dwordx2 v[6:7], v[22:23], off
	v_lshlrev_b64 v[68:69], 3, v[0:1]
	v_add_nc_u32_e32 v0, s4, v0
	v_add_co_u32 v68, vcc_lo, s2, v68
	v_add_co_ci_u32_e64 v69, null, s3, v69, vcc_lo
	s_waitcnt vmcnt(0)
	v_mul_f64 v[6:7], v[6:7], v[52:53]
	global_store_dwordx2 v[22:23], v[6:7], off
	global_load_dwordx2 v[6:7], v[68:69], off
	v_lshlrev_b64 v[22:23], 3, v[0:1]
	v_add_nc_u32_e32 v0, s4, v0
	v_add_co_u32 v22, vcc_lo, s2, v22
	v_add_co_ci_u32_e64 v23, null, s3, v23, vcc_lo
	s_waitcnt vmcnt(0)
	v_mul_f64 v[6:7], v[6:7], v[28:29]
	global_store_dwordx2 v[68:69], v[6:7], off
	global_load_dwordx2 v[6:7], v[22:23], off
	s_waitcnt vmcnt(0)
	v_mul_f64 v[6:7], v[6:7], v[28:29]
	v_lshlrev_b64 v[28:29], 3, v[0:1]
	v_add_nc_u32_e32 v0, s4, v0
	v_add_co_u32 v28, vcc_lo, s2, v28
	v_add_co_ci_u32_e64 v29, null, s3, v29, vcc_lo
	global_store_dwordx2 v[22:23], v[6:7], off
	global_load_dwordx2 v[6:7], v[28:29], off
	v_lshlrev_b64 v[22:23], 3, v[0:1]
	v_add_nc_u32_e32 v0, s4, v0
	v_add_co_u32 v22, vcc_lo, s2, v22
	v_add_co_ci_u32_e64 v23, null, s3, v23, vcc_lo
	s_waitcnt vmcnt(0)
	v_mul_f64 v[6:7], v[6:7], v[66:67]
	global_store_dwordx2 v[28:29], v[6:7], off
	global_load_dwordx2 v[6:7], v[22:23], off
	v_lshlrev_b64 v[28:29], 3, v[0:1]
	v_add_nc_u32_e32 v0, s4, v0
	v_add_co_u32 v68, vcc_lo, s2, v28
	v_add_co_ci_u32_e64 v69, null, s3, v29, vcc_lo
	s_waitcnt vmcnt(0)
	v_mul_f64 v[6:7], v[6:7], v[66:67]
	global_store_dwordx2 v[22:23], v[6:7], off
	global_load_dwordx2 v[22:23], v[68:69], off
	s_clause 0x3
	global_load_dwordx2 v[72:73], v[8:9], off
	global_load_dwordx2 v[76:77], v[8:9], off
	;; [unrolled: 1-line block ×4, first 2 shown]
	s_waitcnt vmcnt(3)
	v_mul_f64 v[22:23], v[22:23], v[72:73]
	global_store_dwordx2 v[68:69], v[22:23], off
	v_lshlrev_b64 v[22:23], 3, v[0:1]
	v_add_co_u32 v22, vcc_lo, s2, v22
	v_add_co_ci_u32_e64 v23, null, s3, v23, vcc_lo
	global_load_dwordx2 v[68:69], v[22:23], off
	s_waitcnt vmcnt(0)
	v_mul_f64 v[68:69], v[68:69], v[70:71]
	global_store_dwordx2 v[22:23], v[68:69], off
	v_mad_u64_u32 v[22:23], null, s4, 3, v[0:1]
	v_mov_b32_e32 v23, v1
	v_lshlrev_b64 v[68:69], 3, v[22:23]
	v_add_nc_u32_e32 v0, s4, v22
	v_add_co_u32 v68, vcc_lo, s2, v68
	v_add_co_ci_u32_e64 v69, null, s3, v69, vcc_lo
	v_lshlrev_b64 v[22:23], 3, v[0:1]
	v_add_nc_u32_e32 v0, s4, v0
	global_load_dwordx2 v[72:73], v[68:69], off
	v_add_co_u32 v22, vcc_lo, s2, v22
	v_add_co_ci_u32_e64 v23, null, s3, v23, vcc_lo
	s_waitcnt vmcnt(0)
	v_mul_f64 v[64:65], v[72:73], v[64:65]
	global_store_dwordx2 v[68:69], v[64:65], off
	global_load_dwordx2 v[64:65], v[22:23], off
	v_lshlrev_b64 v[68:69], 3, v[0:1]
	v_add_nc_u32_e32 v0, s4, v0
	s_waitcnt vmcnt(0)
	v_mul_f64 v[64:65], v[64:65], v[20:21]
	global_store_dwordx2 v[22:23], v[64:65], off
	v_add_co_u32 v64, vcc_lo, s2, v68
	v_add_co_ci_u32_e64 v65, null, s3, v69, vcc_lo
	v_lshlrev_b64 v[22:23], 3, v[0:1]
	v_add_nc_u32_e32 v0, s4, v0
	global_load_dwordx2 v[68:69], v[64:65], off
	v_add_co_u32 v22, vcc_lo, s2, v22
	v_add_co_ci_u32_e64 v23, null, s3, v23, vcc_lo
	s_waitcnt vmcnt(0)
	v_mul_f64 v[68:69], v[68:69], v[52:53]
	global_store_dwordx2 v[64:65], v[68:69], off
	global_load_dwordx2 v[64:65], v[22:23], off
	s_waitcnt vmcnt(0)
	v_mul_f64 v[52:53], v[64:65], v[52:53]
	v_lshlrev_b64 v[64:65], 3, v[0:1]
	v_add_nc_u32_e32 v0, s4, v0
	v_add_co_u32 v64, vcc_lo, s2, v64
	v_add_co_ci_u32_e64 v65, null, s3, v65, vcc_lo
	global_store_dwordx2 v[22:23], v[52:53], off
	global_load_dwordx2 v[22:23], v[64:65], off
	v_lshlrev_b64 v[52:53], 3, v[0:1]
	v_add_nc_u32_e32 v0, s4, v0
	v_add_co_u32 v52, vcc_lo, s2, v52
	v_add_co_ci_u32_e64 v53, null, s3, v53, vcc_lo
	s_waitcnt vmcnt(0)
	v_mul_f64 v[22:23], v[22:23], v[66:67]
	global_store_dwordx2 v[64:65], v[22:23], off
	global_load_dwordx2 v[22:23], v[52:53], off
	s_waitcnt vmcnt(0)
	v_mul_f64 v[22:23], v[22:23], v[50:51]
	v_lshlrev_b64 v[50:51], 3, v[0:1]
	v_add_nc_u32_e32 v0, s4, v0
	v_add_co_u32 v50, vcc_lo, s2, v50
	v_add_co_ci_u32_e64 v51, null, s3, v51, vcc_lo
	global_store_dwordx2 v[52:53], v[22:23], off
	global_load_dwordx2 v[22:23], v[50:51], off
	v_lshlrev_b64 v[52:53], 3, v[0:1]
	v_add_nc_u32_e32 v0, s4, v0
	v_add_co_u32 v52, vcc_lo, s2, v52
	v_add_co_ci_u32_e64 v53, null, s3, v53, vcc_lo
	s_waitcnt vmcnt(0)
	v_mul_f64 v[22:23], v[22:23], v[18:19]
	global_store_dwordx2 v[50:51], v[22:23], off
	global_load_dwordx2 v[22:23], v[52:53], off
	v_lshlrev_b64 v[50:51], 3, v[0:1]
	v_add_nc_u32_e32 v0, s4, v0
	v_add_co_u32 v50, vcc_lo, s2, v50
	v_add_co_ci_u32_e64 v51, null, s3, v51, vcc_lo
	s_waitcnt vmcnt(0)
	v_mul_f64 v[22:23], v[22:23], v[18:19]
	;; [unrolled: 8-line block ×7, first 2 shown]
	v_mul_f64 v[22:23], v[22:23], v[20:21]
	global_store_dwordx2 v[50:51], v[22:23], off
	global_load_dwordx2 v[22:23], v[52:53], off
	s_waitcnt vmcnt(0)
	v_mul_f64 v[22:23], v[22:23], v[62:63]
	v_mul_f64 v[20:21], v[22:23], v[20:21]
	v_lshlrev_b64 v[22:23], 3, v[0:1]
	v_add_nc_u32_e32 v0, s4, v0
	v_add_co_u32 v22, vcc_lo, s2, v22
	v_add_co_ci_u32_e64 v23, null, s3, v23, vcc_lo
	v_lshlrev_b64 v[50:51], 3, v[0:1]
	v_add_nc_u32_e32 v0, s4, v0
	v_add_co_u32 v50, vcc_lo, s2, v50
	v_add_co_ci_u32_e64 v51, null, s3, v51, vcc_lo
	global_store_dwordx2 v[52:53], v[20:21], off
	global_load_dwordx2 v[20:21], v[22:23], off
	s_waitcnt vmcnt(0)
	v_mul_f64 v[20:21], v[20:21], v[62:63]
	v_mul_f64 v[20:21], v[20:21], v[44:45]
	global_store_dwordx2 v[22:23], v[20:21], off
	global_load_dwordx2 v[20:21], v[50:51], off
	v_lshlrev_b64 v[22:23], 3, v[0:1]
	v_add_nc_u32_e32 v0, s4, v0
	v_add_co_u32 v22, vcc_lo, s2, v22
	v_add_co_ci_u32_e64 v23, null, s3, v23, vcc_lo
	s_waitcnt vmcnt(0)
	v_mul_f64 v[20:21], v[20:21], v[62:63]
	v_mul_f64 v[20:21], v[20:21], v[66:67]
	global_store_dwordx2 v[50:51], v[20:21], off
	global_load_dwordx2 v[20:21], v[22:23], off
	s_waitcnt vmcnt(0)
	v_mul_f64 v[20:21], v[20:21], v[62:63]
	v_mul_f64 v[18:19], v[20:21], v[18:19]
	v_lshlrev_b64 v[20:21], 3, v[0:1]
	v_add_nc_u32_e32 v0, s4, v0
	v_add_co_u32 v20, vcc_lo, s2, v20
	v_add_co_ci_u32_e64 v21, null, s3, v21, vcc_lo
	global_store_dwordx2 v[22:23], v[18:19], off
	global_load_dwordx2 v[18:19], v[20:21], off
	v_lshlrev_b64 v[22:23], 3, v[0:1]
	v_add_nc_u32_e32 v0, s4, v0
	v_add_co_u32 v22, vcc_lo, s2, v22
	v_add_co_ci_u32_e64 v23, null, s3, v23, vcc_lo
	v_mad_u64_u32 v[50:51], null, 0xffffffbb, s4, v[0:1]
	v_mov_b32_e32 v51, v1
	v_lshlrev_b64 v[51:52], 3, v[50:51]
	s_waitcnt vmcnt(0)
	v_mul_f64 v[18:19], v[18:19], v[62:63]
	v_mul_f64 v[18:19], v[18:19], v[76:77]
	global_store_dwordx2 v[20:21], v[18:19], off
	global_load_dwordx2 v[18:19], v[22:23], off
	s_waitcnt vmcnt(0)
	v_mul_f64 v[20:21], v[18:19], v[62:63]
	v_lshlrev_b64 v[18:19], 3, v[0:1]
	v_add_co_u32 v58, vcc_lo, s2, v18
	v_add_co_ci_u32_e64 v59, null, s3, v19, vcc_lo
	v_add_co_u32 v18, vcc_lo, s0, v51
	v_add_co_ci_u32_e64 v19, null, s1, v52, vcc_lo
	v_mad_u64_u32 v[50:51], null, 0x46, s4, v[50:51]
	v_mov_b32_e32 v51, v1
	global_store_dwordx2 v[22:23], v[20:21], off
	global_load_dwordx2 v[62:63], v[58:59], off
	s_clause 0x3
	global_load_dwordx2 v[64:65], v[18:19], off
	global_load_dwordx2 v[52:53], v[18:19], off
	;; [unrolled: 1-line block ×4, first 2 shown]
	v_add_nc_u32_e32 v0, s4, v50
	s_waitcnt vmcnt(3)
	v_mul_f64 v[62:63], v[62:63], v[64:65]
	v_mul_f64 v[24:25], v[62:63], v[24:25]
	v_lshlrev_b64 v[62:63], 3, v[50:51]
	v_add_co_u32 v62, vcc_lo, s2, v62
	v_add_co_ci_u32_e64 v63, null, s3, v63, vcc_lo
	global_store_dwordx2 v[58:59], v[24:25], off
	global_load_dwordx2 v[24:25], v[62:63], off
	s_waitcnt vmcnt(0)
	v_mul_f64 v[24:25], v[24:25], v[64:65]
	v_mul_f64 v[24:25], v[24:25], v[44:45]
	v_lshlrev_b64 v[44:45], 3, v[0:1]
	v_add_nc_u32_e32 v0, s4, v0
	v_add_co_u32 v44, vcc_lo, s2, v44
	v_add_co_ci_u32_e64 v45, null, s3, v45, vcc_lo
	v_lshlrev_b64 v[50:51], 3, v[0:1]
	v_add_nc_u32_e32 v0, s4, v0
	v_add_co_u32 v50, vcc_lo, s2, v50
	v_add_co_ci_u32_e64 v51, null, s3, v51, vcc_lo
	global_store_dwordx2 v[62:63], v[24:25], off
	global_load_dwordx2 v[24:25], v[44:45], off
	s_waitcnt vmcnt(0)
	v_mul_f64 v[24:25], v[24:25], v[64:65]
	v_mul_f64 v[24:25], v[24:25], v[60:61]
	global_store_dwordx2 v[44:45], v[24:25], off
	global_load_dwordx2 v[24:25], v[50:51], off
	v_lshlrev_b64 v[44:45], 3, v[0:1]
	v_add_nc_u32_e32 v0, s4, v0
	v_add_co_u32 v58, vcc_lo, s2, v44
	v_add_co_ci_u32_e64 v59, null, s3, v45, vcc_lo
	v_lshlrev_b64 v[66:67], 3, v[0:1]
	v_add_nc_u32_e32 v0, s4, v0
	v_add_co_u32 v66, vcc_lo, s2, v66
	v_add_co_ci_u32_e64 v67, null, s3, v67, vcc_lo
	s_waitcnt vmcnt(0)
	v_mul_f64 v[24:25], v[24:25], v[64:65]
	v_mul_f64 v[24:25], v[24:25], v[60:61]
	global_store_dwordx2 v[50:51], v[24:25], off
	global_load_dwordx2 v[24:25], v[58:59], off
	s_clause 0x3
	global_load_dwordx2 v[60:61], v[2:3], off
	global_load_dwordx2 v[62:63], v[2:3], off
	;; [unrolled: 1-line block ×4, first 2 shown]
	s_waitcnt vmcnt(4)
	v_mul_f64 v[24:25], v[24:25], v[64:65]
	s_waitcnt vmcnt(3)
	v_mul_f64 v[24:25], v[24:25], v[60:61]
	global_store_dwordx2 v[58:59], v[24:25], off
	global_load_dwordx2 v[24:25], v[66:67], off
	v_lshlrev_b64 v[58:59], 3, v[0:1]
	v_add_nc_u32_e32 v0, s4, v0
	v_add_co_u32 v58, vcc_lo, s2, v58
	v_add_co_ci_u32_e64 v59, null, s3, v59, vcc_lo
	s_waitcnt vmcnt(0)
	v_mul_f64 v[24:25], v[24:25], v[64:65]
	v_mul_f64 v[24:25], v[24:25], v[60:61]
	v_lshlrev_b64 v[60:61], 3, v[0:1]
	v_add_nc_u32_e32 v0, s4, v0
	v_add_co_u32 v60, vcc_lo, s2, v60
	v_add_co_ci_u32_e64 v61, null, s3, v61, vcc_lo
	global_store_dwordx2 v[66:67], v[24:25], off
	global_load_dwordx2 v[24:25], v[58:59], off
	s_waitcnt vmcnt(0)
	v_mul_f64 v[24:25], v[24:25], v[64:65]
	v_mul_f64 v[24:25], v[24:25], v[76:77]
	global_store_dwordx2 v[58:59], v[24:25], off
	global_load_dwordx2 v[24:25], v[60:61], off
	v_lshlrev_b64 v[58:59], 3, v[0:1]
	v_add_nc_u32_e32 v0, s4, v0
	v_add_co_u32 v58, vcc_lo, s2, v58
	v_add_co_ci_u32_e64 v59, null, s3, v59, vcc_lo
	s_waitcnt vmcnt(0)
	v_mul_f64 v[24:25], v[24:25], v[64:65]
	v_mul_f64 v[24:25], v[24:25], v[76:77]
	global_store_dwordx2 v[60:61], v[24:25], off
	global_load_dwordx2 v[24:25], v[58:59], off
	s_waitcnt vmcnt(0)
	v_mul_f64 v[24:25], v[24:25], v[64:65]
	v_mul_f64 v[24:25], v[24:25], v[54:55]
	v_lshlrev_b64 v[54:55], 3, v[0:1]
	v_add_nc_u32_e32 v0, s4, v0
	v_add_co_u32 v54, vcc_lo, s2, v54
	v_add_co_ci_u32_e64 v55, null, s3, v55, vcc_lo
	global_store_dwordx2 v[58:59], v[24:25], off
	global_load_dwordx2 v[24:25], v[54:55], off
	v_lshlrev_b64 v[58:59], 3, v[0:1]
	v_add_nc_u32_e32 v0, s4, v0
	v_add_co_u32 v58, vcc_lo, s2, v58
	v_add_co_ci_u32_e64 v59, null, s3, v59, vcc_lo
	s_waitcnt vmcnt(0)
	v_mul_f64 v[24:25], v[24:25], v[64:65]
	global_store_dwordx2 v[54:55], v[24:25], off
	global_load_dwordx2 v[24:25], v[58:59], off
	v_lshlrev_b64 v[54:55], 3, v[0:1]
	v_add_nc_u32_e32 v0, s4, v0
	v_add_co_u32 v54, vcc_lo, s2, v54
	v_add_co_ci_u32_e64 v55, null, s3, v55, vcc_lo
	s_waitcnt vmcnt(0)
	v_mul_f64 v[24:25], v[24:25], v[64:65]
	;; [unrolled: 8-line block ×4, first 2 shown]
	v_mul_f64 v[24:25], v[24:25], v[56:57]
	v_lshlrev_b64 v[56:57], 3, v[0:1]
	v_add_nc_u32_e32 v0, s4, v0
	v_add_co_u32 v56, vcc_lo, s2, v56
	v_add_co_ci_u32_e64 v57, null, s3, v57, vcc_lo
	global_store_dwordx2 v[58:59], v[24:25], off
	global_load_dwordx2 v[24:25], v[54:55], off
	s_waitcnt vmcnt(0)
	v_mul_f64 v[24:25], v[24:25], v[64:65]
	global_store_dwordx2 v[54:55], v[24:25], off
	global_load_dwordx2 v[24:25], v[56:57], off
	v_lshlrev_b64 v[54:55], 3, v[0:1]
	v_add_nc_u32_e32 v0, s4, v0
	v_add_co_u32 v54, vcc_lo, s2, v54
	v_add_co_ci_u32_e64 v55, null, s3, v55, vcc_lo
	s_waitcnt vmcnt(0)
	v_mul_f64 v[24:25], v[24:25], v[64:65]
	global_store_dwordx2 v[56:57], v[24:25], off
	global_load_dwordx2 v[24:25], v[54:55], off
	v_lshlrev_b64 v[56:57], 3, v[0:1]
	v_add_nc_u32_e32 v0, s4, v0
	v_add_co_u32 v56, vcc_lo, s2, v56
	v_add_co_ci_u32_e64 v57, null, s3, v57, vcc_lo
	s_waitcnt vmcnt(0)
	v_mul_f64 v[24:25], v[24:25], v[64:65]
	v_mul_f64 v[24:25], v[64:65], v[24:25]
	global_store_dwordx2 v[54:55], v[24:25], off
	global_load_dwordx2 v[24:25], v[56:57], off
	v_lshlrev_b64 v[54:55], 3, v[0:1]
	v_add_nc_u32_e32 v0, s4, v0
	v_add_co_u32 v54, vcc_lo, s2, v54
	v_add_co_ci_u32_e64 v55, null, s3, v55, vcc_lo
	v_add_co_u32 v46, vcc_lo, s0, v46
	v_add_co_ci_u32_e64 v47, null, s1, v47, vcc_lo
	v_lshlrev_b64 v[58:59], 3, v[0:1]
	v_add_nc_u32_e32 v0, s4, v0
	v_add_co_u32 v40, vcc_lo, s0, v40
	global_load_dwordx2 v[46:47], v[46:47], off
	v_add_co_ci_u32_e64 v41, null, s1, v41, vcc_lo
	v_lshlrev_b64 v[60:61], 3, v[0:1]
	v_add_nc_u32_e32 v0, s4, v0
	v_lshlrev_b64 v[66:67], 3, v[0:1]
	v_add_nc_u32_e32 v0, s4, v0
	;; [unrolled: 2-line block ×5, first 2 shown]
	v_mad_u64_u32 v[74:75], null, 0xffffffa4, s4, v[0:1]
	v_mov_b32_e32 v75, v1
	s_waitcnt vmcnt(1)
	v_mul_f64 v[24:25], v[24:25], v[64:65]
	v_mul_f64 v[24:25], v[64:65], v[24:25]
	global_store_dwordx2 v[56:57], v[24:25], off
	global_load_dwordx2 v[24:25], v[54:55], off
	v_lshlrev_b64 v[56:57], 3, v[74:75]
	v_add_co_u32 v56, vcc_lo, s0, v56
	v_add_co_ci_u32_e64 v57, null, s1, v57, vcc_lo
	v_add_co_u32 v42, vcc_lo, s0, v42
	v_add_co_ci_u32_e64 v43, null, s1, v43, vcc_lo
	s_waitcnt vmcnt(0)
	v_mul_f64 v[24:25], v[24:25], v[64:65]
	s_clause 0x2
	global_load_dwordx2 v[64:65], v[56:57], off
	global_load_dwordx2 v[75:76], v[40:41], off
	global_load_dwordx2 v[56:57], v[42:43], off
	v_add_co_u32 v42, vcc_lo, s2, v58
	v_add_co_ci_u32_e64 v43, null, s3, v59, vcc_lo
	v_mul_f64 v[24:25], v[24:25], v[46:47]
	global_store_dwordx2 v[54:55], v[24:25], off
	s_clause 0x3
	global_load_dwordx2 v[24:25], v[4:5], off
	global_load_dwordx2 v[54:55], v[4:5], off
	;; [unrolled: 1-line block ×5, first 2 shown]
	s_waitcnt vmcnt(0)
	v_mul_f64 v[58:59], v[58:59], v[24:25]
	global_store_dwordx2 v[42:43], v[58:59], off
	v_add_co_u32 v42, vcc_lo, s2, v60
	v_add_co_ci_u32_e64 v43, null, s3, v61, vcc_lo
	v_add_co_u32 v58, vcc_lo, s2, v66
	v_add_co_ci_u32_e64 v59, null, s3, v67, vcc_lo
	global_load_dwordx2 v[60:61], v[42:43], off
	s_waitcnt vmcnt(0)
	v_mul_f64 v[60:61], v[60:61], v[24:25]
	global_store_dwordx2 v[42:43], v[60:61], off
	global_load_dwordx2 v[42:43], v[58:59], off
	v_add_co_u32 v60, vcc_lo, s2, v68
	v_add_co_ci_u32_e64 v61, null, s3, v69, vcc_lo
	s_waitcnt vmcnt(0)
	v_mul_f64 v[42:43], v[42:43], v[24:25]
	global_store_dwordx2 v[58:59], v[42:43], off
	global_load_dwordx2 v[42:43], v[60:61], off
	v_add_co_u32 v58, vcc_lo, s2, v70
	v_add_co_ci_u32_e64 v59, null, s3, v71, vcc_lo
	;; [unrolled: 6-line block ×3, first 2 shown]
	s_waitcnt vmcnt(0)
	v_mul_f64 v[42:43], v[42:43], v[48:49]
	global_store_dwordx2 v[58:59], v[42:43], off
	global_load_dwordx2 v[42:43], v[60:61], off
	v_lshlrev_b64 v[58:59], 3, v[0:1]
	v_add_co_u32 v58, vcc_lo, s2, v58
	v_add_co_ci_u32_e64 v59, null, s3, v59, vcc_lo
	s_waitcnt vmcnt(0)
	v_mul_f64 v[42:43], v[42:43], v[62:63]
	global_store_dwordx2 v[60:61], v[42:43], off
	global_load_dwordx2 v[42:43], v[58:59], off
	v_mad_u64_u32 v[60:61], null, 0x5d, s4, v[74:75]
	v_mov_b32_e32 v61, v1
	v_lshlrev_b64 v[66:67], 3, v[60:61]
	v_add_nc_u32_e32 v0, s4, v60
	v_add_co_u32 v66, vcc_lo, s2, v66
	v_add_co_ci_u32_e64 v67, null, s3, v67, vcc_lo
	s_waitcnt vmcnt(0)
	v_mul_f64 v[42:43], v[42:43], v[64:65]
	v_mul_f64 v[42:43], v[42:43], v[24:25]
	global_store_dwordx2 v[58:59], v[42:43], off
	global_load_dwordx2 v[42:43], v[66:67], off
	v_lshlrev_b64 v[58:59], 3, v[0:1]
	v_add_nc_u32_e32 v0, s4, v0
	v_add_co_u32 v58, vcc_lo, s2, v58
	v_add_co_ci_u32_e64 v59, null, s3, v59, vcc_lo
	s_waitcnt vmcnt(0)
	v_mul_f64 v[42:43], v[42:43], v[64:65]
	v_mul_f64 v[42:43], v[42:43], v[38:39]
	global_store_dwordx2 v[66:67], v[42:43], off
	global_load_dwordx2 v[42:43], v[58:59], off
	s_waitcnt vmcnt(0)
	v_mul_f64 v[42:43], v[42:43], v[64:65]
	v_mul_f64 v[42:43], v[42:43], v[48:49]
	v_lshlrev_b64 v[48:49], 3, v[0:1]
	v_add_nc_u32_e32 v0, s4, v0
	v_add_co_u32 v48, vcc_lo, s2, v48
	v_add_co_ci_u32_e64 v49, null, s3, v49, vcc_lo
	global_store_dwordx2 v[58:59], v[42:43], off
	global_load_dwordx2 v[42:43], v[48:49], off
	v_lshlrev_b64 v[58:59], 3, v[0:1]
	v_add_nc_u32_e32 v0, s4, v0
	v_add_co_u32 v58, vcc_lo, s2, v58
	v_add_co_ci_u32_e64 v59, null, s3, v59, vcc_lo
	s_waitcnt vmcnt(0)
	v_mul_f64 v[42:43], v[42:43], v[64:65]
	global_store_dwordx2 v[48:49], v[42:43], off
	global_load_dwordx2 v[42:43], v[58:59], off
	v_lshlrev_b64 v[48:49], 3, v[0:1]
	v_add_nc_u32_e32 v0, s4, v0
	v_add_co_u32 v48, vcc_lo, s2, v48
	v_add_co_ci_u32_e64 v49, null, s3, v49, vcc_lo
	s_waitcnt vmcnt(0)
	v_mul_f64 v[42:43], v[42:43], v[64:65]
	;; [unrolled: 8-line block ×3, first 2 shown]
	global_store_dwordx2 v[48:49], v[42:43], off
	global_load_dwordx2 v[42:43], v[58:59], off
	s_waitcnt vmcnt(0)
	v_mul_f64 v[42:43], v[42:43], v[46:47]
	v_mul_f64 v[24:25], v[42:43], v[24:25]
	v_lshlrev_b64 v[42:43], 3, v[0:1]
	v_add_nc_u32_e32 v0, s4, v0
	v_add_co_u32 v42, vcc_lo, s2, v42
	v_add_co_ci_u32_e64 v43, null, s3, v43, vcc_lo
	global_store_dwordx2 v[58:59], v[24:25], off
	global_load_dwordx2 v[24:25], v[42:43], off
	s_waitcnt vmcnt(0)
	v_mul_f64 v[24:25], v[24:25], v[46:47]
	v_mul_f64 v[24:25], v[24:25], v[38:39]
	v_lshlrev_b64 v[38:39], 3, v[0:1]
	v_add_nc_u32_e32 v0, s4, v0
	v_add_co_u32 v38, vcc_lo, s2, v38
	v_add_co_ci_u32_e64 v39, null, s3, v39, vcc_lo
	global_store_dwordx2 v[42:43], v[24:25], off
	global_load_dwordx2 v[24:25], v[38:39], off
	v_lshlrev_b64 v[42:43], 3, v[0:1]
	v_add_nc_u32_e32 v0, s4, v0
	v_add_co_u32 v42, vcc_lo, s2, v42
	v_add_co_ci_u32_e64 v43, null, s3, v43, vcc_lo
	s_waitcnt vmcnt(0)
	v_mul_f64 v[24:25], v[24:25], v[46:47]
	v_mul_f64 v[24:25], v[24:25], v[62:63]
	global_store_dwordx2 v[38:39], v[24:25], off
	global_load_dwordx2 v[24:25], v[42:43], off
	v_lshlrev_b64 v[38:39], 3, v[0:1]
	v_add_nc_u32_e32 v0, s4, v0
	v_add_co_u32 v38, vcc_lo, s2, v38
	v_add_co_ci_u32_e64 v39, null, s3, v39, vcc_lo
	s_waitcnt vmcnt(0)
	v_mul_f64 v[24:25], v[24:25], v[46:47]
	global_store_dwordx2 v[42:43], v[24:25], off
	global_load_dwordx2 v[24:25], v[38:39], off
	v_lshlrev_b64 v[42:43], 3, v[0:1]
	v_add_nc_u32_e32 v0, s4, v0
	v_add_co_u32 v42, vcc_lo, s2, v42
	v_add_co_ci_u32_e64 v43, null, s3, v43, vcc_lo
	s_waitcnt vmcnt(0)
	;; [unrolled: 8-line block ×3, first 2 shown]
	v_mul_f64 v[24:25], v[24:25], v[46:47]
	v_mul_f64 v[24:25], v[46:47], v[24:25]
	global_store_dwordx2 v[42:43], v[24:25], off
	global_load_dwordx2 v[24:25], v[38:39], off
	v_lshlrev_b64 v[42:43], 3, v[0:1]
	v_add_nc_u32_e32 v0, s4, v0
	v_add_co_u32 v46, vcc_lo, s2, v42
	v_add_co_ci_u32_e64 v47, null, s3, v43, vcc_lo
	s_waitcnt vmcnt(0)
	v_mul_f64 v[24:25], v[24:25], v[75:76]
	global_store_dwordx2 v[38:39], v[24:25], off
	global_load_dwordx2 v[24:25], v[46:47], off
	global_load_dwordx2 v[48:49], v[36:37], off
	s_waitcnt vmcnt(1)
	v_mul_f64 v[58:59], v[24:25], v[75:76]
	s_clause 0x2
	global_load_dwordx2 v[42:43], v[36:37], off
	global_load_dwordx2 v[38:39], v[36:37], off
	;; [unrolled: 1-line block ×3, first 2 shown]
	s_waitcnt vmcnt(3)
	v_mul_f64 v[36:37], v[58:59], v[48:49]
	v_lshlrev_b64 v[58:59], 3, v[0:1]
	v_add_nc_u32_e32 v0, s4, v0
	v_add_co_u32 v58, vcc_lo, s2, v58
	v_add_co_ci_u32_e64 v59, null, s3, v59, vcc_lo
	global_store_dwordx2 v[46:47], v[36:37], off
	global_load_dwordx2 v[36:37], v[58:59], off
	v_lshlrev_b64 v[46:47], 3, v[0:1]
	v_add_nc_u32_e32 v0, s4, v0
	v_add_co_u32 v60, vcc_lo, s2, v46
	v_add_co_ci_u32_e64 v61, null, s3, v47, vcc_lo
	v_lshlrev_b64 v[66:67], 3, v[0:1]
	v_add_nc_u32_e32 v0, s4, v0
	v_add_co_u32 v66, vcc_lo, s2, v66
	v_add_co_ci_u32_e64 v67, null, s3, v67, vcc_lo
	s_waitcnt vmcnt(0)
	v_mul_f64 v[36:37], v[36:37], v[75:76]
	v_mul_f64 v[36:37], v[36:37], v[48:49]
	global_store_dwordx2 v[58:59], v[36:37], off
	global_load_dwordx2 v[36:37], v[60:61], off
	global_load_dwordx2 v[58:59], v[12:13], off
	s_waitcnt vmcnt(1)
	v_mul_f64 v[62:63], v[36:37], v[75:76]
	s_clause 0x2
	global_load_dwordx2 v[64:65], v[12:13], off
	global_load_dwordx2 v[46:47], v[12:13], off
	;; [unrolled: 1-line block ×3, first 2 shown]
	s_waitcnt vmcnt(3)
	v_mul_f64 v[62:63], v[62:63], v[58:59]
	global_store_dwordx2 v[60:61], v[62:63], off
	global_load_dwordx2 v[60:61], v[66:67], off
	v_lshlrev_b64 v[62:63], 3, v[0:1]
	v_add_nc_u32_e32 v0, s5, v0
	v_add_co_u32 v62, vcc_lo, s2, v62
	v_add_co_ci_u32_e64 v63, null, s3, v63, vcc_lo
	s_waitcnt vmcnt(0)
	v_mul_f64 v[60:61], v[60:61], v[75:76]
	v_mul_f64 v[60:61], v[60:61], v[58:59]
	global_store_dwordx2 v[66:67], v[60:61], off
	global_load_dwordx2 v[60:61], v[62:63], off
	v_lshlrev_b64 v[66:67], 3, v[0:1]
	v_add_nc_u32_e32 v0, s4, v0
	v_add_co_u32 v66, vcc_lo, s2, v66
	v_add_co_ci_u32_e64 v67, null, s3, v67, vcc_lo
	s_waitcnt vmcnt(0)
	v_mul_f64 v[60:61], v[60:61], v[75:76]
	global_store_dwordx2 v[62:63], v[60:61], off
	global_load_dwordx2 v[60:61], v[66:67], off
	v_lshlrev_b64 v[62:63], 3, v[0:1]
	v_add_nc_u32_e32 v0, s4, v0
	v_add_co_u32 v62, vcc_lo, s2, v62
	v_add_co_ci_u32_e64 v63, null, s3, v63, vcc_lo
	s_waitcnt vmcnt(0)
	;; [unrolled: 8-line block ×6, first 2 shown]
	v_mul_f64 v[60:61], v[60:61], v[56:57]
	v_mul_f64 v[60:61], v[60:61], v[54:55]
	global_store_dwordx2 v[66:67], v[60:61], off
	global_load_dwordx2 v[60:61], v[62:63], off
	v_lshlrev_b64 v[66:67], 3, v[0:1]
	v_add_nc_u32_e32 v0, s4, v0
	v_add_co_u32 v66, vcc_lo, s2, v66
	v_add_co_ci_u32_e64 v67, null, s3, v67, vcc_lo
	s_waitcnt vmcnt(0)
	v_mul_f64 v[60:61], v[60:61], v[56:57]
	v_mul_f64 v[60:61], v[60:61], v[54:55]
	global_store_dwordx2 v[62:63], v[60:61], off
	global_load_dwordx2 v[60:61], v[66:67], off
	v_lshlrev_b64 v[62:63], 3, v[0:1]
	v_add_nc_u32_e32 v0, s4, v0
	v_add_co_u32 v62, vcc_lo, s2, v62
	v_add_co_ci_u32_e64 v63, null, s3, v63, vcc_lo
	s_waitcnt vmcnt(0)
	;; [unrolled: 9-line block ×4, first 2 shown]
	v_mul_f64 v[60:61], v[60:61], v[56:57]
	v_mul_f64 v[60:61], v[60:61], v[48:49]
	global_store_dwordx2 v[66:67], v[60:61], off
	global_load_dwordx2 v[60:61], v[62:63], off
	s_waitcnt vmcnt(0)
	v_mul_f64 v[56:57], v[60:61], v[56:57]
	v_mul_f64 v[56:57], v[56:57], v[58:59]
	v_lshlrev_b64 v[58:59], 3, v[0:1]
	v_add_nc_u32_e32 v0, s4, v0
	v_add_co_u32 v58, vcc_lo, s2, v58
	v_add_co_ci_u32_e64 v59, null, s3, v59, vcc_lo
	v_lshlrev_b64 v[60:61], 3, v[0:1]
	v_add_nc_u32_e32 v0, s4, v0
	v_add_co_u32 v60, vcc_lo, s2, v60
	v_add_co_ci_u32_e64 v61, null, s3, v61, vcc_lo
	global_store_dwordx2 v[62:63], v[56:57], off
	global_load_dwordx2 v[56:57], v[58:59], off
	s_waitcnt vmcnt(0)
	v_mul_f64 v[56:57], v[56:57], v[54:55]
	global_store_dwordx2 v[58:59], v[56:57], off
	global_load_dwordx2 v[56:57], v[60:61], off
	v_lshlrev_b64 v[58:59], 3, v[0:1]
	v_add_nc_u32_e32 v0, s4, v0
	v_add_co_u32 v58, vcc_lo, s2, v58
	v_add_co_ci_u32_e64 v59, null, s3, v59, vcc_lo
	s_waitcnt vmcnt(0)
	v_mul_f64 v[56:57], v[56:57], v[54:55]
	global_store_dwordx2 v[60:61], v[56:57], off
	global_load_dwordx2 v[56:57], v[58:59], off
	s_waitcnt vmcnt(0)
	v_mul_f64 v[54:55], v[56:57], v[54:55]
	v_lshlrev_b64 v[56:57], 3, v[0:1]
	v_add_nc_u32_e32 v0, s4, v0
	v_add_co_u32 v56, vcc_lo, s2, v56
	v_add_co_ci_u32_e64 v57, null, s3, v57, vcc_lo
	global_store_dwordx2 v[58:59], v[54:55], off
	global_load_dwordx2 v[54:55], v[56:57], off
	v_lshlrev_b64 v[58:59], 3, v[0:1]
	v_add_nc_u32_e32 v0, s4, v0
	v_add_co_u32 v58, vcc_lo, s2, v58
	v_add_co_ci_u32_e64 v59, null, s3, v59, vcc_lo
	s_waitcnt vmcnt(0)
	v_mul_f64 v[54:55], v[54:55], v[48:49]
	global_store_dwordx2 v[56:57], v[54:55], off
	global_load_dwordx2 v[54:55], v[58:59], off
	s_waitcnt vmcnt(0)
	v_mul_f64 v[48:49], v[54:55], v[48:49]
	v_lshlrev_b64 v[54:55], 3, v[0:1]
	v_add_nc_u32_e32 v0, s4, v0
	v_add_co_u32 v54, vcc_lo, s2, v54
	v_add_co_ci_u32_e64 v55, null, s3, v55, vcc_lo
	v_lshlrev_b64 v[56:57], 3, v[0:1]
	v_add_nc_u32_e32 v0, s4, v0
	v_add_co_u32 v56, vcc_lo, s2, v56
	v_add_co_ci_u32_e64 v57, null, s3, v57, vcc_lo
	global_store_dwordx2 v[58:59], v[48:49], off
	global_load_dwordx2 v[48:49], v[54:55], off
	s_waitcnt vmcnt(0)
	v_mul_f64 v[48:49], v[48:49], v[64:65]
	global_store_dwordx2 v[54:55], v[48:49], off
	global_load_dwordx2 v[48:49], v[56:57], off
	v_lshlrev_b64 v[54:55], 3, v[0:1]
	v_add_nc_u32_e32 v0, s4, v0
	v_add_co_u32 v54, vcc_lo, s2, v54
	v_add_co_ci_u32_e64 v55, null, s3, v55, vcc_lo
	s_waitcnt vmcnt(0)
	v_mul_f64 v[48:49], v[48:49], v[50:51]
	global_store_dwordx2 v[56:57], v[48:49], off
	global_load_dwordx2 v[48:49], v[54:55], off
	v_lshlrev_b64 v[56:57], 3, v[0:1]
	v_add_nc_u32_e32 v0, s4, v0
	v_add_co_u32 v56, vcc_lo, s2, v56
	v_add_co_ci_u32_e64 v57, null, s3, v57, vcc_lo
	;; [unrolled: 8-line block ×3, first 2 shown]
	s_waitcnt vmcnt(0)
	v_mul_f64 v[48:49], v[48:49], v[50:51]
	global_store_dwordx2 v[56:57], v[48:49], off
	global_load_dwordx2 v[48:49], v[54:55], off
	s_waitcnt vmcnt(0)
	v_mul_f64 v[28:29], v[48:49], v[28:29]
	v_lshlrev_b64 v[48:49], 3, v[0:1]
	v_add_nc_u32_e32 v0, s5, v0
	v_add_co_u32 v48, vcc_lo, s2, v48
	v_add_co_ci_u32_e64 v49, null, s3, v49, vcc_lo
	global_store_dwordx2 v[54:55], v[28:29], off
	global_load_dwordx2 v[28:29], v[48:49], off
	s_waitcnt vmcnt(0)
	v_mul_f64 v[28:29], v[28:29], v[34:35]
	v_lshlrev_b64 v[34:35], 3, v[0:1]
	v_add_nc_u32_e32 v0, s4, v0
	v_add_co_u32 v34, vcc_lo, s2, v34
	v_add_co_ci_u32_e64 v35, null, s3, v35, vcc_lo
	global_store_dwordx2 v[48:49], v[28:29], off
	global_load_dwordx2 v[28:29], v[34:35], off
	v_lshlrev_b64 v[48:49], 3, v[0:1]
	v_add_nc_u32_e32 v0, s4, v0
	v_add_co_u32 v48, vcc_lo, s2, v48
	v_add_co_ci_u32_e64 v49, null, s3, v49, vcc_lo
	s_waitcnt vmcnt(0)
	v_mul_f64 v[28:29], v[28:29], v[52:53]
	global_store_dwordx2 v[34:35], v[28:29], off
	global_load_dwordx2 v[28:29], v[48:49], off
	v_lshlrev_b64 v[34:35], 3, v[0:1]
	v_add_nc_u32_e32 v0, s5, v0
	v_add_co_u32 v34, vcc_lo, s2, v34
	v_add_co_ci_u32_e64 v35, null, s3, v35, vcc_lo
	s_waitcnt vmcnt(0)
	v_mul_f64 v[28:29], v[28:29], v[52:53]
	;; [unrolled: 8-line block ×8, first 2 shown]
	global_store_dwordx2 v[48:49], v[28:29], off
	global_load_dwordx2 v[28:29], v[34:35], off
	v_lshlrev_b64 v[48:49], 3, v[0:1]
	v_add_nc_u32_e32 v0, s4, v0
	v_add_co_u32 v48, vcc_lo, s2, v48
	v_add_co_ci_u32_e64 v49, null, s3, v49, vcc_lo
	v_add_co_u32 v14, vcc_lo, s0, v14
	v_add_co_ci_u32_e64 v15, null, s1, v15, vcc_lo
	s_waitcnt vmcnt(0)
	v_mul_f64 v[28:29], v[28:29], v[50:51]
	global_load_dwordx2 v[50:51], v[14:15], off
	global_store_dwordx2 v[34:35], v[28:29], off
	global_load_dwordx2 v[28:29], v[48:49], off
	v_lshlrev_b64 v[34:35], 3, v[0:1]
	v_add_nc_u32_e32 v0, s4, v0
	v_add_co_u32 v34, vcc_lo, s2, v34
	v_add_co_ci_u32_e64 v35, null, s3, v35, vcc_lo
	v_add_co_u32 v14, vcc_lo, s0, v16
	v_add_co_ci_u32_e64 v15, null, s1, v17, vcc_lo
	;; [unrolled: 2-line block ×4, first 2 shown]
	s_waitcnt vmcnt(0)
	v_mul_f64 v[28:29], v[28:29], v[44:45]
	global_store_dwordx2 v[48:49], v[28:29], off
	global_load_dwordx2 v[28:29], v[34:35], off
	s_clause 0x2
	global_load_dwordx2 v[32:33], v[14:15], off
	global_load_dwordx2 v[16:17], v[16:17], off
	;; [unrolled: 1-line block ×3, first 2 shown]
	v_lshlrev_b64 v[30:31], 3, v[0:1]
	v_add_nc_u32_e32 v0, s4, v0
	v_add_co_u32 v30, vcc_lo, s2, v30
	v_add_co_ci_u32_e64 v31, null, s3, v31, vcc_lo
	s_waitcnt vmcnt(3)
	v_mul_f64 v[28:29], v[28:29], v[50:51]
	global_store_dwordx2 v[34:35], v[28:29], off
	global_load_dwordx2 v[28:29], v[30:31], off
	v_lshlrev_b64 v[34:35], 3, v[0:1]
	v_add_nc_u32_e32 v0, s4, v0
	v_add_co_u32 v34, vcc_lo, s2, v34
	v_add_co_ci_u32_e64 v35, null, s3, v35, vcc_lo
	s_waitcnt vmcnt(0)
	v_mul_f64 v[28:29], v[28:29], v[50:51]
	v_mul_f64 v[28:29], v[28:29], v[40:41]
	global_store_dwordx2 v[30:31], v[28:29], off
	global_load_dwordx2 v[28:29], v[34:35], off
	v_lshlrev_b64 v[30:31], 3, v[0:1]
	v_add_nc_u32_e32 v0, s4, v0
	v_add_co_u32 v30, vcc_lo, s2, v30
	v_add_co_ci_u32_e64 v31, null, s3, v31, vcc_lo
	s_waitcnt vmcnt(0)
	v_mul_f64 v[28:29], v[28:29], v[50:51]
	;; [unrolled: 9-line block ×9, first 2 shown]
	global_store_dwordx2 v[30:31], v[28:29], off
	global_load_dwordx2 v[28:29], v[34:35], off
	v_lshlrev_b64 v[30:31], 3, v[0:1]
	v_add_nc_u32_e32 v0, s4, v0
	v_add_co_u32 v30, vcc_lo, s2, v30
	v_add_co_ci_u32_e64 v31, null, s3, v31, vcc_lo
	s_waitcnt vmcnt(0)
	v_mul_f64 v[28:29], v[28:29], v[50:51]
	global_store_dwordx2 v[34:35], v[28:29], off
	global_load_dwordx2 v[28:29], v[30:31], off
	v_lshlrev_b64 v[34:35], 3, v[0:1]
	v_add_nc_u32_e32 v0, s4, v0
	v_add_co_u32 v34, vcc_lo, s2, v34
	v_add_co_ci_u32_e64 v35, null, s3, v35, vcc_lo
	s_waitcnt vmcnt(0)
	v_mul_f64 v[28:29], v[28:29], v[50:51]
	;; [unrolled: 8-line block ×4, first 2 shown]
	v_mul_f64 v[28:29], v[28:29], v[22:23]
	global_store_dwordx2 v[30:31], v[28:29], off
	global_load_dwordx2 v[28:29], v[34:35], off
	s_waitcnt vmcnt(0)
	v_mul_f64 v[28:29], v[28:29], v[50:51]
	v_mul_f64 v[22:23], v[28:29], v[22:23]
	v_lshlrev_b64 v[28:29], 3, v[0:1]
	v_add_nc_u32_e32 v0, s4, v0
	v_add_co_u32 v28, vcc_lo, s2, v28
	v_add_co_ci_u32_e64 v29, null, s3, v29, vcc_lo
	v_lshlrev_b64 v[30:31], 3, v[0:1]
	v_add_nc_u32_e32 v0, s4, v0
	v_add_co_u32 v30, vcc_lo, s2, v30
	v_add_co_ci_u32_e64 v31, null, s3, v31, vcc_lo
	global_store_dwordx2 v[34:35], v[22:23], off
	global_load_dwordx2 v[22:23], v[28:29], off
	s_waitcnt vmcnt(0)
	v_mul_f64 v[22:23], v[22:23], v[4:5]
	global_store_dwordx2 v[28:29], v[22:23], off
	global_load_dwordx2 v[22:23], v[30:31], off
	v_lshlrev_b64 v[28:29], 3, v[0:1]
	v_add_nc_u32_e32 v0, s4, v0
	v_add_co_u32 v28, vcc_lo, s2, v28
	v_add_co_ci_u32_e64 v29, null, s3, v29, vcc_lo
	s_waitcnt vmcnt(0)
	v_mul_f64 v[22:23], v[22:23], v[4:5]
	global_store_dwordx2 v[30:31], v[22:23], off
	global_load_dwordx2 v[22:23], v[28:29], off
	v_lshlrev_b64 v[30:31], 3, v[0:1]
	v_add_nc_u32_e32 v0, s4, v0
	v_add_co_u32 v30, vcc_lo, s2, v30
	v_add_co_ci_u32_e64 v31, null, s3, v31, vcc_lo
	;; [unrolled: 8-line block ×3, first 2 shown]
	s_waitcnt vmcnt(0)
	v_mul_f64 v[22:23], v[22:23], v[38:39]
	global_store_dwordx2 v[30:31], v[22:23], off
	global_load_dwordx2 v[22:23], v[28:29], off
	s_clause 0x1
	global_load_dwordx2 v[30:31], v[2:3], off
	global_load_dwordx2 v[2:3], v[2:3], off
	s_waitcnt vmcnt(1)
	v_mul_f64 v[22:23], v[22:23], v[30:31]
	v_lshlrev_b64 v[30:31], 3, v[0:1]
	v_add_nc_u32_e32 v0, s4, v0
	v_add_co_u32 v30, vcc_lo, s2, v30
	v_add_co_ci_u32_e64 v31, null, s3, v31, vcc_lo
	global_store_dwordx2 v[28:29], v[22:23], off
	global_load_dwordx2 v[22:23], v[30:31], off
	v_lshlrev_b64 v[28:29], 3, v[0:1]
	v_add_nc_u32_e32 v0, s4, v0
	v_add_co_u32 v28, vcc_lo, s2, v28
	v_add_co_ci_u32_e64 v29, null, s3, v29, vcc_lo
	s_waitcnt vmcnt(0)
	v_mul_f64 v[22:23], v[22:23], v[6:7]
	global_store_dwordx2 v[30:31], v[22:23], off
	global_load_dwordx2 v[22:23], v[28:29], off
	v_lshlrev_b64 v[30:31], 3, v[0:1]
	v_add_nc_u32_e32 v0, s4, v0
	v_add_co_u32 v30, vcc_lo, s2, v30
	v_add_co_ci_u32_e64 v31, null, s3, v31, vcc_lo
	s_waitcnt vmcnt(0)
	v_mul_f64 v[22:23], v[22:23], v[6:7]
	;; [unrolled: 8-line block ×3, first 2 shown]
	global_store_dwordx2 v[30:31], v[22:23], off
	global_load_dwordx2 v[22:23], v[28:29], off
	s_waitcnt vmcnt(0)
	v_mul_f64 v[10:11], v[22:23], v[10:11]
	v_lshlrev_b64 v[22:23], 3, v[0:1]
	v_add_nc_u32_e32 v0, s4, v0
	v_add_co_u32 v22, vcc_lo, s2, v22
	v_add_co_ci_u32_e64 v23, null, s3, v23, vcc_lo
	global_store_dwordx2 v[28:29], v[10:11], off
	global_load_dwordx2 v[10:11], v[22:23], off
	v_lshlrev_b64 v[28:29], 3, v[0:1]
	v_add_nc_u32_e32 v0, s4, v0
	v_add_co_u32 v28, vcc_lo, s2, v28
	v_add_co_ci_u32_e64 v29, null, s3, v29, vcc_lo
	s_waitcnt vmcnt(0)
	v_mul_f64 v[10:11], v[10:11], v[32:33]
	v_mul_f64 v[10:11], v[10:11], v[4:5]
	global_store_dwordx2 v[22:23], v[10:11], off
	global_load_dwordx2 v[10:11], v[28:29], off
	v_lshlrev_b64 v[22:23], 3, v[0:1]
	v_add_nc_u32_e32 v0, s4, v0
	v_add_co_u32 v22, vcc_lo, s2, v22
	v_add_co_ci_u32_e64 v23, null, s3, v23, vcc_lo
	s_waitcnt vmcnt(0)
	v_mul_f64 v[10:11], v[10:11], v[32:33]
	v_mul_f64 v[10:11], v[10:11], v[38:39]
	;; [unrolled: 9-line block ×3, first 2 shown]
	global_store_dwordx2 v[22:23], v[10:11], off
	global_load_dwordx2 v[10:11], v[28:29], off
	v_lshlrev_b64 v[22:23], 3, v[0:1]
	v_add_nc_u32_e32 v0, s4, v0
	v_add_co_u32 v22, vcc_lo, s2, v22
	v_add_co_ci_u32_e64 v23, null, s3, v23, vcc_lo
	s_waitcnt vmcnt(0)
	v_mul_f64 v[10:11], v[10:11], v[32:33]
	global_store_dwordx2 v[28:29], v[10:11], off
	global_load_dwordx2 v[10:11], v[22:23], off
	s_waitcnt vmcnt(0)
	v_mul_f64 v[10:11], v[10:11], v[32:33]
	v_mul_f64 v[10:11], v[10:11], v[20:21]
	v_lshlrev_b64 v[20:21], 3, v[0:1]
	v_add_nc_u32_e32 v0, s4, v0
	v_add_co_u32 v20, vcc_lo, s2, v20
	v_add_co_ci_u32_e64 v21, null, s3, v21, vcc_lo
	global_store_dwordx2 v[22:23], v[10:11], off
	global_load_dwordx2 v[10:11], v[20:21], off
	v_lshlrev_b64 v[22:23], 3, v[0:1]
	v_add_nc_u32_e32 v0, s4, v0
	v_add_co_u32 v22, vcc_lo, s2, v22
	v_add_co_ci_u32_e64 v23, null, s3, v23, vcc_lo
	s_waitcnt vmcnt(0)
	v_mul_f64 v[10:11], v[10:11], v[16:17]
	v_mul_f64 v[10:11], v[10:11], v[4:5]
	global_store_dwordx2 v[20:21], v[10:11], off
	global_load_dwordx2 v[10:11], v[22:23], off
	v_lshlrev_b64 v[20:21], 3, v[0:1]
	v_add_nc_u32_e32 v0, s4, v0
	v_add_co_u32 v20, vcc_lo, s2, v20
	v_add_co_ci_u32_e64 v21, null, s3, v21, vcc_lo
	s_waitcnt vmcnt(0)
	v_mul_f64 v[10:11], v[10:11], v[16:17]
	v_mul_f64 v[10:11], v[10:11], v[4:5]
	;; [unrolled: 9-line block ×3, first 2 shown]
	global_store_dwordx2 v[20:21], v[10:11], off
	global_load_dwordx2 v[10:11], v[22:23], off
	s_waitcnt vmcnt(0)
	v_mul_f64 v[10:11], v[10:11], v[16:17]
	v_mul_f64 v[6:7], v[10:11], v[6:7]
	v_lshlrev_b64 v[10:11], 3, v[0:1]
	v_add_nc_u32_e32 v0, s4, v0
	v_add_co_u32 v10, vcc_lo, s2, v10
	v_add_co_ci_u32_e64 v11, null, s3, v11, vcc_lo
	global_store_dwordx2 v[22:23], v[6:7], off
	global_load_dwordx2 v[6:7], v[10:11], off
	s_waitcnt vmcnt(0)
	v_mul_f64 v[6:7], v[6:7], v[16:17]
	v_lshlrev_b64 v[16:17], 3, v[0:1]
	v_add_nc_u32_e32 v0, s4, v0
	v_add_co_u32 v16, vcc_lo, s2, v16
	v_add_co_ci_u32_e64 v17, null, s3, v17, vcc_lo
	global_store_dwordx2 v[10:11], v[6:7], off
	global_load_dwordx2 v[6:7], v[16:17], off
	v_lshlrev_b64 v[10:11], 3, v[0:1]
	v_add_nc_u32_e32 v0, s4, v0
	v_add_co_u32 v10, vcc_lo, s2, v10
	v_add_co_ci_u32_e64 v11, null, s3, v11, vcc_lo
	s_waitcnt vmcnt(0)
	v_mul_f64 v[6:7], v[6:7], v[14:15]
	v_mul_f64 v[6:7], v[6:7], v[4:5]
	global_store_dwordx2 v[16:17], v[6:7], off
	global_load_dwordx2 v[6:7], v[10:11], off
	v_lshlrev_b64 v[16:17], 3, v[0:1]
	v_add_nc_u32_e32 v0, s4, v0
	v_add_co_u32 v16, vcc_lo, s2, v16
	v_add_co_ci_u32_e64 v17, null, s3, v17, vcc_lo
	s_waitcnt vmcnt(0)
	v_mul_f64 v[6:7], v[6:7], v[14:15]
	v_mul_f64 v[6:7], v[6:7], v[4:5]
	global_store_dwordx2 v[10:11], v[6:7], off
	global_load_dwordx2 v[6:7], v[16:17], off
	s_waitcnt vmcnt(0)
	v_mul_f64 v[6:7], v[6:7], v[14:15]
	v_mul_f64 v[4:5], v[6:7], v[4:5]
	v_lshlrev_b64 v[6:7], 3, v[0:1]
	v_add_nc_u32_e32 v0, s4, v0
	v_add_co_u32 v6, vcc_lo, s2, v6
	v_add_co_ci_u32_e64 v7, null, s3, v7, vcc_lo
	v_lshlrev_b64 v[10:11], 3, v[0:1]
	v_add_nc_u32_e32 v0, s4, v0
	v_add_co_u32 v10, vcc_lo, s2, v10
	v_add_co_ci_u32_e64 v11, null, s3, v11, vcc_lo
	global_store_dwordx2 v[16:17], v[4:5], off
	global_load_dwordx2 v[4:5], v[6:7], off
	s_waitcnt vmcnt(0)
	v_mul_f64 v[4:5], v[4:5], v[14:15]
	v_mul_f64 v[4:5], v[4:5], v[24:25]
	global_store_dwordx2 v[6:7], v[4:5], off
	global_load_dwordx2 v[4:5], v[10:11], off
	v_lshlrev_b64 v[6:7], 3, v[0:1]
	v_add_nc_u32_e32 v0, s4, v0
	v_add_co_u32 v6, vcc_lo, s2, v6
	v_add_co_ci_u32_e64 v7, null, s3, v7, vcc_lo
	s_waitcnt vmcnt(0)
	v_mul_f64 v[4:5], v[4:5], v[14:15]
	v_mul_f64 v[4:5], v[4:5], v[24:25]
	global_store_dwordx2 v[10:11], v[4:5], off
	global_load_dwordx2 v[4:5], v[6:7], off
	v_lshlrev_b64 v[10:11], 3, v[0:1]
	v_add_nc_u32_e32 v0, s4, v0
	v_add_co_u32 v10, vcc_lo, s2, v10
	v_add_co_ci_u32_e64 v11, null, s3, v11, vcc_lo
	s_waitcnt vmcnt(0)
	v_mul_f64 v[4:5], v[4:5], v[14:15]
	v_mul_f64 v[4:5], v[4:5], v[24:25]
	global_store_dwordx2 v[6:7], v[4:5], off
	global_load_dwordx2 v[4:5], v[10:11], off
	global_load_dwordx2 v[6:7], v[12:13], off
	v_lshlrev_b64 v[12:13], 3, v[0:1]
	v_add_nc_u32_e32 v0, s4, v0
	v_add_co_u32 v12, vcc_lo, s2, v12
	v_add_co_ci_u32_e64 v13, null, s3, v13, vcc_lo
	s_waitcnt vmcnt(1)
	v_mul_f64 v[4:5], v[4:5], v[14:15]
	s_waitcnt vmcnt(0)
	v_mul_f64 v[4:5], v[4:5], v[6:7]
	global_store_dwordx2 v[10:11], v[4:5], off
	global_load_dwordx2 v[4:5], v[12:13], off
	global_load_dwordx2 v[8:9], v[8:9], off
	v_lshlrev_b64 v[10:11], 3, v[0:1]
	v_add_nc_u32_e32 v0, s4, v0
	v_add_co_u32 v10, vcc_lo, s2, v10
	v_add_co_ci_u32_e64 v11, null, s3, v11, vcc_lo
	s_waitcnt vmcnt(1)
	v_mul_f64 v[4:5], v[4:5], v[14:15]
	s_waitcnt vmcnt(0)
	v_mul_f64 v[4:5], v[4:5], v[8:9]
	global_store_dwordx2 v[12:13], v[4:5], off
	global_load_dwordx2 v[4:5], v[10:11], off
	global_load_dwordx2 v[12:13], v[18:19], off
	s_waitcnt vmcnt(1)
	v_mul_f64 v[4:5], v[4:5], v[14:15]
	v_lshlrev_b64 v[14:15], 3, v[0:1]
	v_add_nc_u32_e32 v0, s4, v0
	v_add_co_u32 v14, vcc_lo, s2, v14
	v_add_co_ci_u32_e64 v15, null, s3, v15, vcc_lo
	s_waitcnt vmcnt(0)
	v_mul_f64 v[4:5], v[4:5], v[12:13]
	global_store_dwordx2 v[10:11], v[4:5], off
	global_load_dwordx2 v[4:5], v[14:15], off
	v_lshlrev_b64 v[10:11], 3, v[0:1]
	v_add_nc_u32_e32 v0, s4, v0
	v_add_co_u32 v10, vcc_lo, s2, v10
	v_add_co_ci_u32_e64 v11, null, s3, v11, vcc_lo
	s_waitcnt vmcnt(0)
	v_mul_f64 v[4:5], v[4:5], v[26:27]
	global_store_dwordx2 v[14:15], v[4:5], off
	global_load_dwordx2 v[4:5], v[10:11], off
	;; [unrolled: 8-line block ×4, first 2 shown]
	s_waitcnt vmcnt(0)
	v_mul_f64 v[4:5], v[4:5], v[6:7]
	v_lshlrev_b64 v[6:7], 3, v[0:1]
	v_add_nc_u32_e32 v0, s4, v0
	v_add_co_u32 v6, vcc_lo, s2, v6
	v_add_co_ci_u32_e64 v7, null, s3, v7, vcc_lo
	global_store_dwordx2 v[10:11], v[4:5], off
	global_load_dwordx2 v[4:5], v[6:7], off
	s_waitcnt vmcnt(0)
	v_mul_f64 v[2:3], v[4:5], v[2:3]
	v_lshlrev_b64 v[4:5], 3, v[0:1]
	v_add_nc_u32_e32 v0, s4, v0
	v_add_co_u32 v4, vcc_lo, s2, v4
	v_add_co_ci_u32_e64 v5, null, s3, v5, vcc_lo
	v_lshlrev_b64 v[0:1], 3, v[0:1]
	v_add_co_u32 v0, vcc_lo, s2, v0
	v_add_co_ci_u32_e64 v1, null, s3, v1, vcc_lo
	global_store_dwordx2 v[6:7], v[2:3], off
	global_load_dwordx2 v[2:3], v[4:5], off
	s_waitcnt vmcnt(0)
	v_mul_f64 v[2:3], v[2:3], v[8:9]
	global_store_dwordx2 v[4:5], v[2:3], off
	global_load_dwordx2 v[2:3], v[0:1], off
	s_waitcnt vmcnt(0)
	v_mul_f64 v[2:3], v[2:3], v[12:13]
	global_store_dwordx2 v[0:1], v[2:3], off
	s_endpgm
	.section	.rodata,"a",@progbits
	.p2align	6, 0x0
	.amdhsa_kernel _Z12ratx2_kernelIdEvPKT_PS0_S3_
		.amdhsa_group_segment_fixed_size 0
		.amdhsa_private_segment_fixed_size 0
		.amdhsa_kernarg_size 280
		.amdhsa_user_sgpr_count 6
		.amdhsa_user_sgpr_private_segment_buffer 1
		.amdhsa_user_sgpr_dispatch_ptr 0
		.amdhsa_user_sgpr_queue_ptr 0
		.amdhsa_user_sgpr_kernarg_segment_ptr 1
		.amdhsa_user_sgpr_dispatch_id 0
		.amdhsa_user_sgpr_flat_scratch_init 0
		.amdhsa_user_sgpr_private_segment_size 0
		.amdhsa_wavefront_size32 1
		.amdhsa_uses_dynamic_stack 0
		.amdhsa_system_sgpr_private_segment_wavefront_offset 0
		.amdhsa_system_sgpr_workgroup_id_x 1
		.amdhsa_system_sgpr_workgroup_id_y 0
		.amdhsa_system_sgpr_workgroup_id_z 0
		.amdhsa_system_sgpr_workgroup_info 0
		.amdhsa_system_vgpr_workitem_id 0
		.amdhsa_next_free_vgpr 87
		.amdhsa_next_free_sgpr 9
		.amdhsa_reserve_vcc 1
		.amdhsa_reserve_flat_scratch 0
		.amdhsa_float_round_mode_32 0
		.amdhsa_float_round_mode_16_64 0
		.amdhsa_float_denorm_mode_32 3
		.amdhsa_float_denorm_mode_16_64 3
		.amdhsa_dx10_clamp 1
		.amdhsa_ieee_mode 1
		.amdhsa_fp16_overflow 0
		.amdhsa_workgroup_processor_mode 1
		.amdhsa_memory_ordered 1
		.amdhsa_forward_progress 1
		.amdhsa_shared_vgpr_count 0
		.amdhsa_exception_fp_ieee_invalid_op 0
		.amdhsa_exception_fp_denorm_src 0
		.amdhsa_exception_fp_ieee_div_zero 0
		.amdhsa_exception_fp_ieee_overflow 0
		.amdhsa_exception_fp_ieee_underflow 0
		.amdhsa_exception_fp_ieee_inexact 0
		.amdhsa_exception_int_div_zero 0
	.end_amdhsa_kernel
	.section	.text._Z12ratx2_kernelIdEvPKT_PS0_S3_,"axG",@progbits,_Z12ratx2_kernelIdEvPKT_PS0_S3_,comdat
.Lfunc_end41:
	.size	_Z12ratx2_kernelIdEvPKT_PS0_S3_, .Lfunc_end41-_Z12ratx2_kernelIdEvPKT_PS0_S3_
                                        ; -- End function
	.set _Z12ratx2_kernelIdEvPKT_PS0_S3_.num_vgpr, 87
	.set _Z12ratx2_kernelIdEvPKT_PS0_S3_.num_agpr, 0
	.set _Z12ratx2_kernelIdEvPKT_PS0_S3_.numbered_sgpr, 9
	.set _Z12ratx2_kernelIdEvPKT_PS0_S3_.num_named_barrier, 0
	.set _Z12ratx2_kernelIdEvPKT_PS0_S3_.private_seg_size, 0
	.set _Z12ratx2_kernelIdEvPKT_PS0_S3_.uses_vcc, 1
	.set _Z12ratx2_kernelIdEvPKT_PS0_S3_.uses_flat_scratch, 0
	.set _Z12ratx2_kernelIdEvPKT_PS0_S3_.has_dyn_sized_stack, 0
	.set _Z12ratx2_kernelIdEvPKT_PS0_S3_.has_recursion, 0
	.set _Z12ratx2_kernelIdEvPKT_PS0_S3_.has_indirect_call, 0
	.section	.AMDGPU.csdata,"",@progbits
; Kernel info:
; codeLenInByte = 12740
; TotalNumSgprs: 11
; NumVgprs: 87
; ScratchSize: 0
; MemoryBound: 1
; FloatMode: 240
; IeeeMode: 1
; LDSByteSize: 0 bytes/workgroup (compile time only)
; SGPRBlocks: 0
; VGPRBlocks: 10
; NumSGPRsForWavesPerEU: 11
; NumVGPRsForWavesPerEU: 87
; Occupancy: 10
; WaveLimiterHint : 1
; COMPUTE_PGM_RSRC2:SCRATCH_EN: 0
; COMPUTE_PGM_RSRC2:USER_SGPR: 6
; COMPUTE_PGM_RSRC2:TRAP_HANDLER: 0
; COMPUTE_PGM_RSRC2:TGID_X_EN: 1
; COMPUTE_PGM_RSRC2:TGID_Y_EN: 0
; COMPUTE_PGM_RSRC2:TGID_Z_EN: 0
; COMPUTE_PGM_RSRC2:TIDIG_COMP_CNT: 0
	.section	.text._Z12ratx4_kernelIdEvPKT_PS0_S3_,"axG",@progbits,_Z12ratx4_kernelIdEvPKT_PS0_S3_,comdat
	.protected	_Z12ratx4_kernelIdEvPKT_PS0_S3_ ; -- Begin function _Z12ratx4_kernelIdEvPKT_PS0_S3_
	.globl	_Z12ratx4_kernelIdEvPKT_PS0_S3_
	.p2align	8
	.type	_Z12ratx4_kernelIdEvPKT_PS0_S3_,@function
_Z12ratx4_kernelIdEvPKT_PS0_S3_:        ; @_Z12ratx4_kernelIdEvPKT_PS0_S3_
; %bb.0:
	s_clause 0x3
	s_load_dword s7, s[4:5], 0x24
	s_load_dword s8, s[4:5], 0x18
	s_load_dwordx2 s[0:1], s[4:5], 0x10
	s_load_dwordx2 s[2:3], s[4:5], 0x0
	s_waitcnt lgkmcnt(0)
	s_and_b32 s4, s7, 0xffff
	v_mad_u64_u32 v[0:1], null, s6, s4, v[0:1]
	v_mov_b32_e32 v1, 0
	s_mul_i32 s4, s8, s4
	s_lshl_b32 s5, s4, 1
	s_lshl_b32 s6, s4, 2
	v_mov_b32_e32 v3, v1
	v_add_nc_u32_e32 v2, s5, v0
	v_lshlrev_b64 v[8:9], 3, v[0:1]
	v_add_nc_u32_e32 v0, s4, v0
	v_lshlrev_b64 v[10:11], 3, v[2:3]
	v_add_nc_u32_e32 v2, s5, v2
	v_add_co_u32 v12, vcc_lo, s0, v8
	v_add_co_ci_u32_e64 v13, null, s1, v9, vcc_lo
	v_add_co_u32 v14, vcc_lo, s2, v10
	v_add_co_ci_u32_e64 v15, null, s3, v11, vcc_lo
	v_lshlrev_b64 v[2:3], 3, v[2:3]
	global_load_dwordx2 v[16:17], v[12:13], off
	global_load_dwordx2 v[6:7], v[14:15], off
	v_add_co_u32 v2, vcc_lo, s2, v2
	v_add_co_ci_u32_e64 v3, null, s3, v3, vcc_lo
	s_clause 0x6
	global_load_dwordx2 v[4:5], v[2:3], off
	global_load_dwordx2 v[18:19], v[14:15], off
	;; [unrolled: 1-line block ×7, first 2 shown]
	s_waitcnt vmcnt(7)
	v_mul_f64 v[14:15], v[16:17], v[6:7]
	s_waitcnt vmcnt(6)
	v_mul_f64 v[16:17], v[14:15], v[4:5]
	v_lshlrev_b64 v[14:15], 3, v[0:1]
	v_add_nc_u32_e32 v0, s6, v0
	v_add_co_u32 v24, vcc_lo, s0, v14
	v_add_co_ci_u32_e64 v25, null, s1, v15, vcc_lo
	v_add_co_u32 v14, vcc_lo, s2, v14
	v_add_co_ci_u32_e64 v15, null, s3, v15, vcc_lo
	;; [unrolled: 2-line block ×3, first 2 shown]
	global_store_dwordx2 v[12:13], v[16:17], off
	global_load_dwordx2 v[12:13], v[24:25], off
	s_clause 0x3
	global_load_dwordx2 v[70:71], v[14:15], off
	global_load_dwordx2 v[60:61], v[14:15], off
	;; [unrolled: 1-line block ×4, first 2 shown]
	s_waitcnt vmcnt(3)
	v_mul_f64 v[12:13], v[12:13], v[70:71]
	v_mul_f64 v[12:13], v[4:5], v[12:13]
	global_store_dwordx2 v[24:25], v[12:13], off
	global_load_dwordx2 v[16:17], v[10:11], off
	v_lshlrev_b64 v[24:25], 3, v[0:1]
	v_subrev_nc_u32_e32 v0, s5, v0
	v_lshlrev_b64 v[34:35], 3, v[0:1]
	v_add_co_u32 v12, vcc_lo, s2, v24
	v_add_co_ci_u32_e64 v13, null, s3, v25, vcc_lo
	v_add_co_u32 v26, vcc_lo, s0, v34
	global_load_dwordx2 v[74:75], v[12:13], off
	v_add_co_ci_u32_e64 v27, null, s1, v35, vcc_lo
	s_clause 0x2
	global_load_dwordx2 v[56:57], v[12:13], off
	global_load_dwordx2 v[38:39], v[12:13], off
	;; [unrolled: 1-line block ×3, first 2 shown]
	s_waitcnt vmcnt(4)
	v_mul_f64 v[16:17], v[70:71], v[16:17]
	s_waitcnt vmcnt(3)
	v_mul_f64 v[16:17], v[16:17], v[74:75]
	global_store_dwordx2 v[10:11], v[16:17], off
	global_load_dwordx2 v[10:11], v[26:27], off
	v_add_co_u32 v16, vcc_lo, s0, v24
	v_add_co_ci_u32_e64 v17, null, s1, v25, vcc_lo
	v_add_co_u32 v24, vcc_lo, s2, v8
	v_add_co_ci_u32_e64 v25, null, s3, v9, vcc_lo
	s_waitcnt vmcnt(0)
	v_mul_f64 v[10:11], v[6:7], v[10:11]
	v_mul_f64 v[10:11], v[74:75], v[10:11]
	global_store_dwordx2 v[26:27], v[10:11], off
	global_load_dwordx2 v[8:9], v[16:17], off
	s_clause 0x3
	global_load_dwordx2 v[82:83], v[24:25], off
	global_load_dwordx2 v[64:65], v[24:25], off
	;; [unrolled: 1-line block ×4, first 2 shown]
	v_mad_u64_u32 v[10:11], null, s4, 3, v[0:1]
	v_mov_b32_e32 v11, v1
	v_lshlrev_b64 v[28:29], 3, v[10:11]
	v_add_nc_u32_e32 v0, s4, v10
	v_add_co_u32 v26, vcc_lo, s0, v28
	v_add_co_ci_u32_e64 v27, null, s1, v29, vcc_lo
	s_waitcnt vmcnt(3)
	v_mul_f64 v[8:9], v[8:9], v[82:83]
	v_mul_f64 v[8:9], v[82:83], v[8:9]
	global_store_dwordx2 v[16:17], v[8:9], off
	global_load_dwordx2 v[8:9], v[26:27], off
	v_lshlrev_b64 v[16:17], 3, v[0:1]
	v_add_nc_u32_e32 v0, s6, v0
	v_lshlrev_b64 v[10:11], 3, v[0:1]
	v_add_co_u32 v40, vcc_lo, s0, v16
	v_add_co_ci_u32_e64 v41, null, s1, v17, vcc_lo
	v_add_nc_u32_e32 v0, s4, v0
	v_add_co_u32 v10, vcc_lo, s2, v10
	v_add_co_ci_u32_e64 v11, null, s3, v11, vcc_lo
	v_lshlrev_b64 v[78:79], 3, v[0:1]
	v_add_nc_u32_e32 v0, s4, v0
	global_load_dwordx2 v[76:77], v[10:11], off
	v_lshlrev_b64 v[92:93], 3, v[0:1]
	v_add_nc_u32_e32 v0, s4, v0
	v_lshlrev_b64 v[72:73], 3, v[0:1]
	s_waitcnt vmcnt(1)
	v_mul_f64 v[8:9], v[82:83], v[8:9]
	v_mul_f64 v[8:9], v[74:75], v[8:9]
	global_store_dwordx2 v[26:27], v[8:9], off
	global_load_dwordx2 v[8:9], v[40:41], off
	s_clause 0x2
	global_load_dwordx2 v[62:63], v[10:11], off
	global_load_dwordx2 v[52:53], v[10:11], off
	global_load_dwordx2 v[26:27], v[10:11], off
	v_add_co_u32 v10, vcc_lo, s2, v28
	v_add_co_ci_u32_e64 v11, null, s3, v29, vcc_lo
	v_add_co_u32 v28, vcc_lo, s0, v78
	v_add_co_ci_u32_e64 v29, null, s1, v79, vcc_lo
	global_load_dwordx2 v[84:85], v[10:11], off
	s_waitcnt vmcnt(4)
	v_mul_f64 v[8:9], v[82:83], v[8:9]
	v_mul_f64 v[8:9], v[8:9], v[76:77]
	global_store_dwordx2 v[40:41], v[8:9], off
	global_load_dwordx2 v[44:45], v[28:29], off
	v_add_co_u32 v8, vcc_lo, s2, v34
	v_add_co_ci_u32_e64 v9, null, s3, v35, vcc_lo
	v_add_co_u32 v66, vcc_lo, s0, v92
	s_clause 0x3
	global_load_dwordx2 v[86:87], v[8:9], off
	global_load_dwordx2 v[68:69], v[10:11], off
	;; [unrolled: 1-line block ×4, first 2 shown]
	v_add_co_ci_u32_e64 v67, null, s1, v93, vcc_lo
	s_waitcnt vmcnt(4)
	v_mul_f64 v[46:47], v[44:45], v[84:85]
	s_clause 0x1
	global_load_dwordx2 v[44:45], v[8:9], off
	global_load_dwordx2 v[8:9], v[8:9], off
	s_waitcnt vmcnt(5)
	v_mul_f64 v[46:47], v[46:47], v[86:87]
	global_store_dwordx2 v[28:29], v[46:47], off
	global_load_dwordx2 v[28:29], v[66:67], off
	v_add_co_u32 v46, vcc_lo, s0, v72
	v_add_co_ci_u32_e64 v47, null, s1, v73, vcc_lo
	s_waitcnt vmcnt(0)
	v_mul_f64 v[28:29], v[84:85], v[28:29]
	v_mul_f64 v[28:29], v[74:75], v[28:29]
	global_store_dwordx2 v[66:67], v[28:29], off
	global_load_dwordx2 v[28:29], v[46:47], off
	v_mad_u64_u32 v[66:67], null, s4, 7, v[0:1]
	v_mov_b32_e32 v67, v1
	v_lshlrev_b64 v[98:99], 3, v[66:67]
	v_mad_u64_u32 v[88:89], null, s4, -6, v[66:67]
	v_mov_b32_e32 v89, v1
	v_add_co_u32 v90, vcc_lo, s2, v98
	v_add_co_ci_u32_e64 v91, null, s3, v99, vcc_lo
	v_lshlrev_b64 v[66:67], 3, v[88:89]
	v_add_nc_u32_e32 v0, s4, v88
	global_load_dwordx2 v[80:81], v[90:91], off
	v_add_co_u32 v94, vcc_lo, s0, v66
	v_add_co_ci_u32_e64 v95, null, s1, v67, vcc_lo
	v_add_co_u32 v96, vcc_lo, s2, v16
	v_add_co_ci_u32_e64 v97, null, s3, v17, vcc_lo
	v_lshlrev_b64 v[102:103], 3, v[0:1]
	v_add_nc_u32_e32 v0, s4, v0
	v_add_co_u32 v88, vcc_lo, s0, v102
	v_add_co_ci_u32_e64 v89, null, s1, v103, vcc_lo
	s_waitcnt vmcnt(1)
	v_mul_f64 v[28:29], v[84:85], v[28:29]
	s_waitcnt vmcnt(0)
	v_mul_f64 v[28:29], v[28:29], v[80:81]
	global_store_dwordx2 v[46:47], v[28:29], off
	global_load_dwordx2 v[46:47], v[94:95], off
	s_clause 0x3
	global_load_dwordx2 v[100:101], v[96:97], off
	global_load_dwordx2 v[80:81], v[96:97], off
	;; [unrolled: 1-line block ×4, first 2 shown]
	v_lshlrev_b64 v[96:97], 3, v[0:1]
	v_add_nc_u32_e32 v0, s4, v0
	s_waitcnt vmcnt(3)
	v_mul_f64 v[46:47], v[46:47], v[100:101]
	global_store_dwordx2 v[94:95], v[46:47], off
	global_load_dwordx2 v[46:47], v[88:89], off
	v_lshlrev_b64 v[94:95], 3, v[0:1]
	v_add_nc_u32_e32 v0, s4, v0
	s_waitcnt vmcnt(0)
	v_mul_f64 v[6:7], v[6:7], v[46:47]
	v_add_co_u32 v46, vcc_lo, s0, v96
	v_add_co_ci_u32_e64 v47, null, s1, v97, vcc_lo
	v_mul_f64 v[6:7], v[74:75], v[6:7]
	global_store_dwordx2 v[88:89], v[6:7], off
	global_load_dwordx2 v[6:7], v[46:47], off
	v_add_co_u32 v88, vcc_lo, s0, v94
	v_add_co_ci_u32_e64 v89, null, s1, v95, vcc_lo
	s_waitcnt vmcnt(0)
	v_mul_f64 v[6:7], v[86:87], v[6:7]
	v_mul_f64 v[6:7], v[82:83], v[6:7]
	global_store_dwordx2 v[46:47], v[6:7], off
	global_load_dwordx2 v[6:7], v[88:89], off
	v_lshlrev_b64 v[46:47], 3, v[0:1]
	v_add_nc_u32_e32 v0, s4, v0
	v_add_co_u32 v104, vcc_lo, s0, v46
	v_add_co_ci_u32_e64 v105, null, s1, v47, vcc_lo
	s_waitcnt vmcnt(0)
	v_mul_f64 v[6:7], v[4:5], v[6:7]
	v_mul_f64 v[6:7], v[4:5], v[6:7]
	global_store_dwordx2 v[88:89], v[6:7], off
	global_load_dwordx2 v[6:7], v[104:105], off
	v_lshlrev_b64 v[88:89], 3, v[0:1]
	v_add_nc_u32_e32 v0, s5, v0
	v_add_co_u32 v106, vcc_lo, s0, v88
	v_add_co_ci_u32_e64 v107, null, s1, v89, vcc_lo
	v_add_co_u32 v98, vcc_lo, s0, v98
	v_add_co_ci_u32_e64 v99, null, s1, v99, vcc_lo
	s_waitcnt vmcnt(0)
	v_mul_f64 v[6:7], v[4:5], v[6:7]
	v_mul_f64 v[6:7], v[86:87], v[6:7]
	global_store_dwordx2 v[104:105], v[6:7], off
	global_load_dwordx2 v[6:7], v[106:107], off
	v_lshlrev_b64 v[104:105], 3, v[0:1]
	v_add_nc_u32_e32 v0, s4, v0
	v_add_co_u32 v104, vcc_lo, s0, v104
	v_add_co_ci_u32_e64 v105, null, s1, v105, vcc_lo
	s_waitcnt vmcnt(0)
	v_mul_f64 v[6:7], v[86:87], v[6:7]
	v_mul_f64 v[6:7], v[74:75], v[6:7]
	global_store_dwordx2 v[106:107], v[6:7], off
	global_load_dwordx2 v[6:7], v[98:99], off
	s_waitcnt vmcnt(0)
	v_mul_f64 v[6:7], v[86:87], v[6:7]
	v_mul_f64 v[6:7], v[100:101], v[6:7]
	global_store_dwordx2 v[98:99], v[6:7], off
	global_load_dwordx2 v[6:7], v[104:105], off
	s_waitcnt vmcnt(0)
	v_mul_f64 v[6:7], v[86:87], v[6:7]
	v_lshlrev_b64 v[86:87], 3, v[0:1]
	v_add_nc_u32_e32 v0, s4, v0
	v_add_co_u32 v86, vcc_lo, s0, v86
	v_add_co_ci_u32_e64 v87, null, s1, v87, vcc_lo
	v_mul_f64 v[6:7], v[100:101], v[6:7]
	global_store_dwordx2 v[104:105], v[6:7], off
	global_load_dwordx2 v[6:7], v[86:87], off
	s_waitcnt vmcnt(0)
	v_mul_f64 v[6:7], v[84:85], v[6:7]
	v_mul_f64 v[6:7], v[82:83], v[6:7]
	v_lshlrev_b64 v[82:83], 3, v[0:1]
	v_add_nc_u32_e32 v0, s4, v0
	v_add_co_u32 v82, vcc_lo, s0, v82
	v_add_co_ci_u32_e64 v83, null, s1, v83, vcc_lo
	global_store_dwordx2 v[86:87], v[6:7], off
	global_load_dwordx2 v[6:7], v[82:83], off
	v_lshlrev_b64 v[86:87], 3, v[0:1]
	v_add_nc_u32_e32 v0, s4, v0
	v_add_co_u32 v86, vcc_lo, s0, v86
	v_add_co_ci_u32_e64 v87, null, s1, v87, vcc_lo
	s_waitcnt vmcnt(0)
	v_mul_f64 v[6:7], v[4:5], v[6:7]
	v_mul_f64 v[6:7], v[74:75], v[6:7]
	global_store_dwordx2 v[82:83], v[6:7], off
	global_load_dwordx2 v[6:7], v[86:87], off
	s_waitcnt vmcnt(0)
	v_mul_f64 v[4:5], v[4:5], v[6:7]
	v_lshlrev_b64 v[6:7], 3, v[0:1]
	v_add_nc_u32_e32 v0, s4, v0
	v_lshlrev_b64 v[82:83], 3, v[0:1]
	v_add_co_u32 v6, vcc_lo, s0, v6
	v_add_co_ci_u32_e64 v7, null, s1, v7, vcc_lo
	v_add_nc_u32_e32 v0, s5, v0
	v_add_co_u32 v82, vcc_lo, s0, v82
	v_add_co_ci_u32_e64 v83, null, s1, v83, vcc_lo
	v_mul_f64 v[4:5], v[84:85], v[4:5]
	global_store_dwordx2 v[86:87], v[4:5], off
	global_load_dwordx2 v[4:5], v[6:7], off
	s_waitcnt vmcnt(0)
	v_mul_f64 v[4:5], v[84:85], v[4:5]
	v_mul_f64 v[4:5], v[74:75], v[4:5]
	global_store_dwordx2 v[6:7], v[4:5], off
	global_load_dwordx2 v[4:5], v[82:83], off
	v_lshlrev_b64 v[6:7], 3, v[0:1]
	v_add_nc_u32_e32 v0, s4, v0
	v_add_co_u32 v6, vcc_lo, s0, v6
	v_add_co_ci_u32_e64 v7, null, s1, v7, vcc_lo
	s_waitcnt vmcnt(0)
	v_mul_f64 v[4:5], v[84:85], v[4:5]
	v_mul_f64 v[4:5], v[74:75], v[4:5]
	global_store_dwordx2 v[82:83], v[4:5], off
	global_load_dwordx2 v[4:5], v[6:7], off
	s_waitcnt vmcnt(0)
	v_mul_f64 v[4:5], v[76:77], v[4:5]
	v_mul_f64 v[70:71], v[70:71], v[4:5]
	v_lshlrev_b64 v[4:5], 3, v[0:1]
	v_add_nc_u32_e32 v0, s4, v0
	v_add_co_u32 v74, vcc_lo, s0, v4
	v_add_co_ci_u32_e64 v75, null, s1, v5, vcc_lo
	v_add_co_u32 v4, vcc_lo, s2, v78
	v_add_co_ci_u32_e64 v5, null, s3, v79, vcc_lo
	global_store_dwordx2 v[6:7], v[70:71], off
	global_load_dwordx2 v[6:7], v[74:75], off
	s_clause 0x3
	global_load_dwordx2 v[100:101], v[4:5], off
	global_load_dwordx2 v[98:99], v[4:5], off
	;; [unrolled: 1-line block ×4, first 2 shown]
	v_lshlrev_b64 v[70:71], 3, v[0:1]
	v_add_nc_u32_e32 v0, s4, v0
	v_add_co_u32 v70, vcc_lo, s0, v70
	v_add_co_ci_u32_e64 v71, null, s1, v71, vcc_lo
	s_waitcnt vmcnt(3)
	v_mul_f64 v[6:7], v[6:7], v[100:101]
	global_store_dwordx2 v[74:75], v[6:7], off
	global_load_dwordx2 v[6:7], v[70:71], off
	v_lshlrev_b64 v[74:75], 3, v[0:1]
	v_add_nc_u32_e32 v0, s4, v0
	v_mad_u64_u32 v[76:77], null, 0xffffffe9, s4, v[0:1]
	v_add_co_u32 v74, vcc_lo, s0, v74
	v_add_co_ci_u32_e64 v75, null, s1, v75, vcc_lo
	v_mov_b32_e32 v77, v1
	v_lshlrev_b64 v[82:83], 3, v[76:77]
	v_mad_u64_u32 v[76:77], null, s4, 24, v[76:77]
	v_mov_b32_e32 v77, v1
	s_waitcnt vmcnt(0)
	v_mul_f64 v[6:7], v[6:7], v[62:63]
	v_mul_f64 v[6:7], v[6:7], v[18:19]
	global_store_dwordx2 v[70:71], v[6:7], off
	global_load_dwordx2 v[6:7], v[74:75], off
	v_lshlrev_b64 v[70:71], 3, v[0:1]
	v_add_nc_u32_e32 v0, s4, v76
	v_lshlrev_b64 v[76:77], 3, v[76:77]
	v_add_co_u32 v104, vcc_lo, s0, v70
	v_add_co_ci_u32_e64 v105, null, s1, v71, vcc_lo
	v_add_co_u32 v70, vcc_lo, s2, v82
	v_add_co_ci_u32_e64 v71, null, s3, v83, vcc_lo
	;; [unrolled: 2-line block ×3, first 2 shown]
	s_waitcnt vmcnt(0)
	v_mul_f64 v[6:7], v[6:7], v[62:63]
	v_mul_f64 v[6:7], v[6:7], v[58:59]
	global_store_dwordx2 v[74:75], v[6:7], off
	global_load_dwordx2 v[6:7], v[104:105], off
	s_clause 0x3
	global_load_dwordx2 v[106:107], v[70:71], off
	global_load_dwordx2 v[86:87], v[70:71], off
	global_load_dwordx2 v[82:83], v[70:71], off
	global_load_dwordx2 v[74:75], v[70:71], off
	s_waitcnt vmcnt(3)
	v_mul_f64 v[6:7], v[6:7], v[106:107]
	v_mul_f64 v[6:7], v[6:7], v[60:61]
	global_store_dwordx2 v[104:105], v[6:7], off
	global_load_dwordx2 v[104:105], v[76:77], off
	v_lshlrev_b64 v[6:7], 3, v[0:1]
	v_add_nc_u32_e32 v0, s4, v0
	v_add_co_u32 v6, vcc_lo, s0, v6
	v_add_co_ci_u32_e64 v7, null, s1, v7, vcc_lo
	s_waitcnt vmcnt(0)
	v_mul_f64 v[104:105], v[104:105], v[60:61]
	global_store_dwordx2 v[76:77], v[104:105], off
	global_load_dwordx2 v[76:77], v[6:7], off
	v_lshlrev_b64 v[104:105], 3, v[0:1]
	v_add_nc_u32_e32 v0, s4, v0
	s_waitcnt vmcnt(0)
	v_mul_f64 v[76:77], v[76:77], v[60:61]
	global_store_dwordx2 v[6:7], v[76:77], off
	v_add_co_u32 v76, vcc_lo, s0, v104
	v_add_co_ci_u32_e64 v77, null, s1, v105, vcc_lo
	v_lshlrev_b64 v[6:7], 3, v[0:1]
	v_add_nc_u32_e32 v0, s4, v0
	global_load_dwordx2 v[104:105], v[76:77], off
	v_add_co_u32 v6, vcc_lo, s0, v6
	v_add_co_ci_u32_e64 v7, null, s1, v7, vcc_lo
	v_add_co_u32 v102, vcc_lo, s2, v102
	v_add_co_ci_u32_e64 v103, null, s3, v103, vcc_lo
	s_waitcnt vmcnt(0)
	v_mul_f64 v[104:105], v[104:105], v[100:101]
	v_mul_f64 v[104:105], v[104:105], v[60:61]
	global_store_dwordx2 v[76:77], v[104:105], off
	global_load_dwordx2 v[76:77], v[6:7], off
	s_waitcnt vmcnt(0)
	v_mul_f64 v[18:19], v[76:77], v[18:19]
	v_lshlrev_b64 v[76:77], 3, v[0:1]
	v_add_nc_u32_e32 v0, s4, v0
	v_lshlrev_b64 v[104:105], 3, v[0:1]
	v_add_nc_u32_e32 v0, s4, v0
	global_store_dwordx2 v[6:7], v[18:19], off
	v_lshlrev_b64 v[18:19], 3, v[0:1]
	v_add_nc_u32_e32 v0, s4, v0
	v_lshlrev_b64 v[108:109], 3, v[0:1]
	v_add_nc_u32_e32 v0, s4, v0
	;; [unrolled: 2-line block ×6, first 2 shown]
	v_mad_u64_u32 v[118:119], null, 0xffffffd9, s4, v[0:1]
	v_mov_b32_e32 v119, v1
	v_lshlrev_b64 v[6:7], 3, v[118:119]
	v_add_co_u32 v6, vcc_lo, s2, v6
	v_add_co_ci_u32_e64 v7, null, s3, v7, vcc_lo
	v_add_co_u32 v119, vcc_lo, s0, v76
	v_add_co_ci_u32_e64 v120, null, s1, v77, vcc_lo
	s_clause 0x2
	global_load_dwordx2 v[121:122], v[102:103], off
	global_load_dwordx2 v[123:124], v[6:7], off
	;; [unrolled: 1-line block ×4, first 2 shown]
	s_waitcnt vmcnt(0)
	v_mul_f64 v[102:103], v[102:103], v[121:122]
	global_store_dwordx2 v[119:120], v[102:103], off
	v_add_co_u32 v102, vcc_lo, s0, v104
	v_add_co_ci_u32_e64 v103, null, s1, v105, vcc_lo
	v_add_co_u32 v18, vcc_lo, s0, v18
	v_add_co_ci_u32_e64 v19, null, s1, v19, vcc_lo
	global_load_dwordx2 v[104:105], v[102:103], off
	s_waitcnt vmcnt(0)
	v_mul_f64 v[104:105], v[104:105], v[106:107]
	global_store_dwordx2 v[102:103], v[104:105], off
	global_load_dwordx2 v[102:103], v[18:19], off
	s_waitcnt vmcnt(0)
	v_mul_f64 v[100:101], v[102:103], v[100:101]
	global_store_dwordx2 v[18:19], v[100:101], off
	v_add_co_u32 v18, vcc_lo, s0, v108
	v_add_co_ci_u32_e64 v19, null, s1, v109, vcc_lo
	global_load_dwordx2 v[100:101], v[18:19], off
	s_waitcnt vmcnt(0)
	v_mul_f64 v[100:101], v[100:101], v[106:107]
	v_mul_f64 v[64:65], v[100:101], v[64:65]
	global_store_dwordx2 v[18:19], v[64:65], off
	v_add_co_u32 v18, vcc_lo, s0, v110
	v_add_co_ci_u32_e64 v19, null, s1, v111, vcc_lo
	global_load_dwordx2 v[64:65], v[18:19], off
	s_waitcnt vmcnt(0)
	v_mul_f64 v[64:65], v[64:65], v[106:107]
	v_mul_f64 v[58:59], v[64:65], v[58:59]
	global_load_dwordx2 v[64:65], v[6:7], off
	global_store_dwordx2 v[18:19], v[58:59], off
	v_add_co_u32 v18, vcc_lo, s0, v112
	v_add_co_ci_u32_e64 v19, null, s1, v113, vcc_lo
	global_load_dwordx2 v[58:59], v[18:19], off
	s_waitcnt vmcnt(0)
	v_mul_f64 v[58:59], v[58:59], v[62:63]
	v_mul_f64 v[58:59], v[58:59], v[60:61]
	v_add_co_u32 v60, vcc_lo, s0, v114
	v_add_co_ci_u32_e64 v61, null, s1, v115, vcc_lo
	global_store_dwordx2 v[18:19], v[58:59], off
	global_load_dwordx2 v[18:19], v[60:61], off
	v_add_co_u32 v58, vcc_lo, s0, v116
	v_add_co_ci_u32_e64 v59, null, s1, v117, vcc_lo
	s_waitcnt vmcnt(0)
	v_mul_f64 v[18:19], v[18:19], v[106:107]
	v_mul_f64 v[18:19], v[18:19], v[56:57]
	global_store_dwordx2 v[60:61], v[18:19], off
	global_load_dwordx2 v[18:19], v[58:59], off
	v_lshlrev_b64 v[60:61], 3, v[0:1]
	v_add_co_u32 v60, vcc_lo, s0, v60
	v_add_co_ci_u32_e64 v61, null, s1, v61, vcc_lo
	s_waitcnt vmcnt(0)
	v_mul_f64 v[18:19], v[18:19], v[106:107]
	v_mul_f64 v[18:19], v[18:19], v[68:69]
	global_store_dwordx2 v[58:59], v[18:19], off
	global_load_dwordx2 v[18:19], v[60:61], off
	v_mad_u64_u32 v[58:59], null, s4, 40, v[118:119]
	v_mov_b32_e32 v59, v1
	v_lshlrev_b64 v[68:69], 3, v[58:59]
	v_add_nc_u32_e32 v0, s4, v58
	v_add_co_u32 v68, vcc_lo, s0, v68
	v_add_co_ci_u32_e64 v69, null, s1, v69, vcc_lo
	v_lshlrev_b64 v[58:59], 3, v[0:1]
	v_add_nc_u32_e32 v0, s4, v0
	v_add_co_u32 v58, vcc_lo, s0, v58
	v_add_co_ci_u32_e64 v59, null, s1, v59, vcc_lo
	s_waitcnt vmcnt(0)
	v_mul_f64 v[18:19], v[18:19], v[64:65]
	global_store_dwordx2 v[60:61], v[18:19], off
	global_load_dwordx2 v[18:19], v[68:69], off
	v_lshlrev_b64 v[60:61], 3, v[0:1]
	v_add_nc_u32_e32 v0, s4, v0
	v_add_co_u32 v60, vcc_lo, s0, v60
	v_add_co_ci_u32_e64 v61, null, s1, v61, vcc_lo
	s_waitcnt vmcnt(0)
	v_mul_f64 v[18:19], v[18:19], v[50:51]
	v_mul_f64 v[18:19], v[18:19], v[64:65]
	global_store_dwordx2 v[68:69], v[18:19], off
	global_load_dwordx2 v[18:19], v[58:59], off
	s_waitcnt vmcnt(0)
	v_mul_f64 v[18:19], v[18:19], v[50:51]
	global_store_dwordx2 v[58:59], v[18:19], off
	global_load_dwordx2 v[18:19], v[60:61], off
	v_lshlrev_b64 v[58:59], 3, v[0:1]
	v_add_nc_u32_e32 v0, s4, v0
	v_add_co_u32 v58, vcc_lo, s0, v58
	v_add_co_ci_u32_e64 v59, null, s1, v59, vcc_lo
	s_waitcnt vmcnt(0)
	v_mul_f64 v[18:19], v[18:19], v[54:55]
	global_store_dwordx2 v[60:61], v[18:19], off
	global_load_dwordx2 v[18:19], v[58:59], off
	v_lshlrev_b64 v[60:61], 3, v[0:1]
	v_add_nc_u32_e32 v0, s4, v0
	v_add_co_u32 v60, vcc_lo, s0, v60
	v_add_co_ci_u32_e64 v61, null, s1, v61, vcc_lo
	s_waitcnt vmcnt(0)
	v_mul_f64 v[18:19], v[18:19], v[62:63]
	v_mul_f64 v[18:19], v[18:19], v[50:51]
	v_mul_f64 v[18:19], v[50:51], v[18:19]
	global_store_dwordx2 v[58:59], v[18:19], off
	global_load_dwordx2 v[18:19], v[60:61], off
	v_lshlrev_b64 v[58:59], 3, v[0:1]
	v_add_nc_u32_e32 v0, s4, v0
	v_add_co_u32 v58, vcc_lo, s0, v58
	v_add_co_ci_u32_e64 v59, null, s1, v59, vcc_lo
	s_waitcnt vmcnt(0)
	v_mul_f64 v[18:19], v[18:19], v[98:99]
	v_mul_f64 v[18:19], v[18:19], v[50:51]
	global_store_dwordx2 v[60:61], v[18:19], off
	global_load_dwordx2 v[18:19], v[58:59], off
	s_waitcnt vmcnt(0)
	v_mul_f64 v[18:19], v[18:19], v[56:57]
	v_lshlrev_b64 v[56:57], 3, v[0:1]
	v_add_nc_u32_e32 v0, s4, v0
	v_add_co_u32 v56, vcc_lo, s0, v56
	v_add_co_ci_u32_e64 v57, null, s1, v57, vcc_lo
	global_store_dwordx2 v[58:59], v[18:19], off
	global_load_dwordx2 v[18:19], v[56:57], off
	s_waitcnt vmcnt(0)
	v_mul_f64 v[18:19], v[18:19], v[98:99]
	v_mul_f64 v[18:19], v[18:19], v[54:55]
	v_lshlrev_b64 v[54:55], 3, v[0:1]
	v_add_nc_u32_e32 v0, s4, v0
	v_add_co_u32 v62, vcc_lo, s0, v54
	v_add_co_ci_u32_e64 v63, null, s1, v55, vcc_lo
	v_add_co_u32 v54, vcc_lo, s2, v96
	v_add_co_ci_u32_e64 v55, null, s3, v97, vcc_lo
	global_store_dwordx2 v[56:57], v[18:19], off
	global_load_dwordx2 v[18:19], v[62:63], off
	s_clause 0x3
	global_load_dwordx2 v[56:57], v[54:55], off
	global_load_dwordx2 v[64:65], v[54:55], off
	;; [unrolled: 1-line block ×4, first 2 shown]
	s_waitcnt vmcnt(3)
	v_mul_f64 v[18:19], v[18:19], v[56:57]
	v_lshlrev_b64 v[56:57], 3, v[0:1]
	v_add_nc_u32_e32 v0, s4, v0
	v_add_co_u32 v68, vcc_lo, s0, v56
	v_add_co_ci_u32_e64 v69, null, s1, v57, vcc_lo
	v_add_co_u32 v56, vcc_lo, s2, v92
	v_add_co_ci_u32_e64 v57, null, s3, v93, vcc_lo
	v_lshlrev_b64 v[96:97], 3, v[0:1]
	v_add_nc_u32_e32 v0, s4, v0
	v_add_co_u32 v96, vcc_lo, s0, v96
	global_store_dwordx2 v[62:63], v[18:19], off
	global_load_dwordx2 v[18:19], v[68:69], off
	s_clause 0x2
	global_load_dwordx2 v[92:93], v[56:57], off
	global_load_dwordx2 v[62:63], v[56:57], off
	;; [unrolled: 1-line block ×3, first 2 shown]
	v_add_co_ci_u32_e64 v97, null, s1, v97, vcc_lo
	global_load_dwordx2 v[90:91], v[90:91], off
	s_waitcnt vmcnt(3)
	v_mul_f64 v[18:19], v[18:19], v[92:93]
	v_mul_f64 v[18:19], v[18:19], v[50:51]
	global_store_dwordx2 v[68:69], v[18:19], off
	global_load_dwordx2 v[18:19], v[96:97], off
	v_lshlrev_b64 v[68:69], 3, v[0:1]
	v_add_nc_u32_e32 v0, s4, v0
	v_add_co_u32 v68, vcc_lo, s0, v68
	v_add_co_ci_u32_e64 v69, null, s1, v69, vcc_lo
	s_waitcnt vmcnt(0)
	v_mul_f64 v[18:19], v[18:19], v[92:93]
	v_mul_f64 v[18:19], v[18:19], v[48:49]
	global_store_dwordx2 v[96:97], v[18:19], off
	global_load_dwordx2 v[18:19], v[68:69], off
	s_waitcnt vmcnt(0)
	v_mul_f64 v[18:19], v[18:19], v[90:91]
	v_lshlrev_b64 v[90:91], 3, v[0:1]
	v_add_nc_u32_e32 v0, s4, v0
	v_add_co_u32 v90, vcc_lo, s0, v90
	v_add_co_ci_u32_e64 v91, null, s1, v91, vcc_lo
	global_store_dwordx2 v[68:69], v[18:19], off
	global_load_dwordx2 v[18:19], v[90:91], off
	v_lshlrev_b64 v[68:69], 3, v[0:1]
	v_add_nc_u32_e32 v0, s4, v0
	v_add_co_u32 v68, vcc_lo, s0, v68
	v_add_co_ci_u32_e64 v69, null, s1, v69, vcc_lo
	s_waitcnt vmcnt(0)
	v_mul_f64 v[18:19], v[18:19], v[48:49]
	global_store_dwordx2 v[90:91], v[18:19], off
	global_load_dwordx2 v[18:19], v[68:69], off
	v_lshlrev_b64 v[90:91], 3, v[0:1]
	v_add_nc_u32_e32 v0, s4, v0
	v_add_co_u32 v90, vcc_lo, s0, v90
	v_add_co_ci_u32_e64 v91, null, s1, v91, vcc_lo
	s_waitcnt vmcnt(0)
	v_mul_f64 v[18:19], v[18:19], v[86:87]
	v_mul_f64 v[18:19], v[18:19], v[48:49]
	global_store_dwordx2 v[68:69], v[18:19], off
	global_load_dwordx2 v[18:19], v[90:91], off
	v_lshlrev_b64 v[68:69], 3, v[0:1]
	v_add_nc_u32_e32 v0, s4, v0
	v_add_co_u32 v68, vcc_lo, s0, v68
	v_add_co_ci_u32_e64 v69, null, s1, v69, vcc_lo
	s_waitcnt vmcnt(0)
	v_mul_f64 v[18:19], v[18:19], v[50:51]
	global_store_dwordx2 v[90:91], v[18:19], off
	global_load_dwordx2 v[18:19], v[68:69], off
	v_lshlrev_b64 v[90:91], 3, v[0:1]
	v_add_nc_u32_e32 v0, s4, v0
	v_add_co_u32 v90, vcc_lo, s0, v90
	v_add_co_ci_u32_e64 v91, null, s1, v91, vcc_lo
	s_waitcnt vmcnt(0)
	v_mul_f64 v[18:19], v[18:19], v[98:99]
	v_mul_f64 v[18:19], v[18:19], v[50:51]
	global_store_dwordx2 v[68:69], v[18:19], off
	global_load_dwordx2 v[18:19], v[90:91], off
	v_lshlrev_b64 v[68:69], 3, v[0:1]
	v_add_nc_u32_e32 v0, s4, v0
	v_add_co_u32 v68, vcc_lo, s0, v68
	v_add_co_ci_u32_e64 v69, null, s1, v69, vcc_lo
	s_waitcnt vmcnt(0)
	v_mul_f64 v[18:19], v[18:19], v[123:124]
	v_mul_f64 v[18:19], v[18:19], v[50:51]
	global_store_dwordx2 v[90:91], v[18:19], off
	global_load_dwordx2 v[18:19], v[68:69], off
	s_waitcnt vmcnt(0)
	v_mul_f64 v[18:19], v[18:19], v[50:51]
	v_lshlrev_b64 v[50:51], 3, v[0:1]
	v_add_nc_u32_e32 v0, s4, v0
	v_add_co_u32 v50, vcc_lo, s0, v50
	v_add_co_ci_u32_e64 v51, null, s1, v51, vcc_lo
	v_mul_f64 v[18:19], v[18:19], v[42:43]
	v_mul_f64 v[18:19], v[18:19], v[86:87]
	global_store_dwordx2 v[68:69], v[18:19], off
	global_load_dwordx2 v[18:19], v[50:51], off
	v_lshlrev_b64 v[68:69], 3, v[0:1]
	v_add_nc_u32_e32 v0, s4, v0
	v_add_co_u32 v68, vcc_lo, s0, v68
	v_add_co_ci_u32_e64 v69, null, s1, v69, vcc_lo
	s_waitcnt vmcnt(0)
	v_mul_f64 v[18:19], v[18:19], v[86:87]
	v_mul_f64 v[18:19], v[18:19], v[38:39]
	global_store_dwordx2 v[50:51], v[18:19], off
	global_load_dwordx2 v[18:19], v[68:69], off
	v_lshlrev_b64 v[50:51], 3, v[0:1]
	v_add_nc_u32_e32 v0, s4, v0
	v_add_co_u32 v50, vcc_lo, s0, v50
	v_add_co_ci_u32_e64 v51, null, s1, v51, vcc_lo
	s_waitcnt vmcnt(0)
	v_mul_f64 v[18:19], v[18:19], v[38:39]
	global_store_dwordx2 v[68:69], v[18:19], off
	global_load_dwordx2 v[18:19], v[50:51], off
	v_lshlrev_b64 v[68:69], 3, v[0:1]
	v_add_nc_u32_e32 v0, s4, v0
	v_add_co_u32 v68, vcc_lo, s0, v68
	v_add_co_ci_u32_e64 v69, null, s1, v69, vcc_lo
	s_waitcnt vmcnt(0)
	;; [unrolled: 8-line block ×3, first 2 shown]
	v_mul_f64 v[18:19], v[18:19], v[52:53]
	v_lshlrev_b64 v[52:53], 3, v[0:1]
	v_add_nc_u32_e32 v0, s4, v0
	v_add_co_u32 v52, vcc_lo, s0, v52
	v_add_co_ci_u32_e64 v53, null, s1, v53, vcc_lo
	global_store_dwordx2 v[68:69], v[18:19], off
	global_load_dwordx2 v[18:19], v[50:51], off
	s_waitcnt vmcnt(0)
	v_mul_f64 v[18:19], v[18:19], v[84:85]
	v_mul_f64 v[18:19], v[18:19], v[86:87]
	global_store_dwordx2 v[50:51], v[18:19], off
	global_load_dwordx2 v[18:19], v[52:53], off
	s_waitcnt vmcnt(0)
	v_mul_f64 v[18:19], v[18:19], v[48:49]
	v_lshlrev_b64 v[48:49], 3, v[0:1]
	v_add_nc_u32_e32 v0, s4, v0
	v_add_co_u32 v48, vcc_lo, s0, v48
	v_add_co_ci_u32_e64 v49, null, s1, v49, vcc_lo
	global_store_dwordx2 v[52:53], v[18:19], off
	global_load_dwordx2 v[18:19], v[48:49], off
	s_waitcnt vmcnt(0)
	v_mul_f64 v[18:19], v[18:19], v[42:43]
	v_lshlrev_b64 v[42:43], 3, v[0:1]
	v_add_nc_u32_e32 v0, s4, v0
	v_add_co_u32 v42, vcc_lo, s0, v42
	v_add_co_ci_u32_e64 v43, null, s1, v43, vcc_lo
	global_store_dwordx2 v[48:49], v[18:19], off
	global_load_dwordx2 v[18:19], v[42:43], off
	v_lshlrev_b64 v[48:49], 3, v[0:1]
	v_add_nc_u32_e32 v0, s4, v0
	v_add_co_u32 v48, vcc_lo, s0, v48
	v_add_co_ci_u32_e64 v49, null, s1, v49, vcc_lo
	s_waitcnt vmcnt(0)
	v_mul_f64 v[18:19], v[18:19], v[38:39]
	global_store_dwordx2 v[42:43], v[18:19], off
	global_load_dwordx2 v[18:19], v[48:49], off
	v_lshlrev_b64 v[42:43], 3, v[0:1]
	v_add_nc_u32_e32 v0, s4, v0
	v_add_co_u32 v42, vcc_lo, s0, v42
	v_add_co_ci_u32_e64 v43, null, s1, v43, vcc_lo
	s_waitcnt vmcnt(0)
	v_mul_f64 v[18:19], v[18:19], v[40:41]
	global_store_dwordx2 v[48:49], v[18:19], off
	global_load_dwordx2 v[18:19], v[42:43], off
	v_lshlrev_b64 v[48:49], 3, v[0:1]
	v_add_nc_u32_e32 v0, s4, v0
	v_add_co_u32 v48, vcc_lo, s0, v48
	v_add_co_ci_u32_e64 v49, null, s1, v49, vcc_lo
	v_lshlrev_b64 v[52:53], 3, v[0:1]
	s_waitcnt vmcnt(0)
	v_mul_f64 v[18:19], v[18:19], v[80:81]
	global_store_dwordx2 v[42:43], v[18:19], off
	global_load_dwordx2 v[18:19], v[48:49], off
	v_mad_u64_u32 v[42:43], null, 0xffffffbc, s4, v[0:1]
	v_mov_b32_e32 v43, v1
	v_lshlrev_b64 v[50:51], 3, v[42:43]
	v_mad_u64_u32 v[42:43], null, 0x45, s4, v[42:43]
	v_mov_b32_e32 v43, v1
	v_add_co_u32 v50, vcc_lo, s2, v50
	v_add_co_ci_u32_e64 v51, null, s3, v51, vcc_lo
	v_add_co_u32 v52, vcc_lo, s0, v52
	v_add_co_ci_u32_e64 v53, null, s1, v53, vcc_lo
	v_add_nc_u32_e32 v0, s4, v42
	s_waitcnt vmcnt(0)
	v_mul_f64 v[18:19], v[18:19], v[64:65]
	global_load_dwordx2 v[64:65], v[50:51], off
	v_mul_f64 v[18:19], v[18:19], v[36:37]
	global_store_dwordx2 v[48:49], v[18:19], off
	global_load_dwordx2 v[18:19], v[52:53], off
	v_lshlrev_b64 v[48:49], 3, v[42:43]
	v_lshlrev_b64 v[42:43], 3, v[0:1]
	v_add_nc_u32_e32 v0, s4, v0
	v_add_co_u32 v48, vcc_lo, s0, v48
	v_add_co_ci_u32_e64 v49, null, s1, v49, vcc_lo
	v_add_co_u32 v42, vcc_lo, s0, v42
	v_add_co_ci_u32_e64 v43, null, s1, v43, vcc_lo
	s_waitcnt vmcnt(0)
	v_mul_f64 v[18:19], v[18:19], v[64:65]
	global_store_dwordx2 v[52:53], v[18:19], off
	global_load_dwordx2 v[18:19], v[48:49], off
	s_waitcnt vmcnt(0)
	v_mul_f64 v[18:19], v[18:19], v[84:85]
	v_mul_f64 v[18:19], v[18:19], v[36:37]
	global_store_dwordx2 v[48:49], v[18:19], off
	global_load_dwordx2 v[18:19], v[42:43], off
	v_lshlrev_b64 v[48:49], 3, v[0:1]
	v_add_nc_u32_e32 v0, s4, v0
	v_add_co_u32 v48, vcc_lo, s0, v48
	v_add_co_ci_u32_e64 v49, null, s1, v49, vcc_lo
	s_waitcnt vmcnt(0)
	v_mul_f64 v[18:19], v[18:19], v[38:39]
	global_store_dwordx2 v[42:43], v[18:19], off
	global_load_dwordx2 v[18:19], v[48:49], off
	s_waitcnt vmcnt(0)
	v_mul_f64 v[18:19], v[18:19], v[38:39]
	v_lshlrev_b64 v[38:39], 3, v[0:1]
	v_add_nc_u32_e32 v0, s4, v0
	v_add_co_u32 v38, vcc_lo, s0, v38
	v_add_co_ci_u32_e64 v39, null, s1, v39, vcc_lo
	global_store_dwordx2 v[48:49], v[18:19], off
	global_load_dwordx2 v[18:19], v[38:39], off
	s_waitcnt vmcnt(0)
	v_mul_f64 v[18:19], v[18:19], v[20:21]
	v_lshlrev_b64 v[20:21], 3, v[0:1]
	v_add_nc_u32_e32 v0, s4, v0
	v_add_co_u32 v20, vcc_lo, s0, v20
	v_add_co_ci_u32_e64 v21, null, s1, v21, vcc_lo
	v_lshlrev_b64 v[52:53], 3, v[0:1]
	v_add_nc_u32_e32 v0, s4, v0
	v_add_co_u32 v52, vcc_lo, s0, v52
	v_add_co_ci_u32_e64 v53, null, s1, v53, vcc_lo
	global_store_dwordx2 v[38:39], v[18:19], off
	global_load_dwordx2 v[18:19], v[20:21], off
	s_clause 0x3
	global_load_dwordx2 v[38:39], v[2:3], off
	global_load_dwordx2 v[80:81], v[2:3], off
	global_load_dwordx2 v[48:49], v[2:3], off
	global_load_dwordx2 v[42:43], v[2:3], off
	s_waitcnt vmcnt(3)
	v_mul_f64 v[18:19], v[18:19], v[38:39]
	v_mul_f64 v[18:19], v[18:19], v[84:85]
	global_store_dwordx2 v[20:21], v[18:19], off
	global_load_dwordx2 v[18:19], v[52:53], off
	v_lshlrev_b64 v[20:21], 3, v[0:1]
	v_add_nc_u32_e32 v0, s4, v0
	v_add_co_u32 v20, vcc_lo, s0, v20
	v_add_co_ci_u32_e64 v21, null, s1, v21, vcc_lo
	s_waitcnt vmcnt(0)
	v_mul_f64 v[18:19], v[18:19], v[64:65]
	v_mul_f64 v[18:19], v[18:19], v[44:45]
	global_store_dwordx2 v[52:53], v[18:19], off
	global_load_dwordx2 v[18:19], v[20:21], off
	s_waitcnt vmcnt(0)
	v_mul_f64 v[18:19], v[18:19], v[38:39]
	v_lshlrev_b64 v[38:39], 3, v[0:1]
	v_add_nc_u32_e32 v0, s4, v0
	v_add_co_u32 v38, vcc_lo, s0, v38
	v_add_co_ci_u32_e64 v39, null, s1, v39, vcc_lo
	global_store_dwordx2 v[20:21], v[18:19], off
	global_load_dwordx2 v[18:19], v[38:39], off
	v_lshlrev_b64 v[20:21], 3, v[0:1]
	v_add_nc_u32_e32 v0, s4, v0
	v_add_co_u32 v20, vcc_lo, s0, v20
	v_add_co_ci_u32_e64 v21, null, s1, v21, vcc_lo
	s_waitcnt vmcnt(0)
	v_mul_f64 v[18:19], v[18:19], v[64:65]
	v_mul_f64 v[18:19], v[18:19], v[40:41]
	global_store_dwordx2 v[38:39], v[18:19], off
	global_load_dwordx2 v[18:19], v[20:21], off
	s_waitcnt vmcnt(0)
	v_mul_f64 v[18:19], v[18:19], v[36:37]
	v_lshlrev_b64 v[36:37], 3, v[0:1]
	v_add_nc_u32_e32 v0, s4, v0
	v_add_co_u32 v36, vcc_lo, s0, v36
	v_add_co_ci_u32_e64 v37, null, s1, v37, vcc_lo
	v_add_co_u32 v38, vcc_lo, s2, v94
	v_add_co_ci_u32_e64 v39, null, s3, v95, vcc_lo
	global_load_dwordx2 v[40:41], v[38:39], off
	global_store_dwordx2 v[20:21], v[18:19], off
	global_load_dwordx2 v[18:19], v[36:37], off
	v_lshlrev_b64 v[20:21], 3, v[0:1]
	v_add_nc_u32_e32 v0, s4, v0
	v_add_co_u32 v20, vcc_lo, s0, v20
	v_add_co_ci_u32_e64 v21, null, s1, v21, vcc_lo
	v_add_co_u32 v68, vcc_lo, s2, v72
	v_add_co_ci_u32_e64 v69, null, s3, v73, vcc_lo
	s_waitcnt vmcnt(0)
	v_mul_f64 v[18:19], v[18:19], v[64:65]
	v_mul_f64 v[18:19], v[18:19], v[82:83]
	global_store_dwordx2 v[36:37], v[18:19], off
	global_load_dwordx2 v[18:19], v[20:21], off
	v_lshlrev_b64 v[36:37], 3, v[0:1]
	s_clause 0x1
	global_load_dwordx2 v[84:85], v[68:69], off
	global_load_dwordx2 v[38:39], v[38:39], off
	v_add_nc_u32_e32 v0, s4, v0
	global_load_dwordx2 v[44:45], v[68:69], off
	v_add_co_u32 v36, vcc_lo, s0, v36
	v_add_co_ci_u32_e64 v37, null, s1, v37, vcc_lo
	s_waitcnt vmcnt(3)
	v_mul_f64 v[18:19], v[18:19], v[40:41]
	global_store_dwordx2 v[20:21], v[18:19], off
	global_load_dwordx2 v[18:19], v[36:37], off
	v_lshlrev_b64 v[20:21], 3, v[0:1]
	v_add_nc_u32_e32 v0, s4, v0
	v_add_co_u32 v20, vcc_lo, s0, v20
	v_add_co_ci_u32_e64 v21, null, s1, v21, vcc_lo
	s_waitcnt vmcnt(0)
	v_mul_f64 v[18:19], v[18:19], v[64:65]
	v_lshlrev_b64 v[64:65], 3, v[0:1]
	v_add_nc_u32_e32 v0, s4, v0
	v_add_co_u32 v64, vcc_lo, s0, v64
	v_add_co_ci_u32_e64 v65, null, s1, v65, vcc_lo
	v_add_co_u32 v66, vcc_lo, s2, v66
	v_add_co_ci_u32_e64 v67, null, s3, v67, vcc_lo
	global_store_dwordx2 v[36:37], v[18:19], off
	global_load_dwordx2 v[18:19], v[20:21], off
	s_clause 0x4
	global_load_dwordx2 v[36:37], v[14:15], off
	global_load_dwordx2 v[72:73], v[14:15], off
	;; [unrolled: 1-line block ×5, first 2 shown]
	s_waitcnt vmcnt(5)
	v_mul_f64 v[18:19], v[18:19], v[44:45]
	s_waitcnt vmcnt(4)
	v_mul_f64 v[18:19], v[18:19], v[36:37]
	global_store_dwordx2 v[20:21], v[18:19], off
	global_load_dwordx2 v[18:19], v[64:65], off
	v_lshlrev_b64 v[20:21], 3, v[0:1]
	v_add_nc_u32_e32 v0, s4, v0
	v_add_co_u32 v86, vcc_lo, s0, v20
	v_add_co_ci_u32_e64 v87, null, s1, v21, vcc_lo
	s_waitcnt vmcnt(0)
	v_mul_f64 v[18:19], v[18:19], v[44:45]
	v_mul_f64 v[18:19], v[18:19], v[36:37]
	global_store_dwordx2 v[64:65], v[18:19], off
	global_load_dwordx2 v[92:93], v[86:87], off
	v_add_co_u32 v64, vcc_lo, s2, v88
	v_add_co_ci_u32_e64 v65, null, s3, v89, vcc_lo
	s_clause 0x1
	global_load_dwordx2 v[18:19], v[64:65], off
	global_load_dwordx2 v[20:21], v[66:67], off
	v_lshlrev_b64 v[88:89], 3, v[0:1]
	v_add_nc_u32_e32 v0, s4, v0
	v_add_co_u32 v88, vcc_lo, s0, v88
	v_add_co_ci_u32_e64 v89, null, s1, v89, vcc_lo
	s_waitcnt vmcnt(2)
	v_mul_f64 v[66:67], v[92:93], v[90:91]
	global_store_dwordx2 v[86:87], v[66:67], off
	global_load_dwordx2 v[66:67], v[88:89], off
	s_waitcnt vmcnt(0)
	v_mul_f64 v[36:37], v[66:67], v[36:37]
	v_lshlrev_b64 v[66:67], 3, v[0:1]
	v_add_nc_u32_e32 v0, s4, v0
	v_add_co_u32 v66, vcc_lo, s0, v66
	v_add_co_ci_u32_e64 v67, null, s1, v67, vcc_lo
	global_store_dwordx2 v[88:89], v[36:37], off
	global_load_dwordx2 v[36:37], v[66:67], off
	s_waitcnt vmcnt(0)
	v_mul_f64 v[36:37], v[36:37], v[44:45]
	v_lshlrev_b64 v[44:45], 3, v[0:1]
	v_add_nc_u32_e32 v0, s4, v0
	v_add_co_u32 v44, vcc_lo, s0, v44
	v_add_co_ci_u32_e64 v45, null, s1, v45, vcc_lo
	v_mul_f64 v[36:37], v[36:37], v[82:83]
	global_store_dwordx2 v[66:67], v[36:37], off
	global_load_dwordx2 v[36:37], v[44:45], off
	v_lshlrev_b64 v[66:67], 3, v[0:1]
	v_add_nc_u32_e32 v0, s4, v0
	v_add_co_u32 v66, vcc_lo, s0, v66
	v_add_co_ci_u32_e64 v67, null, s1, v67, vcc_lo
	v_lshlrev_b64 v[90:91], 3, v[0:1]
	v_add_nc_u32_e32 v0, s4, v0
	v_add_co_u32 v90, vcc_lo, s0, v90
	v_add_co_ci_u32_e64 v91, null, s1, v91, vcc_lo
	s_waitcnt vmcnt(0)
	v_mul_f64 v[36:37], v[36:37], v[78:79]
	v_mul_f64 v[36:37], v[36:37], v[32:33]
	global_store_dwordx2 v[44:45], v[36:37], off
	global_load_dwordx2 v[82:83], v[66:67], off
	s_clause 0x3
	global_load_dwordx2 v[86:87], v[6:7], off
	global_load_dwordx2 v[88:89], v[6:7], off
	;; [unrolled: 1-line block ×4, first 2 shown]
	s_waitcnt vmcnt(3)
	v_mul_f64 v[82:83], v[82:83], v[86:87]
	v_mul_f64 v[82:83], v[82:83], v[80:81]
	global_store_dwordx2 v[66:67], v[82:83], off
	global_load_dwordx2 v[66:67], v[90:91], off
	v_lshlrev_b64 v[82:83], 3, v[0:1]
	v_add_nc_u32_e32 v0, s4, v0
	v_add_co_u32 v82, vcc_lo, s0, v82
	v_add_co_ci_u32_e64 v83, null, s1, v83, vcc_lo
	s_waitcnt vmcnt(0)
	v_mul_f64 v[66:67], v[66:67], v[30:31]
	global_store_dwordx2 v[90:91], v[66:67], off
	global_load_dwordx2 v[66:67], v[82:83], off
	v_lshlrev_b64 v[90:91], 3, v[0:1]
	v_add_nc_u32_e32 v0, s4, v0
	v_add_co_u32 v90, vcc_lo, s0, v90
	v_add_co_ci_u32_e64 v91, null, s1, v91, vcc_lo
	s_waitcnt vmcnt(0)
	v_mul_f64 v[66:67], v[66:67], v[78:79]
	v_mul_f64 v[66:67], v[66:67], v[80:81]
	global_store_dwordx2 v[82:83], v[66:67], off
	global_load_dwordx2 v[66:67], v[90:91], off
	v_lshlrev_b64 v[82:83], 3, v[0:1]
	v_add_nc_u32_e32 v0, s4, v0
	v_add_co_u32 v82, vcc_lo, s0, v82
	v_add_co_ci_u32_e64 v83, null, s1, v83, vcc_lo
	s_waitcnt vmcnt(0)
	v_mul_f64 v[66:67], v[66:67], v[78:79]
	v_mul_f64 v[66:67], v[66:67], v[30:31]
	global_store_dwordx2 v[90:91], v[66:67], off
	global_load_dwordx2 v[66:67], v[82:83], off
	s_waitcnt vmcnt(0)
	v_mul_f64 v[66:67], v[66:67], v[78:79]
	v_mul_f64 v[34:35], v[66:67], v[34:35]
	v_lshlrev_b64 v[66:67], 3, v[0:1]
	v_add_nc_u32_e32 v0, s4, v0
	v_add_co_u32 v66, vcc_lo, s0, v66
	v_add_co_ci_u32_e64 v67, null, s1, v67, vcc_lo
	global_store_dwordx2 v[82:83], v[34:35], off
	global_load_dwordx2 v[34:35], v[66:67], off
	s_waitcnt vmcnt(0)
	v_mul_f64 v[34:35], v[34:35], v[86:87]
	v_mul_f64 v[32:33], v[34:35], v[32:33]
	v_lshlrev_b64 v[34:35], 3, v[0:1]
	v_add_nc_u32_e32 v0, s4, v0
	v_add_co_u32 v34, vcc_lo, s0, v34
	v_add_co_ci_u32_e64 v35, null, s1, v35, vcc_lo
	global_store_dwordx2 v[66:67], v[32:33], off
	global_load_dwordx2 v[32:33], v[34:35], off
	v_lshlrev_b64 v[66:67], 3, v[0:1]
	v_add_nc_u32_e32 v0, s4, v0
	v_add_co_u32 v66, vcc_lo, s0, v66
	v_add_co_ci_u32_e64 v67, null, s1, v67, vcc_lo
	s_waitcnt vmcnt(0)
	v_mul_f64 v[32:33], v[32:33], v[86:87]
	v_mul_f64 v[32:33], v[32:33], v[80:81]
	global_store_dwordx2 v[34:35], v[32:33], off
	global_load_dwordx2 v[32:33], v[66:67], off
	s_waitcnt vmcnt(0)
	v_mul_f64 v[32:33], v[32:33], v[86:87]
	v_mul_f64 v[30:31], v[32:33], v[30:31]
	v_lshlrev_b64 v[32:33], 3, v[0:1]
	v_add_nc_u32_e32 v0, s4, v0
	v_add_co_u32 v32, vcc_lo, s0, v32
	v_add_co_ci_u32_e64 v33, null, s1, v33, vcc_lo
	v_lshlrev_b64 v[34:35], 3, v[0:1]
	v_add_nc_u32_e32 v0, s4, v0
	v_add_co_u32 v34, vcc_lo, s0, v34
	v_add_co_ci_u32_e64 v35, null, s1, v35, vcc_lo
	global_store_dwordx2 v[66:67], v[30:31], off
	global_load_dwordx2 v[30:31], v[32:33], off
	s_waitcnt vmcnt(0)
	v_mul_f64 v[30:31], v[30:31], v[84:85]
	v_mul_f64 v[30:31], v[30:31], v[72:73]
	global_store_dwordx2 v[32:33], v[30:31], off
	global_load_dwordx2 v[30:31], v[34:35], off
	v_lshlrev_b64 v[32:33], 3, v[0:1]
	v_add_nc_u32_e32 v0, s4, v0
	v_add_co_u32 v32, vcc_lo, s0, v32
	v_add_co_ci_u32_e64 v33, null, s1, v33, vcc_lo
	s_waitcnt vmcnt(0)
	v_mul_f64 v[30:31], v[30:31], v[86:87]
	v_mul_f64 v[30:31], v[86:87], v[30:31]
	global_store_dwordx2 v[34:35], v[30:31], off
	global_load_dwordx2 v[30:31], v[32:33], off
	v_lshlrev_b64 v[34:35], 3, v[0:1]
	v_add_nc_u32_e32 v0, s4, v0
	v_add_co_u32 v34, vcc_lo, s0, v34
	v_add_co_ci_u32_e64 v35, null, s1, v35, vcc_lo
	;; [unrolled: 9-line block ×3, first 2 shown]
	s_waitcnt vmcnt(0)
	v_mul_f64 v[30:31], v[30:31], v[74:75]
	global_store_dwordx2 v[34:35], v[30:31], off
	global_load_dwordx2 v[30:31], v[32:33], off
	v_lshlrev_b64 v[34:35], 3, v[0:1]
	v_add_nc_u32_e32 v0, s4, v0
	v_add_co_u32 v34, vcc_lo, s0, v34
	v_add_co_ci_u32_e64 v35, null, s1, v35, vcc_lo
	s_waitcnt vmcnt(0)
	v_mul_f64 v[30:31], v[30:31], v[72:73]
	v_mul_f64 v[30:31], v[30:31], v[74:75]
	v_mul_f64 v[30:31], v[74:75], v[30:31]
	global_store_dwordx2 v[32:33], v[30:31], off
	global_load_dwordx2 v[30:31], v[34:35], off
	v_lshlrev_b64 v[32:33], 3, v[0:1]
	v_add_nc_u32_e32 v0, s4, v0
	v_add_co_u32 v32, vcc_lo, s0, v32
	v_add_co_ci_u32_e64 v33, null, s1, v33, vcc_lo
	s_waitcnt vmcnt(0)
	v_mul_f64 v[30:31], v[30:31], v[80:81]
	v_mul_f64 v[30:31], v[30:31], v[74:75]
	;; [unrolled: 10-line block ×3, first 2 shown]
	global_store_dwordx2 v[32:33], v[30:31], off
	global_load_dwordx2 v[30:31], v[34:35], off
	v_lshlrev_b64 v[32:33], 3, v[0:1]
	v_add_nc_u32_e32 v0, s5, v0
	v_add_co_u32 v32, vcc_lo, s0, v32
	v_add_co_ci_u32_e64 v33, null, s1, v33, vcc_lo
	s_waitcnt vmcnt(0)
	v_mul_f64 v[30:31], v[30:31], v[74:75]
	global_store_dwordx2 v[34:35], v[30:31], off
	global_load_dwordx2 v[30:31], v[32:33], off
	v_lshlrev_b64 v[34:35], 3, v[0:1]
	v_add_nc_u32_e32 v0, s4, v0
	v_add_co_u32 v34, vcc_lo, s0, v34
	v_add_co_ci_u32_e64 v35, null, s1, v35, vcc_lo
	s_waitcnt vmcnt(0)
	v_mul_f64 v[30:31], v[30:31], v[62:63]
	v_mul_f64 v[30:31], v[30:31], v[74:75]
	;; [unrolled: 1-line block ×3, first 2 shown]
	global_store_dwordx2 v[32:33], v[30:31], off
	global_load_dwordx2 v[30:31], v[34:35], off
	v_lshlrev_b64 v[32:33], 3, v[0:1]
	v_add_nc_u32_e32 v0, s4, v0
	v_add_co_u32 v32, vcc_lo, s0, v32
	v_add_co_ci_u32_e64 v33, null, s1, v33, vcc_lo
	s_waitcnt vmcnt(0)
	v_mul_f64 v[30:31], v[30:31], v[62:63]
	v_mul_f64 v[30:31], v[30:31], v[72:73]
	global_store_dwordx2 v[34:35], v[30:31], off
	global_load_dwordx2 v[30:31], v[32:33], off
	v_lshlrev_b64 v[34:35], 3, v[0:1]
	v_add_nc_u32_e32 v0, s4, v0
	v_add_co_u32 v34, vcc_lo, s0, v34
	v_add_co_ci_u32_e64 v35, null, s1, v35, vcc_lo
	s_waitcnt vmcnt(0)
	v_mul_f64 v[30:31], v[30:31], v[76:77]
	v_mul_f64 v[30:31], v[30:31], v[72:73]
	global_store_dwordx2 v[32:33], v[30:31], off
	global_load_dwordx2 v[30:31], v[34:35], off
	v_lshlrev_b64 v[32:33], 3, v[0:1]
	v_add_nc_u32_e32 v0, s4, v0
	v_add_co_u32 v32, vcc_lo, s0, v32
	v_add_co_ci_u32_e64 v33, null, s1, v33, vcc_lo
	s_waitcnt vmcnt(0)
	v_mul_f64 v[30:31], v[30:31], v[74:75]
	global_store_dwordx2 v[34:35], v[30:31], off
	global_load_dwordx2 v[30:31], v[32:33], off
	v_lshlrev_b64 v[34:35], 3, v[0:1]
	v_add_nc_u32_e32 v0, s4, v0
	v_add_co_u32 v34, vcc_lo, s0, v34
	v_add_co_ci_u32_e64 v35, null, s1, v35, vcc_lo
	s_waitcnt vmcnt(0)
	v_mul_f64 v[30:31], v[30:31], v[60:61]
	v_mul_f64 v[30:31], v[30:31], v[72:73]
	global_store_dwordx2 v[32:33], v[30:31], off
	global_load_dwordx2 v[30:31], v[34:35], off
	v_lshlrev_b64 v[32:33], 3, v[0:1]
	v_add_nc_u32_e32 v0, s5, v0
	v_add_co_u32 v32, vcc_lo, s0, v32
	v_add_co_ci_u32_e64 v33, null, s1, v33, vcc_lo
	s_waitcnt vmcnt(0)
	v_mul_f64 v[30:31], v[30:31], v[88:89]
	;; [unrolled: 9-line block ×3, first 2 shown]
	global_store_dwordx2 v[32:33], v[30:31], off
	global_load_dwordx2 v[30:31], v[34:35], off
	v_lshlrev_b64 v[32:33], 3, v[0:1]
	v_add_nc_u32_e32 v0, s4, v0
	v_add_co_u32 v32, vcc_lo, s0, v32
	v_add_co_ci_u32_e64 v33, null, s1, v33, vcc_lo
	s_waitcnt vmcnt(0)
	v_mul_f64 v[30:31], v[30:31], v[62:63]
	v_mul_f64 v[30:31], v[30:31], v[72:73]
	global_store_dwordx2 v[34:35], v[30:31], off
	global_load_dwordx2 v[30:31], v[32:33], off
	v_lshlrev_b64 v[34:35], 3, v[0:1]
	v_add_nc_u32_e32 v0, s4, v0
	v_add_co_u32 v34, vcc_lo, s0, v34
	v_add_co_ci_u32_e64 v35, null, s1, v35, vcc_lo
	s_waitcnt vmcnt(0)
	v_mul_f64 v[30:31], v[30:31], v[74:75]
	global_store_dwordx2 v[32:33], v[30:31], off
	global_load_dwordx2 v[30:31], v[34:35], off
	v_lshlrev_b64 v[32:33], 3, v[0:1]
	v_add_nc_u32_e32 v0, s5, v0
	v_add_co_u32 v32, vcc_lo, s0, v32
	v_add_co_ci_u32_e64 v33, null, s1, v33, vcc_lo
	s_waitcnt vmcnt(0)
	v_mul_f64 v[30:31], v[30:31], v[60:61]
	v_mul_f64 v[30:31], v[30:31], v[72:73]
	global_store_dwordx2 v[34:35], v[30:31], off
	global_load_dwordx2 v[30:31], v[32:33], off
	v_lshlrev_b64 v[34:35], 3, v[0:1]
	v_add_nc_u32_e32 v0, s4, v0
	v_add_co_u32 v34, vcc_lo, s0, v34
	v_add_co_ci_u32_e64 v35, null, s1, v35, vcc_lo
	v_lshlrev_b64 v[60:61], 3, v[0:1]
	v_add_nc_u32_e32 v0, s4, v0
	v_add_co_u32 v60, vcc_lo, s0, v60
	v_add_co_ci_u32_e64 v61, null, s1, v61, vcc_lo
	s_waitcnt vmcnt(0)
	v_mul_f64 v[30:31], v[30:31], v[26:27]
	global_store_dwordx2 v[32:33], v[30:31], off
	global_load_dwordx2 v[30:31], v[34:35], off
	s_clause 0x3
	global_load_dwordx2 v[62:63], v[24:25], off
	global_load_dwordx2 v[66:67], v[24:25], off
	global_load_dwordx2 v[32:33], v[24:25], off
	global_load_dwordx2 v[24:25], v[24:25], off
	s_waitcnt vmcnt(4)
	v_mul_f64 v[30:31], v[30:31], v[76:77]
	s_waitcnt vmcnt(3)
	v_mul_f64 v[30:31], v[30:31], v[62:63]
	global_store_dwordx2 v[34:35], v[30:31], off
	global_load_dwordx2 v[30:31], v[60:61], off
	v_lshlrev_b64 v[34:35], 3, v[0:1]
	v_add_nc_u32_e32 v0, s4, v0
	v_add_co_u32 v34, vcc_lo, s0, v34
	v_add_co_ci_u32_e64 v35, null, s1, v35, vcc_lo
	s_waitcnt vmcnt(0)
	v_mul_f64 v[30:31], v[30:31], v[88:89]
	v_mul_f64 v[30:31], v[30:31], v[74:75]
	global_store_dwordx2 v[60:61], v[30:31], off
	global_load_dwordx2 v[30:31], v[34:35], off
	v_lshlrev_b64 v[60:61], 3, v[0:1]
	v_add_nc_u32_e32 v0, s4, v0
	v_add_co_u32 v60, vcc_lo, s0, v60
	v_add_co_ci_u32_e64 v61, null, s1, v61, vcc_lo
	s_waitcnt vmcnt(0)
	v_mul_f64 v[30:31], v[30:31], v[76:77]
	v_mul_f64 v[30:31], v[30:31], v[48:49]
	global_store_dwordx2 v[34:35], v[30:31], off
	global_load_dwordx2 v[30:31], v[60:61], off
	s_waitcnt vmcnt(0)
	v_mul_f64 v[26:27], v[30:31], v[26:27]
	v_lshlrev_b64 v[30:31], 3, v[0:1]
	v_add_nc_u32_e32 v0, s4, v0
	v_add_co_u32 v30, vcc_lo, s0, v30
	v_add_co_ci_u32_e64 v31, null, s1, v31, vcc_lo
	global_store_dwordx2 v[60:61], v[26:27], off
	global_load_dwordx2 v[26:27], v[30:31], off
	global_load_dwordx2 v[34:35], v[12:13], off
	v_lshlrev_b64 v[60:61], 3, v[0:1]
	s_clause 0x1
	global_load_dwordx2 v[72:73], v[12:13], off
	global_load_dwordx2 v[12:13], v[12:13], off
	v_add_nc_u32_e32 v0, s4, v0
	v_add_co_u32 v74, vcc_lo, s0, v60
	v_add_co_ci_u32_e64 v75, null, s1, v61, vcc_lo
	s_waitcnt vmcnt(3)
	v_mul_f64 v[26:27], v[26:27], v[76:77]
	s_waitcnt vmcnt(2)
	v_mul_f64 v[26:27], v[26:27], v[34:35]
	global_store_dwordx2 v[30:31], v[26:27], off
	global_load_dwordx2 v[30:31], v[74:75], off
	s_clause 0x2
	global_load_dwordx2 v[76:77], v[68:69], off
	global_load_dwordx2 v[60:61], v[68:69], off
	;; [unrolled: 1-line block ×3, first 2 shown]
	v_lshlrev_b64 v[68:69], 3, v[0:1]
	v_add_nc_u32_e32 v0, s4, v0
	v_add_co_u32 v68, vcc_lo, s0, v68
	v_add_co_ci_u32_e64 v69, null, s1, v69, vcc_lo
	s_waitcnt vmcnt(2)
	v_mul_f64 v[30:31], v[30:31], v[76:77]
	global_store_dwordx2 v[74:75], v[30:31], off
	global_load_dwordx2 v[30:31], v[68:69], off
	v_lshlrev_b64 v[74:75], 3, v[0:1]
	v_add_nc_u32_e32 v0, s4, v0
	v_add_co_u32 v74, vcc_lo, s0, v74
	v_add_co_ci_u32_e64 v75, null, s1, v75, vcc_lo
	s_waitcnt vmcnt(0)
	v_mul_f64 v[30:31], v[30:31], v[56:57]
	v_mul_f64 v[30:31], v[30:31], v[62:63]
	global_store_dwordx2 v[68:69], v[30:31], off
	global_load_dwordx2 v[30:31], v[74:75], off
	s_waitcnt vmcnt(0)
	v_mul_f64 v[30:31], v[30:31], v[62:63]
	v_lshlrev_b64 v[62:63], 3, v[0:1]
	v_add_nc_u32_e32 v0, s4, v0
	v_add_co_u32 v62, vcc_lo, s0, v62
	v_add_co_ci_u32_e64 v63, null, s1, v63, vcc_lo
	global_store_dwordx2 v[74:75], v[30:31], off
	global_load_dwordx2 v[30:31], v[62:63], off
	s_waitcnt vmcnt(0)
	v_mul_f64 v[30:31], v[30:31], v[58:59]
	v_lshlrev_b64 v[58:59], 3, v[0:1]
	v_add_nc_u32_e32 v0, s4, v0
	v_add_co_u32 v68, vcc_lo, s0, v58
	v_add_co_ci_u32_e64 v69, null, s1, v59, vcc_lo
	v_mul_f64 v[30:31], v[30:31], v[52:53]
	global_store_dwordx2 v[62:63], v[30:31], off
	global_load_dwordx2 v[30:31], v[68:69], off
	global_load_dwordx2 v[78:79], v[70:71], off
	v_lshlrev_b64 v[62:63], 3, v[0:1]
	s_clause 0x1
	global_load_dwordx2 v[74:75], v[70:71], off
	global_load_dwordx2 v[58:59], v[70:71], off
	v_add_nc_u32_e32 v0, s4, v0
	v_add_co_u32 v62, vcc_lo, s0, v62
	v_add_co_ci_u32_e64 v63, null, s1, v63, vcc_lo
	s_waitcnt vmcnt(3)
	v_mul_f64 v[30:31], v[30:31], v[44:45]
	s_waitcnt vmcnt(2)
	v_mul_f64 v[30:31], v[30:31], v[78:79]
	global_store_dwordx2 v[68:69], v[30:31], off
	global_load_dwordx2 v[30:31], v[62:63], off
	s_waitcnt vmcnt(0)
	v_mul_f64 v[30:31], v[30:31], v[56:57]
	v_mul_f64 v[30:31], v[30:31], v[34:35]
	v_lshlrev_b64 v[34:35], 3, v[0:1]
	v_add_nc_u32_e32 v0, s4, v0
	v_add_co_u32 v34, vcc_lo, s0, v34
	v_add_co_ci_u32_e64 v35, null, s1, v35, vcc_lo
	v_lshlrev_b64 v[68:69], 3, v[0:1]
	v_add_nc_u32_e32 v0, s4, v0
	v_add_co_u32 v68, vcc_lo, s0, v68
	v_add_co_ci_u32_e64 v69, null, s1, v69, vcc_lo
	global_store_dwordx2 v[62:63], v[30:31], off
	global_load_dwordx2 v[30:31], v[34:35], off
	s_clause 0x3
	global_load_dwordx2 v[70:71], v[10:11], off
	global_load_dwordx2 v[80:81], v[10:11], off
	;; [unrolled: 1-line block ×4, first 2 shown]
	s_waitcnt vmcnt(4)
	v_mul_f64 v[30:31], v[30:31], v[56:57]
	s_waitcnt vmcnt(3)
	v_mul_f64 v[30:31], v[30:31], v[70:71]
	global_store_dwordx2 v[34:35], v[30:31], off
	global_load_dwordx2 v[30:31], v[68:69], off
	s_waitcnt vmcnt(0)
	v_mul_f64 v[22:23], v[30:31], v[22:23]
	v_lshlrev_b64 v[30:31], 3, v[0:1]
	v_add_nc_u32_e32 v0, s4, v0
	v_add_co_u32 v30, vcc_lo, s0, v30
	v_add_co_ci_u32_e64 v31, null, s1, v31, vcc_lo
	global_store_dwordx2 v[68:69], v[22:23], off
	global_load_dwordx2 v[34:35], v[30:31], off
	s_clause 0x3
	global_load_dwordx2 v[82:83], v[4:5], off
	global_load_dwordx2 v[84:85], v[4:5], off
	;; [unrolled: 1-line block ×4, first 2 shown]
	s_waitcnt vmcnt(3)
	v_mul_f64 v[34:35], v[34:35], v[82:83]
	v_lshlrev_b64 v[82:83], 3, v[0:1]
	v_add_nc_u32_e32 v0, s4, v0
	v_add_co_u32 v82, vcc_lo, s0, v82
	v_add_co_ci_u32_e64 v83, null, s1, v83, vcc_lo
	global_store_dwordx2 v[30:31], v[34:35], off
	global_load_dwordx2 v[30:31], v[82:83], off
	v_lshlrev_b64 v[34:35], 3, v[0:1]
	v_add_nc_u32_e32 v0, s4, v0
	v_add_co_u32 v34, vcc_lo, s0, v34
	v_add_co_ci_u32_e64 v35, null, s1, v35, vcc_lo
	s_waitcnt vmcnt(0)
	v_mul_f64 v[30:31], v[30:31], v[48:49]
	global_store_dwordx2 v[82:83], v[30:31], off
	global_load_dwordx2 v[30:31], v[34:35], off
	s_waitcnt vmcnt(0)
	v_mul_f64 v[30:31], v[30:31], v[76:77]
	v_mul_f64 v[30:31], v[30:31], v[70:71]
	v_lshlrev_b64 v[70:71], 3, v[0:1]
	v_add_nc_u32_e32 v0, s4, v0
	v_add_co_u32 v70, vcc_lo, s0, v70
	v_add_co_ci_u32_e64 v71, null, s1, v71, vcc_lo
	global_store_dwordx2 v[34:35], v[30:31], off
	global_load_dwordx2 v[30:31], v[70:71], off
	v_lshlrev_b64 v[34:35], 3, v[0:1]
	v_add_nc_u32_e32 v0, s4, v0
	v_add_co_u32 v34, vcc_lo, s0, v34
	v_add_co_ci_u32_e64 v35, null, s1, v35, vcc_lo
	s_waitcnt vmcnt(0)
	v_mul_f64 v[30:31], v[30:31], v[76:77]
	v_mul_f64 v[30:31], v[30:31], v[78:79]
	global_store_dwordx2 v[70:71], v[30:31], off
	global_load_dwordx2 v[30:31], v[34:35], off
	global_load_dwordx2 v[70:71], v[50:51], off
	s_waitcnt vmcnt(1)
	v_mul_f64 v[56:57], v[30:31], v[56:57]
	s_clause 0x2
	global_load_dwordx2 v[76:77], v[50:51], off
	global_load_dwordx2 v[30:31], v[50:51], off
	;; [unrolled: 1-line block ×3, first 2 shown]
	s_waitcnt vmcnt(3)
	v_mul_f64 v[50:51], v[56:57], v[70:71]
	v_lshlrev_b64 v[56:57], 3, v[0:1]
	v_add_nc_u32_e32 v0, s4, v0
	v_add_co_u32 v56, vcc_lo, s0, v56
	v_add_co_ci_u32_e64 v57, null, s1, v57, vcc_lo
	global_store_dwordx2 v[34:35], v[50:51], off
	global_load_dwordx2 v[34:35], v[56:57], off
	v_lshlrev_b64 v[50:51], 3, v[0:1]
	v_add_nc_u32_e32 v0, s4, v0
	v_add_co_u32 v50, vcc_lo, s0, v50
	v_add_co_ci_u32_e64 v51, null, s1, v51, vcc_lo
	v_add_co_u32 v46, vcc_lo, s2, v46
	v_add_co_ci_u32_e64 v47, null, s3, v47, vcc_lo
	s_waitcnt vmcnt(0)
	v_mul_f64 v[34:35], v[34:35], v[64:65]
	global_store_dwordx2 v[56:57], v[34:35], off
	global_load_dwordx2 v[56:57], v[50:51], off
	s_clause 0x2
	global_load_dwordx2 v[64:65], v[46:47], off
	global_load_dwordx2 v[70:71], v[46:47], off
	;; [unrolled: 1-line block ×3, first 2 shown]
	s_waitcnt vmcnt(2)
	v_mul_f64 v[46:47], v[56:57], v[64:65]
	v_mul_f64 v[46:47], v[46:47], v[52:53]
	v_lshlrev_b64 v[52:53], 3, v[0:1]
	v_add_nc_u32_e32 v0, s4, v0
	v_add_co_u32 v52, vcc_lo, s0, v52
	v_add_co_ci_u32_e64 v53, null, s1, v53, vcc_lo
	global_store_dwordx2 v[50:51], v[46:47], off
	global_load_dwordx2 v[46:47], v[52:53], off
	v_lshlrev_b64 v[50:51], 3, v[0:1]
	v_add_nc_u32_e32 v0, s4, v0
	v_add_co_u32 v50, vcc_lo, s0, v50
	v_add_co_ci_u32_e64 v51, null, s1, v51, vcc_lo
	s_waitcnt vmcnt(0)
	v_mul_f64 v[46:47], v[46:47], v[44:45]
	v_mul_f64 v[46:47], v[46:47], v[78:79]
	global_store_dwordx2 v[52:53], v[46:47], off
	global_load_dwordx2 v[46:47], v[50:51], off
	v_lshlrev_b64 v[52:53], 3, v[0:1]
	v_add_nc_u32_e32 v0, s4, v0
	v_add_co_u32 v52, vcc_lo, s0, v52
	v_add_co_ci_u32_e64 v53, null, s1, v53, vcc_lo
	s_waitcnt vmcnt(0)
	v_mul_f64 v[46:47], v[46:47], v[38:39]
	global_store_dwordx2 v[50:51], v[46:47], off
	global_load_dwordx2 v[46:47], v[52:53], off
	v_lshlrev_b64 v[50:51], 3, v[0:1]
	v_add_nc_u32_e32 v0, s4, v0
	v_add_co_u32 v50, vcc_lo, s0, v50
	v_add_co_ci_u32_e64 v51, null, s1, v51, vcc_lo
	s_waitcnt vmcnt(0)
	v_mul_f64 v[46:47], v[46:47], v[44:45]
	global_store_dwordx2 v[52:53], v[46:47], off
	global_load_dwordx2 v[52:53], v[50:51], off
	s_clause 0x1
	global_load_dwordx2 v[56:57], v[54:55], off
	global_load_dwordx2 v[46:47], v[54:55], off
	v_lshlrev_b64 v[54:55], 3, v[0:1]
	v_add_nc_u32_e32 v0, s4, v0
	v_add_co_u32 v54, vcc_lo, s0, v54
	v_add_co_ci_u32_e64 v55, null, s1, v55, vcc_lo
	s_waitcnt vmcnt(1)
	v_mul_f64 v[52:53], v[52:53], v[56:57]
	v_mul_f64 v[52:53], v[52:53], v[66:67]
	global_store_dwordx2 v[50:51], v[52:53], off
	global_load_dwordx2 v[50:51], v[54:55], off
	s_waitcnt vmcnt(0)
	v_mul_f64 v[50:51], v[50:51], v[56:57]
	v_mul_f64 v[48:49], v[50:51], v[48:49]
	v_lshlrev_b64 v[50:51], 3, v[0:1]
	v_add_nc_u32_e32 v0, s4, v0
	v_add_co_u32 v50, vcc_lo, s0, v50
	v_add_co_ci_u32_e64 v51, null, s1, v51, vcc_lo
	v_lshlrev_b64 v[52:53], 3, v[0:1]
	v_add_nc_u32_e32 v0, s4, v0
	v_add_co_u32 v52, vcc_lo, s0, v52
	v_add_co_ci_u32_e64 v53, null, s1, v53, vcc_lo
	global_store_dwordx2 v[54:55], v[48:49], off
	global_load_dwordx2 v[48:49], v[50:51], off
	s_waitcnt vmcnt(0)
	v_mul_f64 v[48:49], v[48:49], v[56:57]
	v_mul_f64 v[48:49], v[48:49], v[72:73]
	global_store_dwordx2 v[50:51], v[48:49], off
	global_load_dwordx2 v[48:49], v[52:53], off
	v_lshlrev_b64 v[50:51], 3, v[0:1]
	v_add_nc_u32_e32 v0, s4, v0
	v_add_co_u32 v50, vcc_lo, s0, v50
	v_add_co_ci_u32_e64 v51, null, s1, v51, vcc_lo
	s_waitcnt vmcnt(0)
	v_mul_f64 v[48:49], v[48:49], v[56:57]
	v_mul_f64 v[48:49], v[48:49], v[80:81]
	global_store_dwordx2 v[52:53], v[48:49], off
	global_load_dwordx2 v[48:49], v[50:51], off
	v_lshlrev_b64 v[52:53], 3, v[0:1]
	v_add_nc_u32_e32 v0, s5, v0
	v_add_co_u32 v52, vcc_lo, s0, v52
	v_add_co_ci_u32_e64 v53, null, s1, v53, vcc_lo
	s_waitcnt vmcnt(0)
	v_mul_f64 v[48:49], v[48:49], v[84:85]
	v_mul_f64 v[48:49], v[48:49], v[74:75]
	;; [unrolled: 1-line block ×3, first 2 shown]
	global_store_dwordx2 v[50:51], v[48:49], off
	global_load_dwordx2 v[48:49], v[52:53], off
	v_lshlrev_b64 v[50:51], 3, v[0:1]
	v_add_nc_u32_e32 v0, s4, v0
	v_add_co_u32 v50, vcc_lo, s0, v50
	v_add_co_ci_u32_e64 v51, null, s1, v51, vcc_lo
	s_waitcnt vmcnt(0)
	v_mul_f64 v[48:49], v[48:49], v[66:67]
	global_store_dwordx2 v[52:53], v[48:49], off
	global_load_dwordx2 v[48:49], v[50:51], off
	v_lshlrev_b64 v[52:53], 3, v[0:1]
	v_add_nc_u32_e32 v0, s4, v0
	v_add_co_u32 v52, vcc_lo, s0, v52
	v_add_co_ci_u32_e64 v53, null, s1, v53, vcc_lo
	s_waitcnt vmcnt(0)
	v_mul_f64 v[48:49], v[48:49], v[66:67]
	;; [unrolled: 8-line block ×3, first 2 shown]
	global_store_dwordx2 v[52:53], v[48:49], off
	global_load_dwordx2 v[48:49], v[50:51], off
	s_waitcnt vmcnt(0)
	v_mul_f64 v[44:45], v[48:49], v[44:45]
	v_lshlrev_b64 v[48:49], 3, v[0:1]
	v_add_nc_u32_e32 v0, s4, v0
	v_add_co_u32 v48, vcc_lo, s0, v48
	v_add_co_ci_u32_e64 v49, null, s1, v49, vcc_lo
	global_store_dwordx2 v[50:51], v[44:45], off
	global_load_dwordx2 v[44:45], v[48:49], off
	v_lshlrev_b64 v[50:51], 3, v[0:1]
	v_add_nc_u32_e32 v0, s4, v0
	v_add_co_u32 v50, vcc_lo, s0, v50
	v_add_co_ci_u32_e64 v51, null, s1, v51, vcc_lo
	s_waitcnt vmcnt(0)
	v_mul_f64 v[44:45], v[44:45], v[84:85]
	global_store_dwordx2 v[48:49], v[44:45], off
	global_load_dwordx2 v[44:45], v[50:51], off
	v_lshlrev_b64 v[48:49], 3, v[0:1]
	v_add_nc_u32_e32 v0, s4, v0
	v_add_co_u32 v48, vcc_lo, s0, v48
	v_add_co_ci_u32_e64 v49, null, s1, v49, vcc_lo
	s_waitcnt vmcnt(0)
	v_mul_f64 v[44:45], v[44:45], v[72:73]
	;; [unrolled: 8-line block ×3, first 2 shown]
	global_store_dwordx2 v[48:49], v[44:45], off
	global_load_dwordx2 v[44:45], v[50:51], off
	s_waitcnt vmcnt(0)
	v_mul_f64 v[44:45], v[44:45], v[38:39]
	v_mul_f64 v[42:43], v[44:45], v[42:43]
	v_lshlrev_b64 v[44:45], 3, v[0:1]
	v_add_nc_u32_e32 v0, s4, v0
	v_add_co_u32 v44, vcc_lo, s0, v44
	v_add_co_ci_u32_e64 v45, null, s1, v45, vcc_lo
	v_lshlrev_b64 v[48:49], 3, v[0:1]
	v_add_nc_u32_e32 v0, s4, v0
	v_add_co_u32 v48, vcc_lo, s0, v48
	v_add_co_ci_u32_e64 v49, null, s1, v49, vcc_lo
	global_store_dwordx2 v[50:51], v[42:43], off
	global_load_dwordx2 v[42:43], v[44:45], off
	s_waitcnt vmcnt(0)
	v_mul_f64 v[42:43], v[42:43], v[74:75]
	global_store_dwordx2 v[44:45], v[42:43], off
	global_load_dwordx2 v[42:43], v[48:49], off
	v_lshlrev_b64 v[44:45], 3, v[0:1]
	v_add_nc_u32_e32 v0, s4, v0
	v_add_co_u32 v44, vcc_lo, s0, v44
	v_add_co_ci_u32_e64 v45, null, s1, v45, vcc_lo
	s_waitcnt vmcnt(0)
	v_mul_f64 v[42:43], v[42:43], v[70:71]
	v_mul_f64 v[42:43], v[42:43], v[40:41]
	global_store_dwordx2 v[48:49], v[42:43], off
	global_load_dwordx2 v[42:43], v[44:45], off
	v_lshlrev_b64 v[48:49], 3, v[0:1]
	v_add_nc_u32_e32 v0, s4, v0
	v_add_co_u32 v48, vcc_lo, s0, v48
	v_add_co_ci_u32_e64 v49, null, s1, v49, vcc_lo
	s_waitcnt vmcnt(0)
	v_mul_f64 v[42:43], v[42:43], v[76:77]
	global_store_dwordx2 v[44:45], v[42:43], off
	global_load_dwordx2 v[42:43], v[48:49], off
	v_lshlrev_b64 v[44:45], 3, v[0:1]
	v_add_nc_u32_e32 v0, s5, v0
	v_add_co_u32 v44, vcc_lo, s0, v44
	v_add_co_ci_u32_e64 v45, null, s1, v45, vcc_lo
	s_waitcnt vmcnt(0)
	v_mul_f64 v[42:43], v[42:43], v[70:71]
	v_mul_f64 v[42:43], v[42:43], v[40:41]
	global_store_dwordx2 v[48:49], v[42:43], off
	global_load_dwordx2 v[42:43], v[44:45], off
	v_lshlrev_b64 v[48:49], 3, v[0:1]
	v_add_nc_u32_e32 v0, s4, v0
	v_add_co_u32 v48, vcc_lo, s0, v48
	v_add_co_ci_u32_e64 v49, null, s1, v49, vcc_lo
	s_waitcnt vmcnt(0)
	v_mul_f64 v[42:43], v[42:43], v[76:77]
	global_store_dwordx2 v[44:45], v[42:43], off
	global_load_dwordx2 v[42:43], v[48:49], off
	v_lshlrev_b64 v[44:45], 3, v[0:1]
	v_add_nc_u32_e32 v0, s4, v0
	v_add_co_u32 v44, vcc_lo, s0, v44
	v_add_co_ci_u32_e64 v45, null, s1, v45, vcc_lo
	s_waitcnt vmcnt(0)
	;; [unrolled: 8-line block ×3, first 2 shown]
	v_mul_f64 v[42:43], v[42:43], v[60:61]
	v_mul_f64 v[42:43], v[42:43], v[32:33]
	global_store_dwordx2 v[44:45], v[42:43], off
	global_load_dwordx2 v[42:43], v[48:49], off
	v_lshlrev_b64 v[44:45], 3, v[0:1]
	v_add_nc_u32_e32 v0, s4, v0
	v_add_co_u32 v44, vcc_lo, s0, v44
	v_add_co_ci_u32_e64 v45, null, s1, v45, vcc_lo
	s_waitcnt vmcnt(0)
	v_mul_f64 v[42:43], v[42:43], v[36:37]
	v_mul_f64 v[42:43], v[42:43], v[68:69]
	global_store_dwordx2 v[48:49], v[42:43], off
	global_load_dwordx2 v[42:43], v[44:45], off
	s_waitcnt vmcnt(0)
	v_mul_f64 v[38:39], v[42:43], v[38:39]
	v_mul_f64 v[38:39], v[38:39], v[40:41]
	v_lshlrev_b64 v[40:41], 3, v[0:1]
	v_add_nc_u32_e32 v0, s4, v0
	v_add_co_u32 v40, vcc_lo, s0, v40
	v_add_co_ci_u32_e64 v41, null, s1, v41, vcc_lo
	v_lshlrev_b64 v[42:43], 3, v[0:1]
	v_add_nc_u32_e32 v0, s4, v0
	v_add_co_u32 v42, vcc_lo, s0, v42
	v_add_co_ci_u32_e64 v43, null, s1, v43, vcc_lo
	global_store_dwordx2 v[44:45], v[38:39], off
	global_load_dwordx2 v[38:39], v[40:41], off
	s_waitcnt vmcnt(0)
	v_mul_f64 v[38:39], v[38:39], v[60:61]
	v_mul_f64 v[38:39], v[38:39], v[62:63]
	global_store_dwordx2 v[40:41], v[38:39], off
	global_load_dwordx2 v[38:39], v[42:43], off
	v_lshlrev_b64 v[40:41], 3, v[0:1]
	v_add_nc_u32_e32 v0, s4, v0
	v_add_co_u32 v40, vcc_lo, s0, v40
	v_add_co_ci_u32_e64 v41, null, s1, v41, vcc_lo
	s_waitcnt vmcnt(0)
	v_mul_f64 v[38:39], v[38:39], v[20:21]
	v_mul_f64 v[38:39], v[38:39], v[8:9]
	global_store_dwordx2 v[42:43], v[38:39], off
	global_load_dwordx2 v[38:39], v[40:41], off
	s_waitcnt vmcnt(0)
	v_mul_f64 v[38:39], v[38:39], v[60:61]
	v_mul_f64 v[16:17], v[38:39], v[16:17]
	v_lshlrev_b64 v[38:39], 3, v[0:1]
	v_add_nc_u32_e32 v0, s4, v0
	v_add_co_u32 v38, vcc_lo, s0, v38
	v_add_co_ci_u32_e64 v39, null, s1, v39, vcc_lo
	v_lshlrev_b64 v[42:43], 3, v[0:1]
	v_add_nc_u32_e32 v0, s4, v0
	v_add_co_u32 v42, vcc_lo, s0, v42
	v_add_co_ci_u32_e64 v43, null, s1, v43, vcc_lo
	global_store_dwordx2 v[40:41], v[16:17], off
	global_load_dwordx2 v[16:17], v[38:39], off
	s_clause 0x1
	global_load_dwordx2 v[40:41], v[2:3], off
	global_load_dwordx2 v[2:3], v[2:3], off
	s_waitcnt vmcnt(2)
	v_mul_f64 v[16:17], v[16:17], v[36:37]
	v_mul_f64 v[16:17], v[16:17], v[68:69]
	s_waitcnt vmcnt(1)
	v_mul_f64 v[16:17], v[16:17], v[40:41]
	global_store_dwordx2 v[38:39], v[16:17], off
	global_load_dwordx2 v[16:17], v[42:43], off
	v_lshlrev_b64 v[38:39], 3, v[0:1]
	v_add_nc_u32_e32 v0, s4, v0
	v_add_co_u32 v38, vcc_lo, s0, v38
	v_add_co_ci_u32_e64 v39, null, s1, v39, vcc_lo
	s_waitcnt vmcnt(0)
	v_mul_f64 v[16:17], v[16:17], v[20:21]
	v_mul_f64 v[16:17], v[16:17], v[62:63]
	global_store_dwordx2 v[42:43], v[16:17], off
	global_load_dwordx2 v[16:17], v[38:39], off
	s_waitcnt vmcnt(0)
	v_mul_f64 v[16:17], v[16:17], v[20:21]
	v_lshlrev_b64 v[20:21], 3, v[0:1]
	v_add_nc_u32_e32 v0, s4, v0
	v_add_co_u32 v20, vcc_lo, s0, v20
	v_add_co_ci_u32_e64 v21, null, s1, v21, vcc_lo
	v_mul_f64 v[16:17], v[16:17], v[58:59]
	global_store_dwordx2 v[38:39], v[16:17], off
	global_load_dwordx2 v[16:17], v[20:21], off
	s_waitcnt vmcnt(0)
	v_mul_f64 v[16:17], v[16:17], v[32:33]
	v_lshlrev_b64 v[32:33], 3, v[0:1]
	v_add_nc_u32_e32 v0, s4, v0
	v_add_co_u32 v32, vcc_lo, s0, v32
	v_add_co_ci_u32_e64 v33, null, s1, v33, vcc_lo
	global_store_dwordx2 v[20:21], v[16:17], off
	global_load_dwordx2 v[16:17], v[32:33], off
	v_lshlrev_b64 v[20:21], 3, v[0:1]
	v_add_nc_u32_e32 v0, s4, v0
	v_add_co_u32 v20, vcc_lo, s0, v20
	v_add_co_ci_u32_e64 v21, null, s1, v21, vcc_lo
	s_waitcnt vmcnt(0)
	v_mul_f64 v[16:17], v[16:17], v[40:41]
	global_store_dwordx2 v[32:33], v[16:17], off
	global_load_dwordx2 v[16:17], v[20:21], off
	v_lshlrev_b64 v[32:33], 3, v[0:1]
	v_add_nc_u32_e32 v0, s4, v0
	v_add_co_u32 v32, vcc_lo, s0, v32
	v_add_co_ci_u32_e64 v33, null, s1, v33, vcc_lo
	s_waitcnt vmcnt(0)
	v_mul_f64 v[16:17], v[16:17], v[12:13]
	;; [unrolled: 8-line block ×6, first 2 shown]
	global_store_dwordx2 v[20:21], v[16:17], off
	global_load_dwordx2 v[16:17], v[32:33], off
	s_waitcnt vmcnt(0)
	v_mul_f64 v[16:17], v[16:17], v[18:19]
	v_mul_f64 v[8:9], v[16:17], v[8:9]
	v_lshlrev_b64 v[16:17], 3, v[0:1]
	v_add_nc_u32_e32 v0, s4, v0
	v_add_co_u32 v16, vcc_lo, s0, v16
	v_add_co_ci_u32_e64 v17, null, s1, v17, vcc_lo
	v_lshlrev_b64 v[20:21], 3, v[0:1]
	v_add_nc_u32_e32 v0, s5, v0
	v_add_co_u32 v20, vcc_lo, s0, v20
	v_add_co_ci_u32_e64 v21, null, s1, v21, vcc_lo
	global_store_dwordx2 v[32:33], v[8:9], off
	global_load_dwordx2 v[8:9], v[16:17], off
	s_waitcnt vmcnt(0)
	v_mul_f64 v[8:9], v[8:9], v[40:41]
	v_mul_f64 v[8:9], v[8:9], v[22:23]
	global_store_dwordx2 v[16:17], v[8:9], off
	global_load_dwordx2 v[8:9], v[20:21], off
	v_lshlrev_b64 v[16:17], 3, v[0:1]
	v_add_nc_u32_e32 v0, s4, v0
	v_add_co_u32 v16, vcc_lo, s0, v16
	v_add_co_ci_u32_e64 v17, null, s1, v17, vcc_lo
	s_waitcnt vmcnt(0)
	v_mul_f64 v[8:9], v[8:9], v[18:19]
	v_mul_f64 v[8:9], v[8:9], v[58:59]
	global_store_dwordx2 v[20:21], v[8:9], off
	global_load_dwordx2 v[8:9], v[16:17], off
	s_clause 0x1
	global_load_dwordx2 v[20:21], v[6:7], off
	global_load_dwordx2 v[6:7], v[6:7], off
	s_waitcnt vmcnt(2)
	v_mul_f64 v[8:9], v[8:9], v[26:27]
	v_lshlrev_b64 v[26:27], 3, v[0:1]
	v_add_nc_u32_e32 v0, s4, v0
	v_add_co_u32 v26, vcc_lo, s0, v26
	v_add_co_ci_u32_e64 v27, null, s1, v27, vcc_lo
	s_waitcnt vmcnt(1)
	v_mul_f64 v[8:9], v[8:9], v[20:21]
	global_store_dwordx2 v[16:17], v[8:9], off
	global_load_dwordx2 v[8:9], v[26:27], off
	v_lshlrev_b64 v[16:17], 3, v[0:1]
	v_add_nc_u32_e32 v0, s5, v0
	v_add_co_u32 v16, vcc_lo, s0, v16
	v_add_co_ci_u32_e64 v17, null, s1, v17, vcc_lo
	s_waitcnt vmcnt(0)
	v_mul_f64 v[8:9], v[8:9], v[34:35]
	v_mul_f64 v[8:9], v[8:9], v[24:25]
	global_store_dwordx2 v[26:27], v[8:9], off
	global_load_dwordx2 v[8:9], v[16:17], off
	global_load_dwordx2 v[14:15], v[14:15], off
	s_waitcnt vmcnt(1)
	v_mul_f64 v[8:9], v[8:9], v[46:47]
	v_mul_f64 v[8:9], v[8:9], v[20:21]
	s_waitcnt vmcnt(0)
	v_mul_f64 v[8:9], v[8:9], v[14:15]
	v_lshlrev_b64 v[14:15], 3, v[0:1]
	v_add_nc_u32_e32 v0, s4, v0
	v_add_co_u32 v14, vcc_lo, s0, v14
	v_add_co_ci_u32_e64 v15, null, s1, v15, vcc_lo
	global_store_dwordx2 v[16:17], v[8:9], off
	global_load_dwordx2 v[8:9], v[14:15], off
	v_lshlrev_b64 v[16:17], 3, v[0:1]
	v_add_nc_u32_e32 v0, s4, v0
	v_add_co_u32 v16, vcc_lo, s0, v16
	v_add_co_ci_u32_e64 v17, null, s1, v17, vcc_lo
	s_waitcnt vmcnt(0)
	v_mul_f64 v[8:9], v[8:9], v[34:35]
	v_mul_f64 v[8:9], v[8:9], v[2:3]
	global_store_dwordx2 v[14:15], v[8:9], off
	global_load_dwordx2 v[8:9], v[16:17], off
	v_lshlrev_b64 v[14:15], 3, v[0:1]
	v_add_nc_u32_e32 v0, s4, v0
	v_add_co_u32 v14, vcc_lo, s0, v14
	v_add_co_ci_u32_e64 v15, null, s1, v15, vcc_lo
	s_waitcnt vmcnt(0)
	v_mul_f64 v[8:9], v[8:9], v[34:35]
	v_mul_f64 v[8:9], v[8:9], v[12:13]
	;; [unrolled: 9-line block ×4, first 2 shown]
	global_store_dwordx2 v[16:17], v[8:9], off
	global_load_dwordx2 v[8:9], v[14:15], off
	v_lshlrev_b64 v[16:17], 3, v[0:1]
	v_add_nc_u32_e32 v0, s4, v0
	v_add_co_u32 v16, vcc_lo, s0, v16
	v_add_co_ci_u32_e64 v17, null, s1, v17, vcc_lo
	s_waitcnt vmcnt(0)
	v_mul_f64 v[8:9], v[8:9], v[20:21]
	global_store_dwordx2 v[14:15], v[8:9], off
	global_load_dwordx2 v[8:9], v[16:17], off
	v_lshlrev_b64 v[14:15], 3, v[0:1]
	v_add_nc_u32_e32 v0, s4, v0
	v_add_co_u32 v14, vcc_lo, s0, v14
	v_add_co_ci_u32_e64 v15, null, s1, v15, vcc_lo
	s_waitcnt vmcnt(0)
	v_mul_f64 v[8:9], v[8:9], v[18:19]
	v_mul_f64 v[8:9], v[8:9], v[24:25]
	global_store_dwordx2 v[16:17], v[8:9], off
	global_load_dwordx2 v[8:9], v[14:15], off
	v_lshlrev_b64 v[16:17], 3, v[0:1]
	v_add_nc_u32_e32 v0, s4, v0
	v_add_co_u32 v16, vcc_lo, s0, v16
	v_add_co_ci_u32_e64 v17, null, s1, v17, vcc_lo
	s_waitcnt vmcnt(0)
	v_mul_f64 v[8:9], v[8:9], v[22:23]
	global_store_dwordx2 v[14:15], v[8:9], off
	global_load_dwordx2 v[8:9], v[16:17], off
	s_waitcnt vmcnt(0)
	v_mul_f64 v[8:9], v[8:9], v[18:19]
	v_mul_f64 v[8:9], v[8:9], v[12:13]
	v_lshlrev_b64 v[12:13], 3, v[0:1]
	v_add_nc_u32_e32 v0, s4, v0
	v_add_co_u32 v12, vcc_lo, s0, v12
	v_add_co_ci_u32_e64 v13, null, s1, v13, vcc_lo
	global_store_dwordx2 v[16:17], v[8:9], off
	global_load_dwordx2 v[8:9], v[12:13], off
	s_waitcnt vmcnt(0)
	v_mul_f64 v[8:9], v[8:9], v[18:19]
	v_mul_f64 v[8:9], v[8:9], v[10:11]
	v_lshlrev_b64 v[10:11], 3, v[0:1]
	v_add_nc_u32_e32 v0, s4, v0
	v_add_co_u32 v10, vcc_lo, s0, v10
	v_add_co_ci_u32_e64 v11, null, s1, v11, vcc_lo
	global_store_dwordx2 v[12:13], v[8:9], off
	global_load_dwordx2 v[8:9], v[10:11], off
	global_load_dwordx2 v[4:5], v[4:5], off
	s_waitcnt vmcnt(1)
	v_mul_f64 v[2:3], v[8:9], v[2:3]
	s_waitcnt vmcnt(0)
	v_mul_f64 v[2:3], v[2:3], v[4:5]
	v_lshlrev_b64 v[4:5], 3, v[0:1]
	v_add_nc_u32_e32 v0, s4, v0
	v_add_co_u32 v4, vcc_lo, s0, v4
	v_add_co_ci_u32_e64 v5, null, s1, v5, vcc_lo
	v_lshlrev_b64 v[0:1], 3, v[0:1]
	v_add_co_u32 v0, vcc_lo, s0, v0
	v_add_co_ci_u32_e64 v1, null, s1, v1, vcc_lo
	global_store_dwordx2 v[10:11], v[2:3], off
	global_load_dwordx2 v[2:3], v[4:5], off
	s_waitcnt vmcnt(0)
	v_mul_f64 v[2:3], v[2:3], v[30:31]
	v_mul_f64 v[2:3], v[2:3], v[18:19]
	global_store_dwordx2 v[4:5], v[2:3], off
	global_load_dwordx2 v[2:3], v[0:1], off
	s_waitcnt vmcnt(0)
	v_mul_f64 v[2:3], v[2:3], v[34:35]
	v_mul_f64 v[2:3], v[2:3], v[6:7]
	global_store_dwordx2 v[0:1], v[2:3], off
	s_endpgm
	.section	.rodata,"a",@progbits
	.p2align	6, 0x0
	.amdhsa_kernel _Z12ratx4_kernelIdEvPKT_PS0_S3_
		.amdhsa_group_segment_fixed_size 0
		.amdhsa_private_segment_fixed_size 0
		.amdhsa_kernarg_size 280
		.amdhsa_user_sgpr_count 6
		.amdhsa_user_sgpr_private_segment_buffer 1
		.amdhsa_user_sgpr_dispatch_ptr 0
		.amdhsa_user_sgpr_queue_ptr 0
		.amdhsa_user_sgpr_kernarg_segment_ptr 1
		.amdhsa_user_sgpr_dispatch_id 0
		.amdhsa_user_sgpr_flat_scratch_init 0
		.amdhsa_user_sgpr_private_segment_size 0
		.amdhsa_wavefront_size32 1
		.amdhsa_uses_dynamic_stack 0
		.amdhsa_system_sgpr_private_segment_wavefront_offset 0
		.amdhsa_system_sgpr_workgroup_id_x 1
		.amdhsa_system_sgpr_workgroup_id_y 0
		.amdhsa_system_sgpr_workgroup_id_z 0
		.amdhsa_system_sgpr_workgroup_info 0
		.amdhsa_system_vgpr_workitem_id 0
		.amdhsa_next_free_vgpr 125
		.amdhsa_next_free_sgpr 9
		.amdhsa_reserve_vcc 1
		.amdhsa_reserve_flat_scratch 0
		.amdhsa_float_round_mode_32 0
		.amdhsa_float_round_mode_16_64 0
		.amdhsa_float_denorm_mode_32 3
		.amdhsa_float_denorm_mode_16_64 3
		.amdhsa_dx10_clamp 1
		.amdhsa_ieee_mode 1
		.amdhsa_fp16_overflow 0
		.amdhsa_workgroup_processor_mode 1
		.amdhsa_memory_ordered 1
		.amdhsa_forward_progress 1
		.amdhsa_shared_vgpr_count 0
		.amdhsa_exception_fp_ieee_invalid_op 0
		.amdhsa_exception_fp_denorm_src 0
		.amdhsa_exception_fp_ieee_div_zero 0
		.amdhsa_exception_fp_ieee_overflow 0
		.amdhsa_exception_fp_ieee_underflow 0
		.amdhsa_exception_fp_ieee_inexact 0
		.amdhsa_exception_int_div_zero 0
	.end_amdhsa_kernel
	.section	.text._Z12ratx4_kernelIdEvPKT_PS0_S3_,"axG",@progbits,_Z12ratx4_kernelIdEvPKT_PS0_S3_,comdat
.Lfunc_end42:
	.size	_Z12ratx4_kernelIdEvPKT_PS0_S3_, .Lfunc_end42-_Z12ratx4_kernelIdEvPKT_PS0_S3_
                                        ; -- End function
	.set _Z12ratx4_kernelIdEvPKT_PS0_S3_.num_vgpr, 125
	.set _Z12ratx4_kernelIdEvPKT_PS0_S3_.num_agpr, 0
	.set _Z12ratx4_kernelIdEvPKT_PS0_S3_.numbered_sgpr, 9
	.set _Z12ratx4_kernelIdEvPKT_PS0_S3_.num_named_barrier, 0
	.set _Z12ratx4_kernelIdEvPKT_PS0_S3_.private_seg_size, 0
	.set _Z12ratx4_kernelIdEvPKT_PS0_S3_.uses_vcc, 1
	.set _Z12ratx4_kernelIdEvPKT_PS0_S3_.uses_flat_scratch, 0
	.set _Z12ratx4_kernelIdEvPKT_PS0_S3_.has_dyn_sized_stack, 0
	.set _Z12ratx4_kernelIdEvPKT_PS0_S3_.has_recursion, 0
	.set _Z12ratx4_kernelIdEvPKT_PS0_S3_.has_indirect_call, 0
	.section	.AMDGPU.csdata,"",@progbits
; Kernel info:
; codeLenInByte = 13372
; TotalNumSgprs: 11
; NumVgprs: 125
; ScratchSize: 0
; MemoryBound: 1
; FloatMode: 240
; IeeeMode: 1
; LDSByteSize: 0 bytes/workgroup (compile time only)
; SGPRBlocks: 0
; VGPRBlocks: 15
; NumSGPRsForWavesPerEU: 11
; NumVGPRsForWavesPerEU: 125
; Occupancy: 8
; WaveLimiterHint : 1
; COMPUTE_PGM_RSRC2:SCRATCH_EN: 0
; COMPUTE_PGM_RSRC2:USER_SGPR: 6
; COMPUTE_PGM_RSRC2:TRAP_HANDLER: 0
; COMPUTE_PGM_RSRC2:TGID_X_EN: 1
; COMPUTE_PGM_RSRC2:TGID_Y_EN: 0
; COMPUTE_PGM_RSRC2:TGID_Z_EN: 0
; COMPUTE_PGM_RSRC2:TIDIG_COMP_CNT: 0
	.section	.text._Z11qssa_kernelIdEvPT_S1_S1_,"axG",@progbits,_Z11qssa_kernelIdEvPT_S1_S1_,comdat
	.protected	_Z11qssa_kernelIdEvPT_S1_S1_ ; -- Begin function _Z11qssa_kernelIdEvPT_S1_S1_
	.globl	_Z11qssa_kernelIdEvPT_S1_S1_
	.p2align	8
	.type	_Z11qssa_kernelIdEvPT_S1_S1_,@function
_Z11qssa_kernelIdEvPT_S1_S1_:           ; @_Z11qssa_kernelIdEvPT_S1_S1_
; %bb.0:
	s_mov_b64 s[22:23], s[2:3]
	s_mov_b64 s[20:21], s[0:1]
	v_mov_b32_e32 v25, 0
	s_add_u32 s20, s20, s7
	s_clause 0x3
	s_load_dwordx4 s[0:3], s[4:5], 0x0
	s_load_dwordx2 s[8:9], s[4:5], 0x10
	s_load_dword s7, s[4:5], 0x18
	s_load_dword s4, s[4:5], 0x24
	s_addc_u32 s21, s21, 0
	s_waitcnt lgkmcnt(0)
	s_and_b32 s4, s4, 0xffff
	s_mul_i32 s5, s7, s4
	s_mul_i32 s6, s6, s4
	;; [unrolled: 1-line block ×4, first 2 shown]
	v_add3_u32 v24, s7, s6, v0
	s_mov_b32 s6, 0
	s_mul_i32 s10, s5, 37
	s_mov_b32 s7, s6
	v_mov_b32_e32 v6, s6
	v_lshlrev_b64 v[2:3], 3, v[24:25]
	v_add_nc_u32_e32 v24, s5, v24
	v_mov_b32_e32 v7, s7
	s_mul_i32 s18, s5, 10
	s_mul_i32 s14, s5, 6
	s_mul_i32 s7, s5, 0xffffffc7
	v_add_co_u32 v4, vcc_lo, s0, v2
	v_lshlrev_b64 v[14:15], 3, v[24:25]
	v_add_co_ci_u32_e64 v5, null, s1, v3, vcc_lo
	s_lshl_b32 s6, s5, 1
	s_mul_i32 s12, s5, 3
	s_mul_i32 s13, s5, 30
	global_store_dwordx2 v[4:5], v[6:7], off
	v_add_co_u32 v4, vcc_lo, s0, v14
	v_add_co_ci_u32_e64 v5, null, s1, v15, vcc_lo
	s_lshl_b32 s4, s5, 3
	s_mul_i32 s15, s5, 11
	s_mul_i32 s16, s5, 17
	global_store_dwordx2 v[4:5], v[6:7], off
	v_mad_u64_u32 v[4:5], null, 0x55, s5, v[24:25]
	v_mov_b32_e32 v5, v25
	s_mul_i32 s17, s5, 31
	v_lshlrev_b64 v[34:35], 3, v[4:5]
	v_mad_u64_u32 v[4:5], null, s5, 36, v[4:5]
	v_mov_b32_e32 v5, v25
	v_add_co_u32 v8, vcc_lo, s0, v34
	v_add_co_ci_u32_e64 v9, null, s1, v35, vcc_lo
	v_add_nc_u32_e32 v24, s11, v4
	v_lshlrev_b64 v[32:33], 3, v[4:5]
	global_store_dwordx2 v[8:9], v[6:7], off
	v_lshlrev_b64 v[104:105], 3, v[24:25]
	v_add_co_u32 v8, vcc_lo, s0, v32
	v_add_co_ci_u32_e64 v9, null, s1, v33, vcc_lo
	v_add_co_u32 v4, vcc_lo, s2, v104
	v_add_co_ci_u32_e64 v5, null, s3, v105, vcc_lo
	global_store_dwordx2 v[8:9], v[6:7], off
	global_store_dwordx2 v[4:5], v[6:7], off
	v_mad_u64_u32 v[4:5], null, s5, 12, v[24:25]
	v_mov_b32_e32 v5, v25
	v_lshlrev_b64 v[0:1], 3, v[4:5]
	buffer_store_dword v0, off, s[20:23], 0 offset:24 ; 4-byte Folded Spill
	buffer_store_dword v1, off, s[20:23], 0 offset:28 ; 4-byte Folded Spill
	v_add_co_u32 v8, vcc_lo, s0, v0
	v_add_co_ci_u32_e64 v9, null, s1, v1, vcc_lo
	global_store_dwordx2 v[8:9], v[6:7], off
	v_mad_u64_u32 v[6:7], null, 0xffffff54, s5, v[4:5]
	v_mov_b32_e32 v7, v25
	v_add_nc_u32_e32 v24, s5, v6
	v_lshlrev_b64 v[4:5], 3, v[6:7]
	v_lshlrev_b64 v[10:11], 3, v[24:25]
	v_add_nc_u32_e32 v24, s5, v24
	v_add_co_u32 v7, vcc_lo, s0, v4
	v_add_co_ci_u32_e64 v8, null, s1, v5, vcc_lo
	v_add_co_u32 v46, vcc_lo, s0, v10
	v_add_co_ci_u32_e64 v47, null, s1, v11, vcc_lo
	s_clause 0x1
	global_load_dwordx2 v[7:8], v[7:8], off
	global_load_dwordx2 v[12:13], v[46:47], off
	s_waitcnt vmcnt(0)
	v_add_f64 v[8:9], v[7:8], v[12:13]
	v_lshlrev_b64 v[12:13], 3, v[24:25]
	v_add_nc_u32_e32 v24, s5, v24
	v_add_co_u32 v6, vcc_lo, s0, v12
	v_add_co_ci_u32_e64 v7, null, s1, v13, vcc_lo
	v_lshlrev_b64 v[22:23], 3, v[24:25]
	v_add_nc_u32_e32 v24, s5, v24
	global_load_dwordx2 v[6:7], v[6:7], off
	v_add_co_u32 v18, vcc_lo, s0, v22
	v_add_co_ci_u32_e64 v19, null, s1, v23, vcc_lo
	v_lshlrev_b64 v[28:29], 3, v[24:25]
	v_add_nc_u32_e32 v24, s5, v24
	global_load_dwordx2 v[18:19], v[18:19], off
	v_add_co_u32 v30, vcc_lo, s0, v28
	v_add_co_ci_u32_e64 v31, null, s1, v29, vcc_lo
	v_lshlrev_b64 v[36:37], 3, v[24:25]
	v_add_nc_u32_e32 v24, s5, v24
	v_lshlrev_b64 v[20:21], 3, v[24:25]
	v_add_nc_u32_e32 v24, s10, v24
	;; [unrolled: 2-line block ×3, first 2 shown]
	v_lshlrev_b64 v[26:27], 3, v[24:25]
	s_waitcnt vmcnt(1)
	v_add_f64 v[8:9], v[8:9], v[6:7]
	s_waitcnt vmcnt(0)
	v_add_f64 v[8:9], v[8:9], v[18:19]
	global_load_dwordx2 v[18:19], v[30:31], off
	s_waitcnt vmcnt(0)
	v_add_f64 v[8:9], v[8:9], v[18:19]
	v_add_co_u32 v18, vcc_lo, s0, v36
	v_add_co_ci_u32_e64 v19, null, s1, v37, vcc_lo
	v_add_co_u32 v16, vcc_lo, s0, v20
	v_add_co_ci_u32_e64 v17, null, s1, v21, vcc_lo
	global_load_dwordx2 v[18:19], v[18:19], off
	s_waitcnt vmcnt(0)
	v_add_f64 v[8:9], v[8:9], v[18:19]
	global_load_dwordx2 v[18:19], v[16:17], off
	s_waitcnt vmcnt(0)
	v_add_f64 v[8:9], v[8:9], v[18:19]
	v_add_co_u32 v18, vcc_lo, s0, v54
	v_add_co_ci_u32_e64 v19, null, s1, v55, vcc_lo
	v_add_co_u32 v0, vcc_lo, s0, v26
	v_add_co_ci_u32_e64 v1, null, s1, v27, vcc_lo
	global_load_dwordx2 v[18:19], v[18:19], off
	buffer_store_dword v0, off, s[20:23], 0 offset:16 ; 4-byte Folded Spill
	buffer_store_dword v1, off, s[20:23], 0 offset:20 ; 4-byte Folded Spill
	s_waitcnt vmcnt(0)
	v_add_f64 v[8:9], v[8:9], v[18:19]
	global_load_dwordx2 v[18:19], v[0:1], off
	s_waitcnt vmcnt(0)
	v_add_f64 v[8:9], v[8:9], v[18:19]
	v_mad_u64_u32 v[18:19], null, s5, 18, v[24:25]
	v_mov_b32_e32 v19, v25
	v_lshlrev_b64 v[38:39], 3, v[18:19]
	v_add_nc_u32_e32 v24, s14, v18
	v_add_co_u32 v42, vcc_lo, s0, v38
	v_add_co_ci_u32_e64 v43, null, s1, v39, vcc_lo
	v_lshlrev_b64 v[18:19], 3, v[24:25]
	v_add_nc_u32_e32 v24, s7, v24
	global_load_dwordx2 v[42:43], v[42:43], off
	v_lshlrev_b64 v[44:45], 3, v[24:25]
	v_add_nc_u32_e32 v24, s14, v24
	v_lshlrev_b64 v[48:49], 3, v[24:25]
	s_waitcnt vmcnt(0)
	v_add_f64 v[8:9], v[8:9], v[42:43]
	v_add_co_u32 v42, vcc_lo, s0, v18
	v_add_co_ci_u32_e64 v43, null, s1, v19, vcc_lo
	global_load_dwordx2 v[42:43], v[42:43], off
	s_waitcnt vmcnt(0)
	v_add_f64 v[42:43], v[8:9], v[42:43]
	v_add_co_u32 v8, vcc_lo, s2, v44
	v_add_co_ci_u32_e64 v9, null, s3, v45, vcc_lo
	v_add_co_u32 v82, vcc_lo, s2, v48
	v_add_co_ci_u32_e64 v83, null, s3, v49, vcc_lo
	s_clause 0x2
	global_load_dwordx2 v[8:9], v[8:9], off
	global_load_dwordx2 v[50:51], v[82:83], off
	;; [unrolled: 1-line block ×3, first 2 shown]
	s_waitcnt vmcnt(2)
	v_add_f64 v[42:43], v[42:43], v[8:9]
	v_add_f64 v[6:7], v[6:7], v[8:9]
	s_waitcnt vmcnt(1)
	v_add_f64 v[42:43], v[42:43], v[50:51]
	v_add_co_u32 v50, vcc_lo, s2, v4
	v_add_co_ci_u32_e64 v51, null, s3, v5, vcc_lo
	v_add_co_u32 v52, vcc_lo, s2, v22
	v_add_co_ci_u32_e64 v53, null, s3, v23, vcc_lo
	s_clause 0x1
	global_load_dwordx2 v[50:51], v[50:51], off
	global_load_dwordx2 v[52:53], v[52:53], off
	s_waitcnt vmcnt(0)
	v_add_f64 v[50:51], v[50:51], v[52:53]
	v_add_co_u32 v52, vcc_lo, s2, v36
	v_add_co_ci_u32_e64 v53, null, s3, v37, vcc_lo
	v_add_co_u32 v2, vcc_lo, s2, v2
	v_add_co_ci_u32_e64 v3, null, s3, v3, vcc_lo
	s_clause 0x1
	global_load_dwordx2 v[52:53], v[52:53], off
	global_load_dwordx2 v[60:61], v[2:3], off
	s_waitcnt vmcnt(1)
	v_add_f64 v[50:51], v[50:51], v[52:53]
	s_waitcnt vmcnt(0)
	v_add_f64 v[2:3], v[50:51], v[60:61]
	v_add_co_u32 v50, vcc_lo, s2, v54
	v_add_co_ci_u32_e64 v51, null, s3, v55, vcc_lo
	v_add_co_u32 v38, vcc_lo, s2, v38
	v_add_co_ci_u32_e64 v39, null, s3, v39, vcc_lo
	global_load_dwordx2 v[50:51], v[50:51], off
	v_add_co_u32 v18, vcc_lo, s2, v18
	global_load_dwordx2 v[38:39], v[38:39], off
	v_add_co_ci_u32_e64 v19, null, s3, v19, vcc_lo
	global_load_dwordx2 v[18:19], v[18:19], off
	s_waitcnt vmcnt(2)
	v_add_f64 v[2:3], v[2:3], v[50:51]
	s_waitcnt vmcnt(1)
	v_add_f64 v[2:3], v[2:3], v[38:39]
	;; [unrolled: 2-line block ×3, first 2 shown]
	v_div_scale_f64 v[18:19], null, v[42:43], v[42:43], 1.0
	v_rcp_f64_e32 v[38:39], v[18:19]
	v_fma_f64 v[50:51], -v[18:19], v[38:39], 1.0
	v_fma_f64 v[38:39], v[38:39], v[50:51], v[38:39]
	v_fma_f64 v[50:51], -v[18:19], v[38:39], 1.0
	v_fma_f64 v[38:39], v[38:39], v[50:51], v[38:39]
	v_div_scale_f64 v[50:51], vcc_lo, 1.0, v[42:43], 1.0
	v_mul_f64 v[52:53], v[50:51], v[38:39]
	v_fma_f64 v[18:19], -v[18:19], v[52:53], v[50:51]
	v_div_fmas_f64 v[18:19], v[18:19], v[38:39], v[52:53]
	v_div_fixup_f64 v[42:43], v[18:19], v[42:43], 1.0
	v_mad_u64_u32 v[18:19], null, 0xffffffcf, s5, v[24:25]
	v_mov_b32_e32 v19, v25
	v_lshlrev_b64 v[38:39], 3, v[18:19]
	v_add_nc_u32_e32 v24, s6, v18
	v_add_co_u32 v38, vcc_lo, s8, v38
	v_add_co_ci_u32_e64 v39, null, s9, v39, vcc_lo
	v_lshlrev_b64 v[18:19], 3, v[24:25]
	v_add_nc_u32_e32 v24, s5, v24
	v_mul_f64 v[2:3], v[42:43], v[2:3]
	global_store_dwordx2 v[38:39], v[2:3], off
	v_add_co_u32 v2, vcc_lo, s2, v12
	v_add_co_ci_u32_e64 v3, null, s3, v13, vcc_lo
	v_lshlrev_b64 v[38:39], 3, v[24:25]
	v_add_nc_u32_e32 v24, s5, v24
	global_load_dwordx2 v[50:51], v[2:3], off
	v_add_co_u32 v2, vcc_lo, s0, v44
	v_add_co_ci_u32_e64 v3, null, s1, v45, vcc_lo
	v_add_co_u32 v18, vcc_lo, s8, v18
	v_add_co_ci_u32_e64 v19, null, s9, v19, vcc_lo
	global_load_dwordx2 v[2:3], v[2:3], off
	s_waitcnt vmcnt(0)
	v_add_f64 v[12:13], v[50:51], v[2:3]
	v_mul_f64 v[12:13], v[42:43], v[12:13]
	global_store_dwordx2 v[18:19], v[12:13], off
	v_add_co_u32 v12, vcc_lo, s0, v48
	v_add_co_ci_u32_e64 v13, null, s1, v49, vcc_lo
	v_add_co_u32 v38, vcc_lo, s8, v38
	v_add_co_ci_u32_e64 v39, null, s9, v39, vcc_lo
	global_load_dwordx2 v[18:19], v[12:13], off
	s_waitcnt vmcnt(0)
	v_mul_f64 v[12:13], v[42:43], v[18:19]
	global_store_dwordx2 v[38:39], v[12:13], off
	v_add_co_u32 v38, vcc_lo, s2, v10
	v_add_co_ci_u32_e64 v39, null, s3, v11, vcc_lo
	v_add_co_u32 v84, vcc_lo, s2, v28
	v_add_co_ci_u32_e64 v85, null, s3, v29, vcc_lo
	global_load_dwordx2 v[12:13], v[38:39], off
	v_add_co_u32 v86, vcc_lo, s2, v20
	global_load_dwordx2 v[44:45], v[84:85], off
	v_add_co_ci_u32_e64 v87, null, s3, v21, vcc_lo
	global_load_dwordx2 v[20:21], v[86:87], off
	s_waitcnt vmcnt(1)
	v_add_f64 v[12:13], v[12:13], v[44:45]
	s_waitcnt vmcnt(0)
	v_add_f64 v[12:13], v[12:13], v[20:21]
	v_lshlrev_b64 v[20:21], 3, v[24:25]
	v_add_nc_u32_e32 v24, s12, v24
	v_add_co_u32 v20, vcc_lo, s8, v20
	v_add_co_ci_u32_e64 v21, null, s9, v21, vcc_lo
	v_add_co_u32 v52, vcc_lo, s2, v26
	v_add_co_ci_u32_e64 v53, null, s3, v27, vcc_lo
	v_mul_f64 v[12:13], v[42:43], v[12:13]
	global_store_dwordx2 v[20:21], v[12:13], off
	global_load_dwordx2 v[12:13], v[52:53], off
	v_lshlrev_b64 v[20:21], 3, v[24:25]
	v_add_nc_u32_e32 v24, s13, v24
	v_lshlrev_b64 v[26:27], 3, v[24:25]
	v_add_nc_u32_e32 v24, s5, v24
	v_add_co_u32 v20, vcc_lo, s8, v20
	v_add_co_ci_u32_e64 v21, null, s9, v21, vcc_lo
	v_lshlrev_b64 v[70:71], 3, v[24:25]
	v_add_nc_u32_e32 v24, s5, v24
	v_lshlrev_b64 v[72:73], 3, v[24:25]
	v_add_nc_u32_e32 v24, s5, v24
	s_waitcnt vmcnt(0)
	v_mul_f64 v[12:13], v[42:43], v[12:13]
	v_lshlrev_b64 v[42:43], 3, v[24:25]
	v_add_nc_u32_e32 v24, s5, v24
	v_lshlrev_b64 v[64:65], 3, v[24:25]
	v_add_nc_u32_e32 v24, s5, v24
	;; [unrolled: 2-line block ×4, first 2 shown]
	global_store_dwordx2 v[20:21], v[12:13], off
	v_add_co_u32 v12, vcc_lo, s0, v26
	v_add_co_ci_u32_e64 v13, null, s1, v27, vcc_lo
	v_add_co_u32 v20, vcc_lo, s0, v70
	v_add_co_ci_u32_e64 v21, null, s1, v71, vcc_lo
	global_load_dwordx2 v[12:13], v[12:13], off
	v_add_co_u32 v66, vcc_lo, s0, v72
	global_load_dwordx2 v[20:21], v[20:21], off
	v_add_co_ci_u32_e64 v67, null, s1, v73, vcc_lo
	v_add_co_u32 v68, vcc_lo, s0, v42
	v_add_co_ci_u32_e64 v69, null, s1, v43, vcc_lo
	v_lshlrev_b64 v[74:75], 3, v[24:25]
	s_waitcnt vmcnt(0)
	v_add_f64 v[12:13], v[12:13], v[20:21]
	global_load_dwordx2 v[20:21], v[66:67], off
	s_waitcnt vmcnt(0)
	v_add_f64 v[12:13], v[12:13], v[20:21]
	global_load_dwordx2 v[20:21], v[68:69], off
	s_waitcnt vmcnt(0)
	v_add_f64 v[12:13], v[12:13], v[20:21]
	v_add_co_u32 v20, vcc_lo, s0, v64
	v_add_co_ci_u32_e64 v21, null, s1, v65, vcc_lo
	global_load_dwordx2 v[20:21], v[20:21], off
	s_waitcnt vmcnt(0)
	v_add_f64 v[12:13], v[12:13], v[20:21]
	v_add_co_u32 v20, vcc_lo, s0, v62
	v_add_co_ci_u32_e64 v21, null, s1, v63, vcc_lo
	global_load_dwordx2 v[20:21], v[20:21], off
	s_waitcnt vmcnt(0)
	v_add_f64 v[12:13], v[12:13], v[20:21]
	v_mad_u64_u32 v[20:21], null, s5, 35, v[24:25]
	v_mov_b32_e32 v21, v25
	v_add_nc_u32_e32 v24, s11, v20
	v_add_f64 v[2:3], v[2:3], v[12:13]
	v_add_co_u32 v12, vcc_lo, s0, v44
	v_add_co_ci_u32_e64 v13, null, s1, v45, vcc_lo
	global_load_dwordx2 v[12:13], v[12:13], off
	s_waitcnt vmcnt(0)
	v_add_f64 v[2:3], v[12:13], v[2:3]
	v_add_co_u32 v12, vcc_lo, s0, v74
	v_add_co_ci_u32_e64 v13, null, s1, v75, vcc_lo
	global_load_dwordx2 v[12:13], v[12:13], off
	s_waitcnt vmcnt(0)
	v_add_f64 v[2:3], v[12:13], v[2:3]
	v_lshlrev_b64 v[12:13], 3, v[20:21]
	v_add_co_u32 v48, vcc_lo, s0, v12
	v_add_co_ci_u32_e64 v49, null, s1, v13, vcc_lo
	global_load_dwordx2 v[48:49], v[48:49], off
	s_waitcnt vmcnt(0)
	v_add_f64 v[48:49], v[48:49], v[2:3]
	v_lshlrev_b64 v[2:3], 3, v[24:25]
	v_add_nc_u32_e32 v24, s14, v24
	v_add_co_u32 v20, vcc_lo, s0, v2
	v_add_co_ci_u32_e64 v21, null, s1, v3, vcc_lo
	v_lshlrev_b64 v[76:77], 3, v[24:25]
	global_load_dwordx2 v[20:21], v[20:21], off
	s_waitcnt vmcnt(0)
	v_add_f64 v[48:49], v[20:21], v[48:49]
	v_add_co_u32 v20, vcc_lo, s0, v76
	v_add_co_ci_u32_e64 v21, null, s1, v77, vcc_lo
	global_load_dwordx2 v[56:57], v[20:21], off
	s_waitcnt vmcnt(0)
	v_add_f64 v[48:49], v[56:57], v[48:49]
	v_mad_u64_u32 v[56:57], null, s5, 53, v[24:25]
	v_mov_b32_e32 v57, v25
	v_lshlrev_b64 v[78:79], 3, v[56:57]
	v_add_co_u32 v57, vcc_lo, s0, v78
	v_add_co_ci_u32_e64 v58, null, s1, v79, vcc_lo
	global_load_dwordx2 v[57:58], v[57:58], off
	s_waitcnt vmcnt(0)
	v_add_f64 v[48:49], v[57:58], v[48:49]
	v_add_f64 v[48:49], v[50:51], v[48:49]
	v_mad_u64_u32 v[50:51], null, 0xffffff96, s5, v[56:57]
	v_mov_b32_e32 v51, v25
	v_lshlrev_b64 v[80:81], 3, v[50:51]
	v_add_nc_u32_e32 v24, s4, v50
	v_add_co_u32 v88, vcc_lo, s2, v80
	v_add_co_ci_u32_e64 v89, null, s3, v81, vcc_lo
	v_lshlrev_b64 v[96:97], 3, v[24:25]
	v_add_nc_u32_e32 v24, s5, v24
	global_load_dwordx2 v[56:57], v[88:89], off
	v_add_co_u32 v90, vcc_lo, s2, v96
	v_add_co_ci_u32_e64 v91, null, s3, v97, vcc_lo
	global_load_dwordx2 v[50:51], v[90:91], off
	s_waitcnt vmcnt(1)
	v_add_f64 v[48:49], v[56:57], v[48:49]
	s_waitcnt vmcnt(0)
	v_add_f64 v[50:51], v[50:51], v[48:49]
	v_lshlrev_b64 v[48:49], 3, v[24:25]
	v_add_nc_u32_e32 v24, s5, v24
	v_add_co_u32 v92, vcc_lo, s2, v48
	v_add_co_ci_u32_e64 v93, null, s3, v49, vcc_lo
	global_load_dwordx2 v[56:57], v[92:93], off
	s_waitcnt vmcnt(0)
	v_add_f64 v[56:57], v[56:57], v[50:51]
	v_lshlrev_b64 v[50:51], 3, v[24:25]
	v_add_nc_u32_e32 v24, s15, v24
	v_add_co_u32 v94, vcc_lo, s2, v50
	v_add_co_ci_u32_e64 v95, null, s3, v51, vcc_lo
	v_lshlrev_b64 v[98:99], 3, v[24:25]
	v_add_nc_u32_e32 v24, s10, v24
	global_load_dwordx2 v[58:59], v[94:95], off
	v_lshlrev_b64 v[100:101], 3, v[24:25]
	v_add_nc_u32_e32 v24, s14, v24
	v_lshlrev_b64 v[106:107], 3, v[24:25]
	v_add_nc_u32_e32 v24, s6, v24
	v_lshlrev_b64 v[108:109], 3, v[24:25]
	s_waitcnt vmcnt(0)
	v_add_f64 v[56:57], v[58:59], v[56:57]
	v_add_co_u32 v58, vcc_lo, s2, v98
	v_add_co_ci_u32_e64 v59, null, s3, v99, vcc_lo
	global_load_dwordx2 v[58:59], v[58:59], off
	s_waitcnt vmcnt(0)
	v_add_f64 v[56:57], v[58:59], v[56:57]
	v_add_co_u32 v58, vcc_lo, s2, v100
	v_add_co_ci_u32_e64 v59, null, s3, v101, vcc_lo
	global_load_dwordx2 v[58:59], v[58:59], off
	s_waitcnt vmcnt(0)
	v_add_f64 v[58:59], v[58:59], v[56:57]
	v_add_co_u32 v56, vcc_lo, s2, v106
	v_add_co_ci_u32_e64 v57, null, s3, v107, vcc_lo
	global_load_dwordx2 v[102:103], v[56:57], off
	s_waitcnt vmcnt(0)
	v_add_f64 v[102:103], v[102:103], v[58:59]
	v_add_co_u32 v58, vcc_lo, s2, v108
	v_add_co_ci_u32_e64 v59, null, s3, v109, vcc_lo
	global_load_dwordx2 v[110:111], v[58:59], off
	s_waitcnt vmcnt(0)
	v_add_f64 v[102:103], v[110:111], v[102:103]
	v_mad_u64_u32 v[110:111], null, s5, 5, v[24:25]
	v_mov_b32_e32 v111, v25
	v_lshlrev_b64 v[111:112], 3, v[110:111]
	v_add_nc_u32_e32 v24, s13, v110
	s_lshl_b32 s13, s5, 2
	v_add_co_u32 v113, vcc_lo, s2, v111
	v_add_co_ci_u32_e64 v114, null, s3, v112, vcc_lo
	global_load_dwordx2 v[113:114], v[113:114], off
	s_waitcnt vmcnt(0)
	v_add_f64 v[102:103], v[113:114], v[102:103]
	v_lshlrev_b64 v[113:114], 3, v[24:25]
	v_add_co_u32 v115, vcc_lo, s2, v113
	v_add_co_ci_u32_e64 v116, null, s3, v114, vcc_lo
	v_add_co_u32 v26, vcc_lo, s2, v26
	v_add_co_ci_u32_e64 v27, null, s3, v27, vcc_lo
	;; [unrolled: 2-line block ×3, first 2 shown]
	s_clause 0x2
	global_load_dwordx2 v[26:27], v[26:27], off
	global_load_dwordx2 v[115:116], v[115:116], off
	;; [unrolled: 1-line block ×3, first 2 shown]
	s_waitcnt vmcnt(0)
	v_add_f64 v[26:27], v[26:27], v[70:71]
	v_add_co_u32 v70, vcc_lo, s2, v64
	v_add_co_ci_u32_e64 v71, null, s3, v65, vcc_lo
	global_load_dwordx2 v[70:71], v[70:71], off
	s_waitcnt vmcnt(0)
	v_add_f64 v[26:27], v[26:27], v[70:71]
	v_add_co_u32 v70, vcc_lo, s2, v62
	v_add_co_ci_u32_e64 v71, null, s3, v63, vcc_lo
	global_load_dwordx2 v[70:71], v[70:71], off
	;; [unrolled: 5-line block ×4, first 2 shown]
	s_waitcnt vmcnt(0)
	v_add_f64 v[26:27], v[26:27], v[70:71]
	v_add_f64 v[26:27], v[60:61], v[26:27]
	v_add_co_u32 v60, vcc_lo, s2, v14
	v_add_co_ci_u32_e64 v61, null, s3, v15, vcc_lo
	global_load_dwordx2 v[60:61], v[60:61], off
	v_add_f64 v[102:103], v[115:116], v[102:103]
	s_waitcnt vmcnt(0)
	v_add_f64 v[26:27], v[60:61], v[26:27]
	v_add_f64 v[26:27], v[60:61], v[26:27]
	v_add_co_u32 v60, vcc_lo, s0, v98
	v_add_co_ci_u32_e64 v61, null, s1, v99, vcc_lo
	global_load_dwordx2 v[60:61], v[60:61], off
	s_waitcnt vmcnt(0)
	v_add_f64 v[26:27], v[60:61], v[26:27]
	v_add_co_u32 v60, vcc_lo, s2, v12
	v_add_co_ci_u32_e64 v61, null, s3, v13, vcc_lo
	global_load_dwordx2 v[60:61], v[60:61], off
	s_waitcnt vmcnt(0)
	;; [unrolled: 5-line block ×7, first 2 shown]
	v_add_f64 v[26:27], v[60:61], v[26:27]
	v_div_scale_f64 v[60:61], null, v[102:103], v[102:103], 1.0
	v_rcp_f64_e32 v[70:71], v[60:61]
	v_fma_f64 v[74:75], -v[60:61], v[70:71], 1.0
	v_fma_f64 v[70:71], v[70:71], v[74:75], v[70:71]
	v_fma_f64 v[74:75], -v[60:61], v[70:71], 1.0
	v_fma_f64 v[70:71], v[70:71], v[74:75], v[70:71]
	v_div_scale_f64 v[74:75], vcc_lo, 1.0, v[102:103], 1.0
	v_mul_f64 v[78:79], v[74:75], v[70:71]
	v_fma_f64 v[60:61], -v[60:61], v[78:79], v[74:75]
	v_div_fmas_f64 v[60:61], v[60:61], v[70:71], v[78:79]
	v_div_fixup_f64 v[70:71], v[60:61], v[102:103], 1.0
	v_mad_u64_u32 v[60:61], null, 0xffffff76, s5, v[24:25]
	v_mov_b32_e32 v61, v25
	v_add_nc_u32_e32 v24, s5, v60
	v_lshlrev_b64 v[74:75], 3, v[60:61]
	v_lshlrev_b64 v[8:9], 3, v[24:25]
	v_add_nc_u32_e32 v24, s6, v24
	v_add_co_u32 v74, vcc_lo, s8, v74
	v_add_co_ci_u32_e64 v75, null, s9, v75, vcc_lo
	v_add_co_u32 v8, vcc_lo, s8, v8
	v_mul_f64 v[26:27], v[70:71], v[26:27]
	v_mul_f64 v[6:7], v[6:7], v[70:71]
	v_add_co_ci_u32_e64 v9, null, s9, v9, vcc_lo
	global_store_dwordx2 v[74:75], v[26:27], off
	global_store_dwordx2 v[8:9], v[6:7], off
	v_add_co_u32 v6, vcc_lo, s0, v80
	v_add_co_ci_u32_e64 v7, null, s1, v81, vcc_lo
	v_add_co_u32 v8, vcc_lo, s0, v96
	v_add_co_ci_u32_e64 v9, null, s1, v97, vcc_lo
	global_load_dwordx2 v[6:7], v[6:7], off
	v_add_co_u32 v60, vcc_lo, s0, v48
	global_load_dwordx2 v[8:9], v[8:9], off
	v_add_co_ci_u32_e64 v61, null, s1, v49, vcc_lo
	global_load_dwordx2 v[78:79], v[60:61], off
	v_add_co_u32 v60, vcc_lo, s0, v50
	v_add_co_ci_u32_e64 v61, null, s1, v51, vcc_lo
	global_load_dwordx2 v[96:97], v[60:61], off
	v_lshlrev_b64 v[60:61], 3, v[24:25]
	v_add_nc_u32_e32 v24, s5, v24
	v_add_co_u32 v60, vcc_lo, s8, v60
	v_add_co_ci_u32_e64 v61, null, s9, v61, vcc_lo
	v_add_co_u32 v100, vcc_lo, s2, v72
	v_add_co_ci_u32_e64 v101, null, s3, v73, vcc_lo
	;; [unrolled: 2-line block ×3, first 2 shown]
	s_waitcnt vmcnt(2)
	v_add_f64 v[26:27], v[6:7], v[8:9]
	v_add_f64 v[6:7], v[18:19], v[6:7]
	s_waitcnt vmcnt(1)
	v_add_f64 v[26:27], v[26:27], v[78:79]
	s_waitcnt vmcnt(0)
	v_add_f64 v[26:27], v[26:27], v[96:97]
	v_mul_f64 v[26:27], v[70:71], v[26:27]
	global_store_dwordx2 v[60:61], v[26:27], off
	s_clause 0x1
	global_load_dwordx2 v[26:27], v[100:101], off
	global_load_dwordx2 v[60:61], v[102:103], off
	s_waitcnt vmcnt(0)
	v_add_f64 v[26:27], v[26:27], v[60:61]
	v_lshlrev_b64 v[60:61], 3, v[24:25]
	v_add_nc_u32_e32 v24, s6, v24
	v_add_co_u32 v60, vcc_lo, s8, v60
	v_add_co_ci_u32_e64 v61, null, s9, v61, vcc_lo
	v_add_co_u32 v74, vcc_lo, s0, v106
	v_add_co_ci_u32_e64 v75, null, s1, v107, vcc_lo
	;; [unrolled: 2-line block ×3, first 2 shown]
	v_mul_f64 v[26:27], v[70:71], v[26:27]
	global_store_dwordx2 v[60:61], v[26:27], off
	s_clause 0x1
	global_load_dwordx2 v[26:27], v[74:75], off
	global_load_dwordx2 v[60:61], v[72:73], off
	s_waitcnt vmcnt(0)
	v_add_f64 v[26:27], v[26:27], v[60:61]
	v_lshlrev_b64 v[60:61], 3, v[24:25]
	v_add_nc_u32_e32 v24, s5, v24
	v_add_co_u32 v60, vcc_lo, s8, v60
	v_add_co_ci_u32_e64 v61, null, s9, v61, vcc_lo
	v_mul_f64 v[26:27], v[70:71], v[26:27]
	global_store_dwordx2 v[60:61], v[26:27], off
	v_add_co_u32 v60, vcc_lo, s2, v76
	v_add_co_ci_u32_e64 v61, null, s3, v77, vcc_lo
	global_load_dwordx2 v[26:27], v[60:61], off
	s_waitcnt vmcnt(0)
	v_mul_f64 v[26:27], v[70:71], v[26:27]
	v_lshlrev_b64 v[70:71], 3, v[24:25]
	v_lshl_add_u32 v24, s5, 5, v24
	v_lshlrev_b64 v[98:99], 3, v[24:25]
	v_add_co_u32 v70, vcc_lo, s8, v70
	v_add_co_ci_u32_e64 v71, null, s9, v71, vcc_lo
	v_add_nc_u32_e32 v24, s5, v24
	v_add_co_u32 v18, vcc_lo, s0, v98
	v_add_co_ci_u32_e64 v19, null, s1, v99, vcc_lo
	v_lshlrev_b64 v[106:107], 3, v[24:25]
	v_add_nc_u32_e32 v24, s5, v24
	global_load_dwordx2 v[18:19], v[18:19], off
	global_store_dwordx2 v[70:71], v[26:27], off
	v_add_co_u32 v80, vcc_lo, s0, v106
	v_add_co_ci_u32_e64 v81, null, s1, v107, vcc_lo
	v_lshlrev_b64 v[108:109], 3, v[24:25]
	v_add_nc_u32_e32 v24, s5, v24
	v_lshlrev_b64 v[110:111], 3, v[24:25]
	v_add_nc_u32_e32 v24, s5, v24
	;; [unrolled: 2-line block ×4, first 2 shown]
	s_waitcnt vmcnt(0)
	v_add_f64 v[6:7], v[6:7], v[18:19]
	global_load_dwordx2 v[18:19], v[80:81], off
	s_waitcnt vmcnt(0)
	v_add_f64 v[6:7], v[6:7], v[18:19]
	v_add_co_u32 v18, vcc_lo, s0, v108
	v_add_co_ci_u32_e64 v19, null, s1, v109, vcc_lo
	global_load_dwordx2 v[18:19], v[18:19], off
	s_waitcnt vmcnt(0)
	v_add_f64 v[6:7], v[6:7], v[18:19]
	v_add_co_u32 v18, vcc_lo, s0, v110
	v_add_co_ci_u32_e64 v19, null, s1, v111, vcc_lo
	;; [unrolled: 5-line block ×4, first 2 shown]
	global_load_dwordx2 v[18:19], v[18:19], off
	s_waitcnt vmcnt(0)
	v_add_f64 v[6:7], v[6:7], v[18:19]
	v_mad_u64_u32 v[18:19], null, s5, 22, v[24:25]
	v_mov_b32_e32 v19, v25
	v_add_f64 v[6:7], v[6:7], v[8:9]
	v_add_f64 v[6:7], v[6:7], v[78:79]
	;; [unrolled: 1-line block ×3, first 2 shown]
	v_lshlrev_b64 v[96:97], 3, v[24:25]
	v_add_nc_u32_e32 v24, s11, v18
	v_add_co_u32 v8, vcc_lo, s0, v96
	v_add_co_ci_u32_e64 v9, null, s1, v97, vcc_lo
	v_lshlrev_b64 v[114:115], 3, v[24:25]
	global_load_dwordx2 v[8:9], v[8:9], off
	s_waitcnt vmcnt(0)
	v_add_f64 v[8:9], v[6:7], v[8:9]
	v_lshlrev_b64 v[6:7], 3, v[18:19]
	v_add_co_u32 v26, vcc_lo, s0, v6
	v_add_co_ci_u32_e64 v27, null, s1, v7, vcc_lo
	v_add_co_u32 v18, vcc_lo, s0, v114
	v_add_co_ci_u32_e64 v19, null, s1, v115, vcc_lo
	s_clause 0x1
	global_load_dwordx2 v[26:27], v[26:27], off
	global_load_dwordx2 v[18:19], v[18:19], off
	s_waitcnt vmcnt(1)
	v_add_f64 v[8:9], v[8:9], v[26:27]
	s_waitcnt vmcnt(0)
	v_add_f64 v[8:9], v[8:9], v[18:19]
	v_mad_u64_u32 v[18:19], null, s5, 59, v[24:25]
	v_mov_b32_e32 v19, v25
	v_lshlrev_b64 v[116:117], 3, v[18:19]
	v_add_nc_u32_e32 v24, s5, v18
	v_add_co_u32 v76, vcc_lo, s0, v116
	v_add_co_ci_u32_e64 v77, null, s1, v117, vcc_lo
	v_lshlrev_b64 v[118:119], 3, v[24:25]
	v_lshl_add_u32 v24, s5, 4, v24
	global_load_dwordx2 v[26:27], v[76:77], off
	v_add_co_u32 v18, vcc_lo, s0, v118
	v_add_co_ci_u32_e64 v19, null, s1, v119, vcc_lo
	v_lshlrev_b64 v[120:121], 3, v[24:25]
	v_mad_u64_u32 v[78:79], null, 0xffffff9a, s5, v[24:25]
	global_load_dwordx2 v[18:19], v[18:19], off
	v_mov_b32_e32 v79, v25
	v_add_nc_u32_e32 v24, s16, v78
	s_waitcnt vmcnt(1)
	v_add_f64 v[8:9], v[8:9], v[26:27]
	s_waitcnt vmcnt(0)
	v_add_f64 v[8:9], v[8:9], v[18:19]
	v_add_co_u32 v18, vcc_lo, s0, v120
	v_add_co_ci_u32_e64 v19, null, s1, v121, vcc_lo
	global_load_dwordx2 v[26:27], v[18:19], off
	s_waitcnt vmcnt(0)
	v_add_f64 v[8:9], v[8:9], v[26:27]
	v_lshlrev_b64 v[26:27], 3, v[78:79]
	v_add_co_u32 v122, vcc_lo, s2, v26
	v_add_co_ci_u32_e64 v123, null, s3, v27, vcc_lo
	global_load_dwordx2 v[122:123], v[122:123], off
	s_waitcnt vmcnt(0)
	v_add_f64 v[122:123], v[8:9], v[122:123]
	v_lshlrev_b64 v[8:9], 3, v[24:25]
	v_add_nc_u32_e32 v24, s18, v24
	v_add_co_u32 v78, vcc_lo, s2, v8
	v_add_co_ci_u32_e64 v79, null, s3, v9, vcc_lo
	global_load_dwordx2 v[124:125], v[78:79], off
	s_waitcnt vmcnt(0)
	v_add_f64 v[122:123], v[122:123], v[124:125]
	v_lshlrev_b64 v[124:125], 3, v[24:25]
	v_add_co_u32 v126, vcc_lo, s2, v124
	v_add_co_ci_u32_e64 v127, null, s3, v125, vcc_lo
	v_add_co_u32 v98, vcc_lo, s2, v98
	v_add_co_ci_u32_e64 v99, null, s3, v99, vcc_lo
	;; [unrolled: 2-line block ×3, first 2 shown]
	s_clause 0x2
	global_load_dwordx2 v[98:99], v[98:99], off
	global_load_dwordx2 v[126:127], v[126:127], off
	;; [unrolled: 1-line block ×3, first 2 shown]
	s_waitcnt vmcnt(0)
	v_add_f64 v[98:99], v[98:99], v[108:109]
	v_add_co_u32 v108, vcc_lo, s2, v110
	v_add_co_ci_u32_e64 v109, null, s3, v111, vcc_lo
	global_load_dwordx2 v[108:109], v[108:109], off
	s_waitcnt vmcnt(0)
	v_add_f64 v[98:99], v[98:99], v[108:109]
	v_add_co_u32 v108, vcc_lo, s2, v112
	v_add_co_ci_u32_e64 v109, null, s3, v113, vcc_lo
	global_load_dwordx2 v[108:109], v[108:109], off
	s_waitcnt vmcnt(0)
	v_add_f64 v[98:99], v[98:99], v[108:109]
	v_add_co_u32 v108, vcc_lo, s2, v70
	v_add_co_ci_u32_e64 v109, null, s3, v71, vcc_lo
	v_add_co_u32 v96, vcc_lo, s2, v96
	v_add_co_ci_u32_e64 v97, null, s3, v97, vcc_lo
	s_clause 0x1
	global_load_dwordx2 v[108:109], v[108:109], off
	global_load_dwordx2 v[96:97], v[96:97], off
	s_waitcnt vmcnt(1)
	v_add_f64 v[98:99], v[98:99], v[108:109]
	s_waitcnt vmcnt(0)
	v_add_f64 v[96:97], v[98:99], v[96:97]
	v_add_co_u32 v98, vcc_lo, s0, v26
	v_add_co_ci_u32_e64 v99, null, s1, v27, vcc_lo
	global_load_dwordx2 v[98:99], v[98:99], off
	s_waitcnt vmcnt(0)
	v_add_f64 v[96:97], v[96:97], v[98:99]
	v_add_co_u32 v98, vcc_lo, s2, v6
	v_add_co_ci_u32_e64 v99, null, s3, v7, vcc_lo
	global_load_dwordx2 v[98:99], v[98:99], off
	v_add_f64 v[122:123], v[122:123], v[126:127]
	s_waitcnt vmcnt(0)
	v_add_f64 v[96:97], v[96:97], v[98:99]
	v_add_co_u32 v98, vcc_lo, s2, v114
	v_add_co_ci_u32_e64 v99, null, s3, v115, vcc_lo
	global_load_dwordx2 v[98:99], v[98:99], off
	s_waitcnt vmcnt(0)
	v_add_f64 v[96:97], v[96:97], v[98:99]
	v_add_co_u32 v98, vcc_lo, s0, v124
	v_add_co_ci_u32_e64 v99, null, s1, v125, vcc_lo
	global_load_dwordx2 v[98:99], v[98:99], off
	;; [unrolled: 5-line block ×3, first 2 shown]
	s_waitcnt vmcnt(0)
	v_add_f64 v[96:97], v[96:97], v[98:99]
	v_div_scale_f64 v[98:99], null, v[122:123], v[122:123], 1.0
	v_rcp_f64_e32 v[108:109], v[98:99]
	v_fma_f64 v[110:111], -v[98:99], v[108:109], 1.0
	v_fma_f64 v[108:109], v[108:109], v[110:111], v[108:109]
	v_fma_f64 v[110:111], -v[98:99], v[108:109], 1.0
	v_fma_f64 v[108:109], v[108:109], v[110:111], v[108:109]
	v_div_scale_f64 v[110:111], vcc_lo, 1.0, v[122:123], 1.0
	v_mul_f64 v[112:113], v[110:111], v[108:109]
	v_fma_f64 v[98:99], -v[98:99], v[112:113], v[110:111]
	v_div_fmas_f64 v[98:99], v[98:99], v[108:109], v[112:113]
	v_mad_u64_u32 v[108:109], null, 0xffffffb5, s5, v[24:25]
	v_mov_b32_e32 v109, v25
	v_lshlrev_b64 v[109:110], 3, v[108:109]
	v_add_nc_u32_e32 v24, s4, v108
	v_add_co_u32 v109, vcc_lo, s8, v109
	v_add_co_ci_u32_e64 v110, null, s9, v110, vcc_lo
	v_add_co_u32 v4, vcc_lo, s8, v4
	v_add_co_ci_u32_e64 v5, null, s9, v5, vcc_lo
	v_div_fixup_f64 v[98:99], v[98:99], v[122:123], 1.0
	v_add_co_u32 v10, vcc_lo, s8, v10
	v_add_co_ci_u32_e64 v11, null, s9, v11, vcc_lo
	v_mul_f64 v[96:97], v[98:99], v[96:97]
	v_mul_f64 v[82:83], v[98:99], v[82:83]
	global_store_dwordx2 v[109:110], v[96:97], off
	global_store_dwordx2 v[4:5], v[82:83], off
	s_clause 0x1
	global_load_dwordx2 v[4:5], v[88:89], off
	global_load_dwordx2 v[82:83], v[90:91], off
	s_waitcnt vmcnt(0)
	v_add_f64 v[4:5], v[4:5], v[82:83]
	global_load_dwordx2 v[82:83], v[92:93], off
	s_waitcnt vmcnt(0)
	v_add_f64 v[4:5], v[4:5], v[82:83]
	;; [unrolled: 3-line block ×3, first 2 shown]
	v_mul_f64 v[4:5], v[98:99], v[4:5]
	global_store_dwordx2 v[10:11], v[4:5], off
	v_add_co_u32 v4, vcc_lo, s2, v106
	v_add_co_ci_u32_e64 v5, null, s3, v107, vcc_lo
	v_add_co_u32 v22, vcc_lo, s8, v22
	v_add_co_ci_u32_e64 v23, null, s9, v23, vcc_lo
	global_load_dwordx2 v[4:5], v[4:5], off
	v_add_co_u32 v88, vcc_lo, s0, v8
	v_add_co_ci_u32_e64 v89, null, s1, v9, vcc_lo
	v_lshlrev_b64 v[106:107], 3, v[24:25]
	v_add_nc_u32_e32 v24, s5, v24
	v_lshlrev_b64 v[108:109], 3, v[24:25]
	v_add_nc_u32_e32 v24, s5, v24
	v_lshlrev_b64 v[110:111], 3, v[24:25]
	v_add_nc_u32_e32 v24, s5, v24
	v_lshlrev_b64 v[112:113], 3, v[24:25]
	v_add_nc_u32_e32 v24, s5, v24
	v_lshlrev_b64 v[92:93], 3, v[24:25]
	v_add_nc_u32_e32 v24, s5, v24
	v_lshlrev_b64 v[90:91], 3, v[24:25]
	v_add_nc_u32_e32 v24, s5, v24
	v_lshlrev_b64 v[94:95], 3, v[24:25]
	s_waitcnt vmcnt(0)
	v_mul_f64 v[10:11], v[98:99], v[4:5]
	global_store_dwordx2 v[22:23], v[10:11], off
	global_load_dwordx2 v[10:11], v[88:89], off
	v_add_co_u32 v22, vcc_lo, s8, v28
	v_add_co_ci_u32_e64 v23, null, s9, v29, vcc_lo
	v_add_co_u32 v82, vcc_lo, s2, v116
	v_add_co_ci_u32_e64 v83, null, s3, v117, vcc_lo
	s_waitcnt vmcnt(0)
	v_mul_f64 v[10:11], v[98:99], v[10:11]
	global_store_dwordx2 v[22:23], v[10:11], off
	global_load_dwordx2 v[10:11], v[82:83], off
	v_add_co_u32 v22, vcc_lo, s8, v36
	v_add_co_ci_u32_e64 v23, null, s9, v37, vcc_lo
	v_add_co_u32 v28, vcc_lo, s2, v120
	v_add_co_ci_u32_e64 v29, null, s3, v121, vcc_lo
	v_mad_u64_u32 v[36:37], null, s5, 41, v[24:25]
	v_mov_b32_e32 v37, v25
	v_add_nc_u32_e32 v24, s5, v36
	v_lshlrev_b64 v[114:115], 3, v[24:25]
	v_add_nc_u32_e32 v24, s17, v24
	v_mad_u64_u32 v[118:119], null, s5, 44, v[24:25]
	v_mov_b32_e32 v119, v25
	s_waitcnt vmcnt(0)
	v_mul_f64 v[10:11], v[98:99], v[10:11]
	global_store_dwordx2 v[22:23], v[10:11], off
	global_load_dwordx2 v[10:11], v[28:29], off
	v_add_co_u32 v22, vcc_lo, s8, v106
	v_add_co_ci_u32_e64 v23, null, s9, v107, vcc_lo
	s_waitcnt vmcnt(0)
	v_mul_f64 v[10:11], v[98:99], v[10:11]
	v_lshlrev_b64 v[98:99], 3, v[24:25]
	global_store_dwordx2 v[22:23], v[10:11], off
	v_add_co_u32 v10, vcc_lo, s0, v106
	v_add_co_ci_u32_e64 v11, null, s1, v107, vcc_lo
	v_add_co_u32 v22, vcc_lo, s0, v108
	v_add_co_ci_u32_e64 v23, null, s1, v109, vcc_lo
	s_clause 0x1
	global_load_dwordx2 v[10:11], v[10:11], off
	global_load_dwordx2 v[22:23], v[22:23], off
	s_waitcnt vmcnt(0)
	v_add_f64 v[10:11], v[10:11], v[22:23]
	v_add_co_u32 v22, vcc_lo, s0, v110
	v_add_co_ci_u32_e64 v23, null, s1, v111, vcc_lo
	global_load_dwordx2 v[22:23], v[22:23], off
	s_waitcnt vmcnt(0)
	v_add_f64 v[10:11], v[10:11], v[22:23]
	v_add_co_u32 v22, vcc_lo, s0, v112
	v_add_co_ci_u32_e64 v23, null, s1, v113, vcc_lo
	;; [unrolled: 5-line block ×5, first 2 shown]
	global_load_dwordx2 v[22:23], v[22:23], off
	s_waitcnt vmcnt(0)
	v_add_f64 v[10:11], v[10:11], v[22:23]
	v_lshlrev_b64 v[22:23], 3, v[36:37]
	v_add_co_u32 v96, vcc_lo, s0, v22
	v_add_co_ci_u32_e64 v97, null, s1, v23, vcc_lo
	v_add_co_u32 v36, vcc_lo, s0, v114
	v_add_co_ci_u32_e64 v37, null, s1, v115, vcc_lo
	s_clause 0x1
	global_load_dwordx2 v[96:97], v[96:97], off
	global_load_dwordx2 v[36:37], v[36:37], off
	s_waitcnt vmcnt(1)
	v_add_f64 v[10:11], v[10:11], v[96:97]
	s_waitcnt vmcnt(0)
	v_add_f64 v[10:11], v[10:11], v[36:37]
	v_add_co_u32 v36, vcc_lo, s0, v98
	v_add_co_ci_u32_e64 v37, null, s1, v99, vcc_lo
	global_load_dwordx2 v[96:97], v[36:37], off
	s_waitcnt vmcnt(0)
	v_add_f64 v[116:117], v[10:11], v[96:97]
	v_lshlrev_b64 v[96:97], 3, v[118:119]
	v_add_co_u32 v0, vcc_lo, s0, v96
	v_add_co_ci_u32_e64 v1, null, s1, v97, vcc_lo
	buffer_store_dword v0, off, s[20:23], 0 offset:8 ; 4-byte Folded Spill
	buffer_store_dword v1, off, s[20:23], 0 offset:12 ; 4-byte Folded Spill
	s_clause 0x1
	global_load_dwordx2 v[38:39], v[38:39], off
	global_load_dwordx2 v[84:85], v[84:85], off
	global_load_dwordx2 v[119:120], v[0:1], off
	s_waitcnt vmcnt(0)
	v_add_f64 v[116:117], v[116:117], v[119:120]
	v_mad_u64_u32 v[118:119], null, s5, 25, v[118:119]
	v_mov_b32_e32 v119, v25
	v_lshlrev_b64 v[119:120], 3, v[118:119]
	v_add_co_u32 v121, vcc_lo, s0, v119
	v_add_co_ci_u32_e64 v122, null, s1, v120, vcc_lo
	global_load_dwordx2 v[121:122], v[121:122], off
	s_waitcnt vmcnt(0)
	v_add_f64 v[116:117], v[116:117], v[121:122]
	v_add_f64 v[38:39], v[116:117], v[38:39]
	;; [unrolled: 1-line block ×3, first 2 shown]
	global_load_dwordx2 v[84:85], v[86:87], off
	s_waitcnt vmcnt(0)
	v_add_f64 v[38:39], v[38:39], v[84:85]
	global_load_dwordx2 v[84:85], v[100:101], off
	s_waitcnt vmcnt(0)
	v_add_f64 v[38:39], v[38:39], v[84:85]
	;; [unrolled: 3-line block ×3, first 2 shown]
	v_add_f64 v[4:5], v[38:39], v[4:5]
	v_mad_u64_u32 v[38:39], null, 0xffffff8b, s5, v[118:119]
	v_mov_b32_e32 v39, v25
	v_lshlrev_b64 v[84:85], 3, v[38:39]
	v_add_nc_u32_e32 v24, s5, v38
	v_add_co_u32 v86, vcc_lo, s2, v84
	v_add_co_ci_u32_e64 v87, null, s3, v85, vcc_lo
	global_load_dwordx2 v[86:87], v[86:87], off
	s_waitcnt vmcnt(0)
	v_add_f64 v[4:5], v[4:5], v[86:87]
	v_lshlrev_b64 v[86:87], 3, v[24:25]
	v_add_nc_u32_e32 v24, s5, v24
	v_add_co_u32 v38, vcc_lo, s2, v86
	v_add_co_ci_u32_e64 v39, null, s3, v87, vcc_lo
	v_lshlrev_b64 v[116:117], 3, v[24:25]
	v_add_nc_u32_e32 v24, s5, v24
	global_load_dwordx2 v[38:39], v[38:39], off
	v_lshlrev_b64 v[121:122], 3, v[24:25]
	v_add_nc_u32_e32 v24, s5, v24
	v_lshlrev_b64 v[123:124], 3, v[24:25]
	s_waitcnt vmcnt(0)
	v_add_f64 v[4:5], v[4:5], v[38:39]
	v_add_co_u32 v38, vcc_lo, s2, v116
	v_add_co_ci_u32_e64 v39, null, s3, v117, vcc_lo
	global_load_dwordx2 v[38:39], v[38:39], off
	s_waitcnt vmcnt(0)
	v_add_f64 v[4:5], v[4:5], v[38:39]
	v_add_co_u32 v38, vcc_lo, s2, v121
	v_add_co_ci_u32_e64 v39, null, s3, v122, vcc_lo
	global_load_dwordx2 v[38:39], v[38:39], off
	;; [unrolled: 5-line block ×3, first 2 shown]
	s_waitcnt vmcnt(0)
	v_add_f64 v[4:5], v[4:5], v[38:39]
	v_mad_u64_u32 v[38:39], null, s5, 14, v[24:25]
	v_mov_b32_e32 v39, v25
	v_lshlrev_b64 v[125:126], 3, v[38:39]
	v_add_co_u32 v100, vcc_lo, s2, v125
	v_add_co_ci_u32_e64 v101, null, s3, v126, vcc_lo
	global_load_dwordx2 v[100:101], v[100:101], off
	s_waitcnt vmcnt(0)
	v_add_f64 v[4:5], v[4:5], v[100:101]
	v_mad_u64_u32 v[100:101], null, s5, 50, v[38:39]
	v_mov_b32_e32 v101, v25
	v_mad_u64_u32 v[40:41], null, s5, 9, v[100:101]
	v_mov_b32_e32 v41, v25
	v_lshlrev_b64 v[102:103], 3, v[100:101]
	v_lshlrev_b64 v[100:101], 3, v[40:41]
	v_add_co_u32 v38, vcc_lo, s2, v102
	v_add_co_ci_u32_e64 v39, null, s3, v103, vcc_lo
	v_add_nc_u32_e32 v24, s18, v40
	v_add_co_u32 v0, vcc_lo, s2, v100
	v_add_co_ci_u32_e64 v1, null, s3, v101, vcc_lo
	global_load_dwordx2 v[10:11], v[38:39], off
	buffer_store_dword v0, off, s[20:23], 0 ; 4-byte Folded Spill
	buffer_store_dword v1, off, s[20:23], 0 offset:4 ; 4-byte Folded Spill
	s_mul_i32 s18, s5, 20
	s_waitcnt vmcnt(0)
	v_add_f64 v[10:11], v[4:5], v[10:11]
	global_load_dwordx2 v[4:5], v[0:1], off
	v_lshlrev_b64 v[0:1], 3, v[24:25]
	s_waitcnt vmcnt(0)
	v_add_f64 v[4:5], v[10:11], v[4:5]
	v_add_co_u32 v10, vcc_lo, s2, v0
	v_add_co_ci_u32_e64 v11, null, s3, v1, vcc_lo
	global_load_dwordx2 v[10:11], v[10:11], off
	s_waitcnt vmcnt(0)
	v_add_f64 v[4:5], v[4:5], v[10:11]
	v_add_co_u32 v10, vcc_lo, s2, v106
	v_add_co_ci_u32_e64 v11, null, s3, v107, vcc_lo
	v_add_co_u32 v106, vcc_lo, s2, v108
	v_add_co_ci_u32_e64 v107, null, s3, v109, vcc_lo
	s_clause 0x1
	global_load_dwordx2 v[10:11], v[10:11], off
	global_load_dwordx2 v[106:107], v[106:107], off
	s_waitcnt vmcnt(0)
	v_add_f64 v[10:11], v[10:11], v[106:107]
	v_add_co_u32 v106, vcc_lo, s2, v110
	v_add_co_ci_u32_e64 v107, null, s3, v111, vcc_lo
	global_load_dwordx2 v[106:107], v[106:107], off
	s_waitcnt vmcnt(0)
	v_add_f64 v[10:11], v[10:11], v[106:107]
	v_add_co_u32 v106, vcc_lo, s2, v112
	v_add_co_ci_u32_e64 v107, null, s3, v113, vcc_lo
	;; [unrolled: 5-line block ×5, first 2 shown]
	v_add_co_u32 v84, vcc_lo, s0, v84
	v_add_co_ci_u32_e64 v85, null, s1, v85, vcc_lo
	global_load_dwordx2 v[106:107], v[106:107], off
	global_load_dwordx2 v[84:85], v[84:85], off
	s_waitcnt vmcnt(1)
	v_add_f64 v[10:11], v[10:11], v[106:107]
	s_waitcnt vmcnt(0)
	v_add_f64 v[10:11], v[10:11], v[84:85]
	v_add_co_u32 v84, vcc_lo, s0, v86
	v_add_co_ci_u32_e64 v85, null, s1, v87, vcc_lo
	global_load_dwordx2 v[84:85], v[84:85], off
	s_waitcnt vmcnt(0)
	v_add_f64 v[10:11], v[10:11], v[84:85]
	v_add_co_u32 v84, vcc_lo, s0, v116
	v_add_co_ci_u32_e64 v85, null, s1, v117, vcc_lo
	global_load_dwordx2 v[84:85], v[84:85], off
	s_waitcnt vmcnt(0)
	v_add_f64 v[10:11], v[10:11], v[84:85]
	v_add_co_u32 v84, vcc_lo, s0, v121
	v_add_co_ci_u32_e64 v85, null, s1, v122, vcc_lo
	global_load_dwordx2 v[84:85], v[84:85], off
	s_waitcnt vmcnt(0)
	v_add_f64 v[10:11], v[10:11], v[84:85]
	v_add_co_u32 v84, vcc_lo, s0, v123
	v_add_co_ci_u32_e64 v85, null, s1, v124, vcc_lo
	global_load_dwordx2 v[84:85], v[84:85], off
	s_waitcnt vmcnt(0)
	v_add_f64 v[10:11], v[10:11], v[84:85]
	v_add_co_u32 v84, vcc_lo, s2, v22
	v_add_co_ci_u32_e64 v85, null, s3, v23, vcc_lo
	global_load_dwordx2 v[84:85], v[84:85], off
	s_waitcnt vmcnt(0)
	v_add_f64 v[10:11], v[10:11], v[84:85]
	v_add_co_u32 v84, vcc_lo, s2, v114
	v_add_co_ci_u32_e64 v85, null, s3, v115, vcc_lo
	global_load_dwordx2 v[84:85], v[84:85], off
	s_waitcnt vmcnt(0)
	v_add_f64 v[10:11], v[10:11], v[84:85]
	v_add_co_u32 v84, vcc_lo, s0, v125
	v_add_co_ci_u32_e64 v85, null, s1, v126, vcc_lo
	global_load_dwordx2 v[84:85], v[84:85], off
	s_waitcnt vmcnt(0)
	v_add_f64 v[10:11], v[10:11], v[84:85]
	v_add_co_u32 v84, vcc_lo, s2, v34
	v_add_co_ci_u32_e64 v85, null, s3, v35, vcc_lo
	v_add_co_u32 v0, vcc_lo, s0, v0
	v_add_co_ci_u32_e64 v1, null, s1, v1, vcc_lo
	global_load_dwordx2 v[34:35], v[84:85], off
	global_load_dwordx2 v[0:1], v[0:1], off
	s_waitcnt vmcnt(1)
	v_add_f64 v[10:11], v[10:11], v[34:35]
	v_add_co_u32 v34, vcc_lo, s2, v32
	v_add_co_ci_u32_e64 v35, null, s3, v33, vcc_lo
	s_waitcnt vmcnt(0)
	v_add_f64 v[0:1], v[10:11], v[0:1]
	global_load_dwordx2 v[10:11], v[34:35], off
	s_waitcnt vmcnt(0)
	v_add_f64 v[0:1], v[0:1], v[10:11]
	v_add_co_u32 v10, vcc_lo, s2, v119
	v_add_co_ci_u32_e64 v11, null, s3, v120, vcc_lo
	v_add_co_u32 v32, vcc_lo, s0, v104
	v_add_co_ci_u32_e64 v33, null, s1, v105, vcc_lo
	global_load_dwordx2 v[10:11], v[10:11], off
	s_waitcnt vmcnt(0)
	v_add_f64 v[0:1], v[0:1], v[10:11]
	global_load_dwordx2 v[10:11], v[32:33], off
	s_waitcnt vmcnt(0)
	v_add_f64 v[0:1], v[0:1], v[10:11]
	v_div_scale_f64 v[10:11], null, v[4:5], v[4:5], 1.0
	v_rcp_f64_e32 v[104:105], v[10:11]
	v_fma_f64 v[106:107], -v[10:11], v[104:105], 1.0
	v_fma_f64 v[104:105], v[104:105], v[106:107], v[104:105]
	v_fma_f64 v[106:107], -v[10:11], v[104:105], 1.0
	v_fma_f64 v[104:105], v[104:105], v[106:107], v[104:105]
	v_div_scale_f64 v[106:107], vcc_lo, 1.0, v[4:5], 1.0
	v_mul_f64 v[108:109], v[106:107], v[104:105]
	v_fma_f64 v[10:11], -v[10:11], v[108:109], v[106:107]
	v_div_fmas_f64 v[10:11], v[10:11], v[104:105], v[108:109]
	v_div_fixup_f64 v[104:105], v[10:11], v[4:5], 1.0
	v_add_co_u32 v4, vcc_lo, s8, v112
	v_add_co_ci_u32_e64 v5, null, s9, v113, vcc_lo
	v_mul_f64 v[0:1], v[104:105], v[0:1]
	global_store_dwordx2 v[4:5], v[0:1], off
	s_clause 0x1
	global_load_dwordx2 v[0:1], v[46:47], off
	global_load_dwordx2 v[4:5], v[30:31], off
	s_waitcnt vmcnt(0)
	v_add_f64 v[0:1], v[0:1], v[4:5]
	global_load_dwordx2 v[4:5], v[16:17], off
	s_waitcnt vmcnt(0)
	v_add_f64 v[0:1], v[0:1], v[4:5]
	v_add_co_u32 v4, vcc_lo, s8, v92
	v_add_co_ci_u32_e64 v5, null, s9, v93, vcc_lo
	v_mul_f64 v[0:1], v[104:105], v[0:1]
	global_store_dwordx2 v[4:5], v[0:1], off
	s_clause 0x1
	global_load_dwordx2 v[0:1], v[66:67], off
	global_load_dwordx2 v[4:5], v[68:69], off
	s_waitcnt vmcnt(0)
	v_add_f64 v[0:1], v[0:1], v[4:5]
	v_add_co_u32 v4, vcc_lo, s8, v90
	v_add_co_ci_u32_e64 v5, null, s9, v91, vcc_lo
	v_mul_f64 v[0:1], v[104:105], v[0:1]
	global_store_dwordx2 v[4:5], v[0:1], off
	global_load_dwordx2 v[0:1], v[80:81], off
	v_add_co_u32 v4, vcc_lo, s8, v94
	v_add_co_ci_u32_e64 v5, null, s9, v95, vcc_lo
	v_add_co_u32 v66, vcc_lo, s2, v98
	v_add_co_ci_u32_e64 v67, null, s3, v99, vcc_lo
	;; [unrolled: 2-line block ×3, first 2 shown]
	s_waitcnt vmcnt(0)
	v_mul_f64 v[0:1], v[104:105], v[0:1]
	global_store_dwordx2 v[4:5], v[0:1], off
	global_load_dwordx2 v[0:1], v[66:67], off
	global_load_dwordx2 v[4:5], v[68:69], off
	s_waitcnt vmcnt(0)
	v_add_f64 v[0:1], v[0:1], v[4:5]
	v_add_co_u32 v4, vcc_lo, s8, v42
	v_add_co_ci_u32_e64 v5, null, s9, v43, vcc_lo
	v_add_co_u32 v42, vcc_lo, s2, v96
	v_add_co_ci_u32_e64 v43, null, s3, v97, vcc_lo
	v_mul_f64 v[0:1], v[104:105], v[0:1]
	global_store_dwordx2 v[4:5], v[0:1], off
	global_load_dwordx2 v[0:1], v[42:43], off
	v_add_co_u32 v4, vcc_lo, s8, v64
	v_add_co_ci_u32_e64 v5, null, s9, v65, vcc_lo
	v_add_co_u32 v30, vcc_lo, s0, v100
	v_add_co_ci_u32_e64 v31, null, s1, v101, vcc_lo
	s_waitcnt vmcnt(0)
	v_mul_f64 v[0:1], v[104:105], v[0:1]
	global_store_dwordx2 v[4:5], v[0:1], off
	global_load_dwordx2 v[0:1], v[30:31], off
	v_add_co_u32 v4, vcc_lo, s8, v62
	v_add_co_ci_u32_e64 v5, null, s9, v63, vcc_lo
	s_waitcnt vmcnt(0)
	v_mul_f64 v[0:1], v[104:105], v[0:1]
	global_store_dwordx2 v[4:5], v[0:1], off
	v_mad_u64_u32 v[0:1], null, 0xffffffc1, s5, v[24:25]
	v_mov_b32_e32 v1, v25
	v_add_nc_u32_e32 v24, s5, v0
	v_lshlrev_b64 v[4:5], 3, v[0:1]
	v_lshlrev_b64 v[0:1], 3, v[24:25]
	v_add_nc_u32_e32 v24, s6, v24
	v_add_co_u32 v10, vcc_lo, s0, v4
	v_add_co_ci_u32_e64 v11, null, s1, v5, vcc_lo
	v_add_co_u32 v16, vcc_lo, s0, v0
	v_add_co_ci_u32_e64 v17, null, s1, v1, vcc_lo
	global_load_dwordx2 v[10:11], v[10:11], off
	v_lshlrev_b64 v[40:41], 3, v[24:25]
	v_add_nc_u32_e32 v24, s5, v24
	global_load_dwordx2 v[16:17], v[16:17], off
	s_waitcnt vmcnt(0)
	v_add_f64 v[10:11], v[10:11], v[16:17]
	global_load_dwordx2 v[16:17], v[88:89], off
	s_waitcnt vmcnt(0)
	v_add_f64 v[10:11], v[10:11], v[16:17]
	v_add_co_u32 v16, vcc_lo, s0, v40
	v_add_co_ci_u32_e64 v17, null, s1, v41, vcc_lo
	global_load_dwordx2 v[16:17], v[16:17], off
	s_waitcnt vmcnt(0)
	v_add_f64 v[10:11], v[10:11], v[16:17]
	v_lshlrev_b64 v[16:17], 3, v[24:25]
	v_add_nc_u32_e32 v24, s5, v24
	v_add_co_u32 v62, vcc_lo, s0, v16
	v_add_co_ci_u32_e64 v63, null, s1, v17, vcc_lo
	global_load_dwordx2 v[62:63], v[62:63], off
	s_waitcnt vmcnt(0)
	v_add_f64 v[10:11], v[10:11], v[62:63]
	v_lshlrev_b64 v[62:63], 3, v[24:25]
	v_add_co_u32 v64, vcc_lo, s0, v62
	v_add_co_ci_u32_e64 v65, null, s1, v63, vcc_lo
	global_load_dwordx2 v[64:65], v[64:65], off
	s_waitcnt vmcnt(0)
	v_add_f64 v[10:11], v[10:11], v[64:65]
	v_mad_u64_u32 v[64:65], null, 0xffffffe2, s5, v[24:25]
	v_mov_b32_e32 v65, v25
	v_lshlrev_b64 v[80:81], 3, v[64:65]
	v_add_nc_u32_e32 v24, s15, v64
	v_add_co_u32 v88, vcc_lo, s2, v80
	v_add_co_ci_u32_e64 v89, null, s3, v81, vcc_lo
	v_lshlrev_b64 v[64:65], 3, v[24:25]
	v_add_nc_u32_e32 v24, s12, v24
	global_load_dwordx2 v[88:89], v[88:89], off
	s_waitcnt vmcnt(0)
	v_add_f64 v[10:11], v[10:11], v[88:89]
	v_add_co_u32 v88, vcc_lo, s2, v64
	v_add_co_ci_u32_e64 v89, null, s3, v65, vcc_lo
	global_load_dwordx2 v[88:89], v[88:89], off
	s_waitcnt vmcnt(0)
	v_add_f64 v[10:11], v[10:11], v[88:89]
	v_lshlrev_b64 v[88:89], 3, v[24:25]
	v_add_nc_u32_e32 v24, s10, v24
	s_mul_i32 s10, s5, 21
	v_add_co_u32 v90, vcc_lo, s2, v88
	v_add_co_ci_u32_e64 v91, null, s3, v89, vcc_lo
	v_add_co_u32 v80, vcc_lo, s0, v80
	v_add_co_ci_u32_e64 v81, null, s1, v81, vcc_lo
	;; [unrolled: 2-line block ×3, first 2 shown]
	global_load_dwordx2 v[80:81], v[80:81], off
	global_load_dwordx2 v[90:91], v[90:91], off
	global_load_dwordx2 v[64:65], v[64:65], off
	s_waitcnt vmcnt(0)
	v_add_f64 v[64:65], v[80:81], v[64:65]
	v_add_co_u32 v80, vcc_lo, s0, v88
	v_add_co_ci_u32_e64 v81, null, s1, v89, vcc_lo
	v_add_co_u32 v4, vcc_lo, s2, v4
	v_add_co_ci_u32_e64 v5, null, s3, v5, vcc_lo
	global_load_dwordx2 v[80:81], v[80:81], off
	v_add_co_u32 v0, vcc_lo, s2, v0
	global_load_dwordx2 v[4:5], v[4:5], off
	v_add_co_ci_u32_e64 v1, null, s3, v1, vcc_lo
	global_load_dwordx2 v[0:1], v[0:1], off
	s_waitcnt vmcnt(2)
	v_add_f64 v[64:65], v[64:65], v[80:81]
	s_waitcnt vmcnt(1)
	v_add_f64 v[4:5], v[64:65], v[4:5]
	;; [unrolled: 2-line block ×3, first 2 shown]
	v_add_co_u32 v4, vcc_lo, s2, v40
	v_add_co_ci_u32_e64 v5, null, s3, v41, vcc_lo
	global_load_dwordx2 v[4:5], v[4:5], off
	v_add_f64 v[10:11], v[10:11], v[90:91]
	s_waitcnt vmcnt(0)
	v_add_f64 v[0:1], v[0:1], v[4:5]
	v_add_co_u32 v4, vcc_lo, s2, v16
	v_add_co_ci_u32_e64 v5, null, s3, v17, vcc_lo
	global_load_dwordx2 v[4:5], v[4:5], off
	s_waitcnt vmcnt(0)
	v_add_f64 v[0:1], v[0:1], v[4:5]
	v_add_co_u32 v4, vcc_lo, s2, v62
	v_add_co_ci_u32_e64 v5, null, s3, v63, vcc_lo
	global_load_dwordx2 v[4:5], v[4:5], off
	s_waitcnt vmcnt(0)
	v_add_f64 v[0:1], v[0:1], v[4:5]
	v_div_scale_f64 v[4:5], null, v[10:11], v[10:11], 1.0
	v_rcp_f64_e32 v[16:17], v[4:5]
	v_fma_f64 v[62:63], -v[4:5], v[16:17], 1.0
	v_fma_f64 v[16:17], v[16:17], v[62:63], v[16:17]
	v_fma_f64 v[62:63], -v[4:5], v[16:17], 1.0
	v_fma_f64 v[16:17], v[16:17], v[62:63], v[16:17]
	v_div_scale_f64 v[62:63], vcc_lo, 1.0, v[10:11], 1.0
	v_mul_f64 v[64:65], v[62:63], v[16:17]
	v_fma_f64 v[4:5], -v[4:5], v[64:65], v[62:63]
	v_div_fmas_f64 v[4:5], v[4:5], v[16:17], v[64:65]
	v_div_fixup_f64 v[4:5], v[4:5], v[10:11], 1.0
	v_add_co_u32 v10, vcc_lo, s8, v44
	v_add_co_ci_u32_e64 v11, null, s9, v45, vcc_lo
	v_mul_f64 v[0:1], v[4:5], v[0:1]
	global_store_dwordx2 v[10:11], v[0:1], off
	global_load_dwordx2 v[0:1], v[78:79], off
	s_waitcnt vmcnt(0)
	v_mul_f64 v[0:1], v[4:5], v[0:1]
	v_add_co_u32 v4, vcc_lo, s8, v14
	v_add_co_ci_u32_e64 v5, null, s9, v15, vcc_lo
	global_store_dwordx2 v[4:5], v[0:1], off
	v_lshlrev_b64 v[0:1], 3, v[24:25]
	v_add_nc_u32_e32 v24, s6, v24
	v_add_co_u32 v4, vcc_lo, s0, v0
	v_add_co_ci_u32_e64 v5, null, s1, v1, vcc_lo
	s_clause 0x1
	global_load_dwordx2 v[4:5], v[4:5], off
	global_load_dwordx2 v[10:11], v[74:75], off
	s_waitcnt vmcnt(0)
	v_add_f64 v[4:5], v[4:5], v[10:11]
	v_lshlrev_b64 v[10:11], 3, v[24:25]
	v_add_co_u32 v14, vcc_lo, s0, v10
	v_add_co_ci_u32_e64 v15, null, s1, v11, vcc_lo
	global_load_dwordx2 v[14:15], v[14:15], off
	s_waitcnt vmcnt(0)
	v_add_f64 v[4:5], v[4:5], v[14:15]
	global_load_dwordx2 v[14:15], v[72:73], off
	s_waitcnt vmcnt(0)
	v_add_f64 v[4:5], v[4:5], v[14:15]
	v_mad_u64_u32 v[14:15], null, s5, -10, v[24:25]
	v_mov_b32_e32 v15, v25
	v_lshlrev_b64 v[15:16], 3, v[14:15]
	v_add_nc_u32_e32 v24, s18, v14
	v_add_co_u32 v44, vcc_lo, s2, v15
	v_add_co_ci_u32_e64 v45, null, s3, v16, vcc_lo
	v_lshlrev_b64 v[62:63], 3, v[24:25]
	v_add_nc_u32_e32 v24, s10, v24
	global_load_dwordx2 v[44:45], v[44:45], off
	s_waitcnt vmcnt(0)
	v_add_f64 v[4:5], v[4:5], v[44:45]
	v_add_co_u32 v44, vcc_lo, s2, v62
	v_add_co_ci_u32_e64 v45, null, s3, v63, vcc_lo
	global_load_dwordx2 v[64:65], v[44:45], off
	s_waitcnt vmcnt(0)
	v_add_f64 v[4:5], v[4:5], v[64:65]
	v_lshlrev_b64 v[64:65], 3, v[24:25]
	v_add_nc_u32_e32 v24, s17, v24
	v_add_co_u32 v72, vcc_lo, s2, v64
	v_add_co_ci_u32_e64 v73, null, s3, v65, vcc_lo
	global_load_dwordx2 v[72:73], v[72:73], off
	s_waitcnt vmcnt(0)
	v_add_f64 v[4:5], v[4:5], v[72:73]
	global_load_dwordx2 v[72:73], v[82:83], off
	s_waitcnt vmcnt(0)
	v_add_f64 v[4:5], v[4:5], v[72:73]
	v_lshlrev_b64 v[72:73], 3, v[24:25]
	v_add_co_u32 v74, vcc_lo, s2, v72
	v_add_co_ci_u32_e64 v75, null, s3, v73, vcc_lo
	v_add_co_u32 v14, vcc_lo, s0, v15
	v_add_co_ci_u32_e64 v15, null, s1, v16, vcc_lo
	;; [unrolled: 2-line block ×3, first 2 shown]
	global_load_dwordx2 v[14:15], v[14:15], off
	v_add_co_u32 v10, vcc_lo, s2, v10
	global_load_dwordx2 v[0:1], v[0:1], off
	v_add_co_ci_u32_e64 v11, null, s3, v11, vcc_lo
	s_clause 0x1
	global_load_dwordx2 v[74:75], v[74:75], off
	global_load_dwordx2 v[10:11], v[10:11], off
	s_waitcnt vmcnt(2)
	v_add_f64 v[0:1], v[14:15], v[0:1]
	s_waitcnt vmcnt(1)
	v_add_f64 v[4:5], v[4:5], v[74:75]
	;; [unrolled: 2-line block ×3, first 2 shown]
	v_add_co_u32 v10, vcc_lo, s0, v64
	v_add_co_ci_u32_e64 v11, null, s1, v65, vcc_lo
	global_load_dwordx2 v[10:11], v[10:11], off
	s_waitcnt vmcnt(0)
	v_add_f64 v[0:1], v[0:1], v[10:11]
	v_add_co_u32 v10, vcc_lo, s0, v72
	v_add_co_ci_u32_e64 v11, null, s1, v73, vcc_lo
	global_load_dwordx2 v[10:11], v[10:11], off
	s_waitcnt vmcnt(0)
	v_add_f64 v[0:1], v[0:1], v[10:11]
	v_div_scale_f64 v[10:11], null, v[4:5], v[4:5], 1.0
	v_rcp_f64_e32 v[14:15], v[10:11]
	v_fma_f64 v[16:17], -v[10:11], v[14:15], 1.0
	v_fma_f64 v[14:15], v[14:15], v[16:17], v[14:15]
	v_fma_f64 v[16:17], -v[10:11], v[14:15], 1.0
	v_fma_f64 v[14:15], v[14:15], v[16:17], v[14:15]
	v_div_scale_f64 v[16:17], vcc_lo, 1.0, v[4:5], 1.0
	v_mul_f64 v[64:65], v[16:17], v[14:15]
	v_fma_f64 v[10:11], -v[10:11], v[64:65], v[16:17]
	v_div_fmas_f64 v[10:11], v[10:11], v[14:15], v[64:65]
	v_div_fixup_f64 v[4:5], v[10:11], v[4:5], 1.0
	v_add_co_u32 v10, vcc_lo, s8, v70
	v_add_co_ci_u32_e64 v11, null, s9, v71, vcc_lo
	v_mul_f64 v[0:1], v[4:5], v[0:1]
	global_store_dwordx2 v[10:11], v[0:1], off
	s_clause 0x2
	global_load_dwordx2 v[0:1], v[56:57], off
	global_load_dwordx2 v[10:11], v[58:59], off
	;; [unrolled: 1-line block ×3, first 2 shown]
	s_waitcnt vmcnt(1)
	v_add_f64 v[0:1], v[0:1], v[10:11]
	v_add_co_u32 v10, vcc_lo, s8, v48
	v_add_co_ci_u32_e64 v11, null, s9, v49, vcc_lo
	v_mul_f64 v[0:1], v[4:5], v[0:1]
	global_store_dwordx2 v[10:11], v[0:1], off
	global_load_dwordx2 v[0:1], v[76:77], off
	v_add_co_u32 v10, vcc_lo, s8, v50
	v_add_co_ci_u32_e64 v11, null, s9, v51, vcc_lo
	s_waitcnt vmcnt(0)
	v_mul_f64 v[0:1], v[4:5], v[0:1]
	global_store_dwordx2 v[10:11], v[0:1], off
	v_add_co_u32 v0, vcc_lo, s0, v62
	v_add_co_ci_u32_e64 v1, null, s1, v63, vcc_lo
	v_add_co_u32 v10, vcc_lo, s8, v86
	v_add_co_ci_u32_e64 v11, null, s9, v87, vcc_lo
	global_load_dwordx2 v[0:1], v[0:1], off
	s_waitcnt vmcnt(0)
	v_mul_f64 v[4:5], v[4:5], v[0:1]
	global_store_dwordx2 v[10:11], v[4:5], off
	v_mad_u64_u32 v[4:5], null, 0xffffffb9, s5, v[24:25]
	v_mov_b32_e32 v5, v25
	v_add_nc_u32_e32 v24, s16, v4
	v_lshlrev_b64 v[10:11], 3, v[4:5]
	v_lshlrev_b64 v[4:5], 3, v[24:25]
	v_add_nc_u32_e32 v24, s5, v24
	v_add_co_u32 v14, vcc_lo, s0, v10
	v_add_co_ci_u32_e64 v15, null, s1, v11, vcc_lo
	v_add_co_u32 v16, vcc_lo, s0, v4
	v_add_co_ci_u32_e64 v17, null, s1, v5, vcc_lo
	global_load_dwordx2 v[14:15], v[14:15], off
	v_lshlrev_b64 v[56:57], 3, v[24:25]
	v_add_nc_u32_e32 v24, s6, v24
	global_load_dwordx2 v[16:17], v[16:17], off
	v_lshlrev_b64 v[58:59], 3, v[24:25]
	v_add_nc_u32_e32 v24, s5, v24
	v_lshlrev_b64 v[62:63], 3, v[24:25]
	v_add_nc_u32_e32 v24, s5, v24
	;; [unrolled: 2-line block ×6, first 2 shown]
	s_waitcnt vmcnt(0)
	v_add_f64 v[14:15], v[14:15], v[16:17]
	v_add_co_u32 v16, vcc_lo, s0, v56
	v_add_co_ci_u32_e64 v17, null, s1, v57, vcc_lo
	global_load_dwordx2 v[16:17], v[16:17], off
	s_waitcnt vmcnt(0)
	v_add_f64 v[14:15], v[14:15], v[16:17]
	v_add_f64 v[0:1], v[14:15], v[0:1]
	v_add_co_u32 v14, vcc_lo, s0, v58
	v_add_co_ci_u32_e64 v15, null, s1, v59, vcc_lo
	global_load_dwordx2 v[14:15], v[14:15], off
	s_waitcnt vmcnt(0)
	v_add_f64 v[0:1], v[0:1], v[14:15]
	v_add_co_u32 v14, vcc_lo, s0, v62
	v_add_co_ci_u32_e64 v15, null, s1, v63, vcc_lo
	global_load_dwordx2 v[14:15], v[14:15], off
	s_waitcnt vmcnt(0)
	;; [unrolled: 5-line block ×3, first 2 shown]
	v_add_f64 v[0:1], v[0:1], v[14:15]
	v_add_co_u32 v14, vcc_lo, s0, v70
	v_add_co_ci_u32_e64 v15, null, s1, v71, vcc_lo
	v_add_co_u32 v16, vcc_lo, s0, v48
	v_add_co_ci_u32_e64 v17, null, s1, v49, vcc_lo
	global_load_dwordx2 v[14:15], v[14:15], off
	s_waitcnt vmcnt(0)
	v_add_f64 v[0:1], v[0:1], v[14:15]
	global_load_dwordx2 v[14:15], v[16:17], off
	s_waitcnt vmcnt(0)
	v_add_f64 v[0:1], v[0:1], v[14:15]
	;; [unrolled: 3-line block ×3, first 2 shown]
	v_add_co_u32 v14, vcc_lo, s0, v50
	v_add_co_ci_u32_e64 v15, null, s1, v51, vcc_lo
	global_load_dwordx2 v[68:69], v[14:15], off
	s_waitcnt vmcnt(0)
	v_add_f64 v[0:1], v[0:1], v[68:69]
	v_lshlrev_b64 v[68:69], 3, v[24:25]
	v_add_nc_u32_e32 v24, s6, v24
	v_add_co_u32 v72, vcc_lo, s0, v68
	v_add_co_ci_u32_e64 v73, null, s1, v69, vcc_lo
	global_load_dwordx2 v[72:73], v[72:73], off
	s_waitcnt vmcnt(0)
	v_add_f64 v[0:1], v[0:1], v[72:73]
	v_lshlrev_b64 v[72:73], 3, v[24:25]
	v_add_nc_u32_e32 v24, s5, v24
	;; [unrolled: 7-line block ×4, first 2 shown]
	v_add_co_u32 v78, vcc_lo, s0, v76
	v_add_co_ci_u32_e64 v79, null, s1, v77, vcc_lo
	global_load_dwordx2 v[78:79], v[78:79], off
	s_waitcnt vmcnt(0)
	v_add_f64 v[0:1], v[0:1], v[78:79]
	v_add_f64 v[0:1], v[0:1], v[52:53]
	global_load_dwordx2 v[52:53], v[60:61], off
	s_waitcnt vmcnt(0)
	v_add_f64 v[0:1], v[0:1], v[52:53]
	global_load_dwordx2 v[52:53], v[66:67], off
	s_waitcnt vmcnt(0)
	v_add_f64 v[0:1], v[0:1], v[52:53]
	v_lshlrev_b64 v[52:53], 3, v[24:25]
	v_add_nc_u32_e32 v24, s5, v24
	v_add_co_u32 v60, vcc_lo, s2, v52
	v_add_co_ci_u32_e64 v61, null, s3, v53, vcc_lo
	global_load_dwordx2 v[60:61], v[60:61], off
	s_waitcnt vmcnt(0)
	v_add_f64 v[0:1], v[0:1], v[60:61]
	v_lshlrev_b64 v[60:61], 3, v[24:25]
	v_add_nc_u32_e32 v24, s12, v24
	v_add_co_u32 v66, vcc_lo, s2, v60
	v_add_co_ci_u32_e64 v67, null, s3, v61, vcc_lo
	;; [unrolled: 7-line block ×5, first 2 shown]
	global_load_dwordx2 v[82:83], v[82:83], off
	s_waitcnt vmcnt(0)
	v_add_f64 v[0:1], v[0:1], v[82:83]
	v_lshlrev_b64 v[82:83], 3, v[24:25]
	v_add_co_u32 v86, vcc_lo, s2, v82
	v_add_co_ci_u32_e64 v87, null, s3, v83, vcc_lo
	v_add_co_u32 v10, vcc_lo, s2, v10
	v_add_co_ci_u32_e64 v11, null, s3, v11, vcc_lo
	;; [unrolled: 2-line block ×3, first 2 shown]
	s_clause 0x2
	global_load_dwordx2 v[86:87], v[86:87], off
	global_load_dwordx2 v[10:11], v[10:11], off
	;; [unrolled: 1-line block ×3, first 2 shown]
	s_waitcnt vmcnt(2)
	v_add_f64 v[0:1], v[0:1], v[86:87]
	s_waitcnt vmcnt(0)
	v_add_f64 v[4:5], v[10:11], v[4:5]
	v_add_co_u32 v10, vcc_lo, s2, v56
	v_add_co_ci_u32_e64 v11, null, s3, v57, vcc_lo
	global_load_dwordx2 v[10:11], v[10:11], off
	s_waitcnt vmcnt(0)
	v_add_f64 v[4:5], v[4:5], v[10:11]
	v_add_co_u32 v10, vcc_lo, s2, v58
	v_add_co_ci_u32_e64 v11, null, s3, v59, vcc_lo
	global_load_dwordx2 v[10:11], v[10:11], off
	s_waitcnt vmcnt(0)
	v_add_f64 v[4:5], v[4:5], v[10:11]
	v_add_co_u32 v10, vcc_lo, s2, v62
	v_add_co_ci_u32_e64 v11, null, s3, v63, vcc_lo
	global_load_dwordx2 v[10:11], v[10:11], off
	s_waitcnt vmcnt(0)
	v_add_f64 v[4:5], v[4:5], v[10:11]
	v_add_co_u32 v10, vcc_lo, s2, v64
	v_add_co_ci_u32_e64 v11, null, s3, v65, vcc_lo
	global_load_dwordx2 v[10:11], v[10:11], off
	s_waitcnt vmcnt(0)
	v_add_f64 v[4:5], v[4:5], v[10:11]
	v_add_co_u32 v10, vcc_lo, s2, v70
	v_add_co_ci_u32_e64 v11, null, s3, v71, vcc_lo
	global_load_dwordx2 v[10:11], v[10:11], off
	s_waitcnt vmcnt(0)
	v_add_f64 v[4:5], v[4:5], v[10:11]
	v_add_co_u32 v10, vcc_lo, s2, v68
	v_add_co_ci_u32_e64 v11, null, s3, v69, vcc_lo
	global_load_dwordx2 v[10:11], v[10:11], off
	s_waitcnt vmcnt(0)
	v_add_f64 v[4:5], v[4:5], v[10:11]
	global_load_dwordx2 v[10:11], v[84:85], off
	s_waitcnt vmcnt(0)
	v_add_f64 v[4:5], v[4:5], v[10:11]
	v_add_co_u32 v10, vcc_lo, s2, v72
	v_add_co_ci_u32_e64 v11, null, s3, v73, vcc_lo
	global_load_dwordx2 v[10:11], v[10:11], off
	s_waitcnt vmcnt(0)
	v_add_f64 v[4:5], v[4:5], v[10:11]
	v_add_co_u32 v10, vcc_lo, s2, v74
	v_add_co_ci_u32_e64 v11, null, s3, v75, vcc_lo
	;; [unrolled: 5-line block ×9, first 2 shown]
	global_load_dwordx2 v[10:11], v[10:11], off
	s_waitcnt vmcnt(0)
	v_add_f64 v[4:5], v[4:5], v[10:11]
	s_clause 0x1
	buffer_load_dword v10, off, s[20:23], 0 offset:24
	buffer_load_dword v11, off, s[20:23], 0 offset:28
	s_waitcnt vmcnt(1)
	v_add_co_u32 v46, vcc_lo, s2, v10
	s_waitcnt vmcnt(0)
	v_add_co_ci_u32_e64 v47, null, s3, v11, vcc_lo
	global_load_dwordx2 v[10:11], v[46:47], off
	s_waitcnt vmcnt(0)
	v_add_f64 v[4:5], v[4:5], v[10:11]
	v_div_scale_f64 v[10:11], null, v[0:1], v[0:1], 1.0
	v_rcp_f64_e32 v[52:53], v[10:11]
	v_fma_f64 v[56:57], -v[10:11], v[52:53], 1.0
	v_fma_f64 v[52:53], v[52:53], v[56:57], v[52:53]
	v_fma_f64 v[56:57], -v[10:11], v[52:53], 1.0
	v_fma_f64 v[52:53], v[52:53], v[56:57], v[52:53]
	v_div_scale_f64 v[56:57], vcc_lo, 1.0, v[0:1], 1.0
	v_mul_f64 v[58:59], v[56:57], v[52:53]
	v_fma_f64 v[10:11], -v[10:11], v[58:59], v[56:57]
	v_div_fmas_f64 v[10:11], v[10:11], v[52:53], v[58:59]
	v_div_fixup_f64 v[52:53], v[10:11], v[0:1], 1.0
	v_mul_f64 v[0:1], v[52:53], v[4:5]
	v_add_co_u32 v4, vcc_lo, s8, v54
	v_add_co_ci_u32_e64 v5, null, s9, v55, vcc_lo
	global_store_dwordx2 v[4:5], v[0:1], off
	s_clause 0x1
	buffer_load_dword v0, off, s[20:23], 0 offset:16
	buffer_load_dword v1, off, s[20:23], 0 offset:20
	s_waitcnt vmcnt(0)
	global_load_dwordx2 v[0:1], v[0:1], off
	s_waitcnt vmcnt(0)
	v_mul_f64 v[4:5], v[52:53], v[0:1]
	v_mad_u64_u32 v[0:1], null, 0xffffff92, s5, v[24:25]
	v_mov_b32_e32 v1, v25
	v_lshlrev_b64 v[10:11], 3, v[0:1]
	v_add_nc_u32_e32 v24, s5, v0
	v_add_co_u32 v10, vcc_lo, s8, v10
	v_add_co_ci_u32_e64 v11, null, s9, v11, vcc_lo
	v_lshlrev_b64 v[0:1], 3, v[24:25]
	v_add_nc_u32_e32 v24, s13, v24
	global_store_dwordx2 v[10:11], v[4:5], off
	global_load_dwordx2 v[4:5], v[20:21], off
	v_add_co_u32 v0, vcc_lo, s8, v0
	v_add_co_ci_u32_e64 v1, null, s9, v1, vcc_lo
	s_waitcnt vmcnt(0)
	v_mul_f64 v[4:5], v[52:53], v[4:5]
	global_store_dwordx2 v[0:1], v[4:5], off
	global_load_dwordx2 v[0:1], v[36:37], off
	global_load_dwordx2 v[4:5], v[38:39], off
	s_waitcnt vmcnt(0)
	v_add_f64 v[0:1], v[0:1], v[4:5]
	v_add_co_u32 v4, vcc_lo, s8, v26
	v_add_co_ci_u32_e64 v5, null, s9, v27, vcc_lo
	v_mul_f64 v[0:1], v[52:53], v[0:1]
	global_store_dwordx2 v[4:5], v[0:1], off
	global_load_dwordx2 v[0:1], v[44:45], off
	v_lshlrev_b64 v[4:5], 3, v[24:25]
	v_add_nc_u32_e32 v24, s12, v24
	v_add_co_u32 v4, vcc_lo, s8, v4
	v_add_co_ci_u32_e64 v5, null, s9, v5, vcc_lo
	v_add_co_u32 v36, vcc_lo, s2, v48
	v_add_co_ci_u32_e64 v37, null, s3, v49, vcc_lo
	;; [unrolled: 2-line block ×3, first 2 shown]
	s_waitcnt vmcnt(0)
	v_mul_f64 v[0:1], v[52:53], v[0:1]
	global_store_dwordx2 v[4:5], v[0:1], off
	s_clause 0x1
	global_load_dwordx2 v[0:1], v[36:37], off
	global_load_dwordx2 v[4:5], v[38:39], off
	s_waitcnt vmcnt(0)
	v_add_f64 v[0:1], v[0:1], v[4:5]
	v_lshlrev_b64 v[4:5], 3, v[24:25]
	v_add_co_u32 v4, vcc_lo, s8, v4
	v_add_co_ci_u32_e64 v5, null, s9, v5, vcc_lo
	v_mul_f64 v[0:1], v[52:53], v[0:1]
	global_store_dwordx2 v[4:5], v[0:1], off
	v_mad_u64_u32 v[0:1], null, 0x54, s5, v[24:25]
	v_mov_b32_e32 v1, v25
	v_add_nc_u32_e32 v24, s5, v0
	v_lshlrev_b64 v[4:5], 3, v[0:1]
	v_lshlrev_b64 v[48:49], 3, v[24:25]
	v_add_nc_u32_e32 v24, s5, v24
	v_add_co_u32 v10, vcc_lo, s0, v4
	v_add_co_ci_u32_e64 v11, null, s1, v5, vcc_lo
	v_add_co_u32 v0, vcc_lo, s0, v48
	v_add_co_ci_u32_e64 v1, null, s1, v49, vcc_lo
	s_clause 0x1
	global_load_dwordx2 v[10:11], v[10:11], off
	global_load_dwordx2 v[0:1], v[0:1], off
	s_waitcnt vmcnt(0)
	v_add_f64 v[0:1], v[10:11], v[0:1]
	v_lshlrev_b64 v[10:11], 3, v[24:25]
	v_add_nc_u32_e32 v24, s5, v24
	v_add_co_u32 v20, vcc_lo, s0, v10
	v_add_co_ci_u32_e64 v21, null, s1, v11, vcc_lo
	v_lshlrev_b64 v[50:51], 3, v[24:25]
	v_add_nc_u32_e32 v24, s5, v24
	global_load_dwordx2 v[20:21], v[20:21], off
	v_lshlrev_b64 v[52:53], 3, v[24:25]
	v_add_nc_u32_e32 v24, s5, v24
	v_lshlrev_b64 v[54:55], 3, v[24:25]
	v_add_nc_u32_e32 v24, s5, v24
	;; [unrolled: 2-line block ×4, first 2 shown]
	v_lshlrev_b64 v[60:61], 3, v[24:25]
	s_waitcnt vmcnt(0)
	v_add_f64 v[0:1], v[0:1], v[20:21]
	v_add_co_u32 v20, vcc_lo, s0, v50
	v_add_co_ci_u32_e64 v21, null, s1, v51, vcc_lo
	global_load_dwordx2 v[20:21], v[20:21], off
	s_waitcnt vmcnt(0)
	v_add_f64 v[0:1], v[0:1], v[20:21]
	v_add_co_u32 v20, vcc_lo, s0, v52
	v_add_co_ci_u32_e64 v21, null, s1, v53, vcc_lo
	global_load_dwordx2 v[20:21], v[20:21], off
	;; [unrolled: 5-line block ×6, first 2 shown]
	s_waitcnt vmcnt(0)
	v_add_f64 v[0:1], v[0:1], v[20:21]
	v_mad_u64_u32 v[20:21], null, 0xffffffac, s5, v[24:25]
	v_mov_b32_e32 v21, v25
	v_lshlrev_b64 v[62:63], 3, v[20:21]
	v_mad_u64_u32 v[20:21], null, s5, 62, v[20:21]
	v_mov_b32_e32 v21, v25
	v_add_co_u32 v26, vcc_lo, s2, v62
	v_add_co_ci_u32_e64 v27, null, s3, v63, vcc_lo
	v_lshlrev_b64 v[64:65], 3, v[20:21]
	v_mad_u64_u32 v[20:21], null, s5, 24, v[20:21]
	global_load_dwordx2 v[26:27], v[26:27], off
	v_mov_b32_e32 v21, v25
	v_lshlrev_b64 v[66:67], 3, v[20:21]
	v_add_nc_u32_e32 v24, s5, v20
	v_lshlrev_b64 v[68:69], 3, v[24:25]
	v_add_nc_u32_e32 v24, s5, v24
	;; [unrolled: 2-line block ×4, first 2 shown]
	s_waitcnt vmcnt(0)
	v_add_f64 v[0:1], v[0:1], v[26:27]
	v_add_co_u32 v26, vcc_lo, s2, v64
	v_add_co_ci_u32_e64 v27, null, s3, v65, vcc_lo
	global_load_dwordx2 v[26:27], v[26:27], off
	s_waitcnt vmcnt(0)
	v_add_f64 v[0:1], v[0:1], v[26:27]
	global_load_dwordx2 v[26:27], v[42:43], off
	s_waitcnt vmcnt(0)
	v_add_f64 v[0:1], v[0:1], v[26:27]
	v_add_co_u32 v26, vcc_lo, s2, v66
	v_add_co_ci_u32_e64 v27, null, s3, v67, vcc_lo
	v_add_co_u32 v20, vcc_lo, s2, v68
	v_add_co_ci_u32_e64 v21, null, s3, v69, vcc_lo
	s_clause 0x1
	global_load_dwordx2 v[26:27], v[26:27], off
	global_load_dwordx2 v[20:21], v[20:21], off
	s_waitcnt vmcnt(1)
	v_add_f64 v[0:1], v[0:1], v[26:27]
	s_waitcnt vmcnt(0)
	v_add_f64 v[0:1], v[0:1], v[20:21]
	v_add_co_u32 v20, vcc_lo, s2, v70
	v_add_co_ci_u32_e64 v21, null, s3, v71, vcc_lo
	global_load_dwordx2 v[20:21], v[20:21], off
	s_waitcnt vmcnt(0)
	v_add_f64 v[0:1], v[0:1], v[20:21]
	global_load_dwordx2 v[20:21], v[28:29], off
	s_waitcnt vmcnt(0)
	v_add_f64 v[0:1], v[0:1], v[20:21]
	v_add_co_u32 v20, vcc_lo, s2, v72
	v_add_co_ci_u32_e64 v21, null, s3, v73, vcc_lo
	global_load_dwordx2 v[20:21], v[20:21], off
	s_waitcnt vmcnt(0)
	v_add_f64 v[20:21], v[0:1], v[20:21]
	v_lshlrev_b64 v[0:1], 3, v[24:25]
	v_add_nc_u32_e32 v24, s6, v24
	v_add_co_u32 v26, vcc_lo, s2, v0
	v_add_co_ci_u32_e64 v27, null, s3, v1, vcc_lo
	v_lshlrev_b64 v[42:43], 3, v[24:25]
	v_add_nc_u32_e32 v24, s12, v24
	global_load_dwordx2 v[28:29], v[26:27], off
	s_waitcnt vmcnt(0)
	v_add_f64 v[20:21], v[20:21], v[28:29]
	v_add_co_u32 v28, vcc_lo, s2, v42
	v_add_co_ci_u32_e64 v29, null, s3, v43, vcc_lo
	global_load_dwordx2 v[44:45], v[28:29], off
	s_waitcnt vmcnt(0)
	v_add_f64 v[74:75], v[20:21], v[44:45]
	v_lshlrev_b64 v[44:45], 3, v[24:25]
	v_add_nc_u32_e32 v24, s7, v24
	v_add_co_u32 v20, vcc_lo, s2, v44
	v_add_co_ci_u32_e64 v21, null, s3, v45, vcc_lo
	v_add_co_u32 v62, vcc_lo, s0, v62
	v_add_co_ci_u32_e64 v63, null, s1, v63, vcc_lo
	v_add_co_u32 v64, vcc_lo, s0, v64
	v_add_co_ci_u32_e64 v65, null, s1, v65, vcc_lo
	global_load_dwordx2 v[62:63], v[62:63], off
	v_add_co_u32 v4, vcc_lo, s2, v4
	global_load_dwordx2 v[64:65], v[64:65], off
	v_add_co_ci_u32_e64 v5, null, s3, v5, vcc_lo
	v_add_co_u32 v48, vcc_lo, s2, v48
	v_add_co_ci_u32_e64 v49, null, s3, v49, vcc_lo
	s_clause 0x1
	global_load_dwordx2 v[4:5], v[4:5], off
	global_load_dwordx2 v[76:77], v[20:21], off
	v_add_co_u32 v10, vcc_lo, s2, v10
	global_load_dwordx2 v[48:49], v[48:49], off
	v_add_co_ci_u32_e64 v11, null, s3, v11, vcc_lo
	global_load_dwordx2 v[10:11], v[10:11], off
	s_waitcnt vmcnt(4)
	v_add_f64 v[62:63], v[62:63], v[64:65]
	s_waitcnt vmcnt(2)
	v_add_f64 v[74:75], v[74:75], v[76:77]
	v_add_f64 v[4:5], v[62:63], v[4:5]
	s_waitcnt vmcnt(1)
	v_add_f64 v[4:5], v[4:5], v[48:49]
	s_waitcnt vmcnt(0)
	v_add_f64 v[4:5], v[4:5], v[10:11]
	v_add_co_u32 v10, vcc_lo, s2, v50
	v_add_co_ci_u32_e64 v11, null, s3, v51, vcc_lo
	global_load_dwordx2 v[10:11], v[10:11], off
	s_waitcnt vmcnt(0)
	v_add_f64 v[4:5], v[4:5], v[10:11]
	v_add_co_u32 v10, vcc_lo, s2, v52
	v_add_co_ci_u32_e64 v11, null, s3, v53, vcc_lo
	global_load_dwordx2 v[10:11], v[10:11], off
	;; [unrolled: 5-line block ×6, first 2 shown]
	s_waitcnt vmcnt(0)
	v_add_f64 v[4:5], v[4:5], v[10:11]
	global_load_dwordx2 v[10:11], v[34:35], off
	s_waitcnt vmcnt(0)
	v_add_f64 v[4:5], v[4:5], v[10:11]
	v_add_co_u32 v10, vcc_lo, s0, v66
	v_add_co_ci_u32_e64 v11, null, s1, v67, vcc_lo
	global_load_dwordx2 v[10:11], v[10:11], off
	s_waitcnt vmcnt(0)
	v_add_f64 v[4:5], v[4:5], v[10:11]
	v_add_co_u32 v10, vcc_lo, s0, v68
	v_add_co_ci_u32_e64 v11, null, s1, v69, vcc_lo
	;; [unrolled: 5-line block ×4, first 2 shown]
	global_load_dwordx2 v[10:11], v[10:11], off
	s_waitcnt vmcnt(0)
	v_add_f64 v[4:5], v[4:5], v[10:11]
	global_load_dwordx2 v[10:11], v[32:33], off
	s_waitcnt vmcnt(0)
	v_add_f64 v[4:5], v[4:5], v[10:11]
	;; [unrolled: 3-line block ×3, first 2 shown]
	v_div_scale_f64 v[10:11], null, v[74:75], v[74:75], 1.0
	v_rcp_f64_e32 v[32:33], v[10:11]
	v_fma_f64 v[34:35], -v[10:11], v[32:33], 1.0
	v_fma_f64 v[32:33], v[32:33], v[34:35], v[32:33]
	v_fma_f64 v[34:35], -v[10:11], v[32:33], 1.0
	v_fma_f64 v[32:33], v[32:33], v[34:35], v[32:33]
	v_div_scale_f64 v[34:35], vcc_lo, 1.0, v[74:75], 1.0
	v_mul_f64 v[46:47], v[34:35], v[32:33]
	v_fma_f64 v[10:11], -v[10:11], v[46:47], v[34:35]
	v_div_fmas_f64 v[10:11], v[10:11], v[32:33], v[46:47]
	v_div_fixup_f64 v[32:33], v[10:11], v[74:75], 1.0
	v_add_co_u32 v10, vcc_lo, s8, v22
	v_add_co_ci_u32_e64 v11, null, s9, v23, vcc_lo
	v_mul_f64 v[4:5], v[32:33], v[4:5]
	global_store_dwordx2 v[10:11], v[4:5], off
	global_load_dwordx2 v[4:5], v[18:19], off
	v_add_co_u32 v10, vcc_lo, s8, v12
	v_add_co_ci_u32_e64 v11, null, s9, v13, vcc_lo
	v_add_co_u32 v6, vcc_lo, s8, v6
	v_add_co_ci_u32_e64 v7, null, s9, v7, vcc_lo
	;; [unrolled: 2-line block ×4, first 2 shown]
	s_waitcnt vmcnt(0)
	v_mul_f64 v[4:5], v[32:33], v[4:5]
	global_store_dwordx2 v[10:11], v[4:5], off
	s_clause 0x1
	buffer_load_dword v4, off, s[20:23], 0 offset:8
	buffer_load_dword v5, off, s[20:23], 0 offset:12
	s_clause 0x1
	global_load_dwordx2 v[10:11], v[0:1], off
	global_load_dwordx2 v[0:1], v[12:13], off
	;; [unrolled: 1-line block ×3, first 2 shown]
	s_waitcnt vmcnt(3)
	global_load_dwordx2 v[4:5], v[4:5], off
	s_waitcnt vmcnt(0)
	v_mul_f64 v[4:5], v[32:33], v[4:5]
	global_store_dwordx2 v[6:7], v[4:5], off
	v_add_co_u32 v6, vcc_lo, s0, v44
	v_add_co_ci_u32_e64 v7, null, s1, v45, vcc_lo
	global_load_dwordx2 v[4:5], v[6:7], off
	v_add_f64 v[0:1], v[10:11], v[0:1]
	s_waitcnt vmcnt(0)
	v_add_f64 v[0:1], v[0:1], v[4:5]
	v_add_co_u32 v4, vcc_lo, s8, v8
	v_add_co_ci_u32_e64 v5, null, s9, v9, vcc_lo
	v_mul_f64 v[0:1], v[32:33], v[0:1]
	global_store_dwordx2 v[4:5], v[0:1], off
	v_lshlrev_b64 v[0:1], 3, v[24:25]
	v_add_nc_u32_e32 v24, s5, v24
	v_lshlrev_b64 v[8:9], 3, v[24:25]
	v_add_co_u32 v4, vcc_lo, s0, v0
	v_add_co_ci_u32_e64 v5, null, s1, v1, vcc_lo
	v_add_nc_u32_e32 v24, s6, v24
	v_add_co_u32 v18, vcc_lo, s0, v8
	v_add_co_ci_u32_e64 v19, null, s1, v9, vcc_lo
	global_load_dwordx2 v[4:5], v[4:5], off
	v_lshlrev_b64 v[22:23], 3, v[24:25]
	v_add_nc_u32_e32 v24, s5, v24
	global_load_dwordx2 v[18:19], v[18:19], off
	s_waitcnt vmcnt(0)
	v_add_f64 v[4:5], v[4:5], v[18:19]
	global_load_dwordx2 v[18:19], v[30:31], off
	v_lshlrev_b64 v[30:31], 3, v[24:25]
	v_add_nc_u32_e32 v24, s5, v24
	v_lshlrev_b64 v[32:33], 3, v[24:25]
	v_add_nc_u32_e32 v24, s5, v24
	;; [unrolled: 2-line block ×3, first 2 shown]
	v_lshlrev_b64 v[42:43], 3, v[24:25]
	s_waitcnt vmcnt(0)
	v_add_f64 v[4:5], v[4:5], v[18:19]
	v_add_co_u32 v18, vcc_lo, s0, v22
	v_add_co_ci_u32_e64 v19, null, s1, v23, vcc_lo
	global_load_dwordx2 v[18:19], v[18:19], off
	s_waitcnt vmcnt(0)
	v_add_f64 v[4:5], v[4:5], v[18:19]
	v_add_co_u32 v18, vcc_lo, s0, v30
	v_add_co_ci_u32_e64 v19, null, s1, v31, vcc_lo
	global_load_dwordx2 v[18:19], v[18:19], off
	s_waitcnt vmcnt(0)
	v_add_f64 v[4:5], v[4:5], v[18:19]
	v_add_co_u32 v18, vcc_lo, s0, v32
	v_add_co_ci_u32_e64 v19, null, s1, v33, vcc_lo
	global_load_dwordx2 v[18:19], v[18:19], off
	s_waitcnt vmcnt(0)
	v_add_f64 v[4:5], v[4:5], v[18:19]
	v_add_co_u32 v18, vcc_lo, s0, v34
	v_add_co_ci_u32_e64 v19, null, s1, v35, vcc_lo
	global_load_dwordx2 v[18:19], v[18:19], off
	s_waitcnt vmcnt(0)
	v_add_f64 v[4:5], v[4:5], v[18:19]
	v_add_co_u32 v18, vcc_lo, s0, v42
	v_add_co_ci_u32_e64 v19, null, s1, v43, vcc_lo
	global_load_dwordx2 v[18:19], v[18:19], off
	s_waitcnt vmcnt(0)
	v_add_f64 v[4:5], v[4:5], v[18:19]
	v_mad_u64_u32 v[18:19], null, 0xffffffe4, s5, v[24:25]
	v_mov_b32_e32 v19, v25
	v_lshlrev_b64 v[44:45], 3, v[18:19]
	v_add_co_u32 v46, vcc_lo, s2, v44
	v_add_co_ci_u32_e64 v47, null, s3, v45, vcc_lo
	global_load_dwordx2 v[46:47], v[46:47], off
	s_waitcnt vmcnt(0)
	v_add_f64 v[4:5], v[4:5], v[46:47]
	v_add_f64 v[4:5], v[4:5], v[36:37]
	global_load_dwordx2 v[36:37], v[38:39], off
	s_waitcnt vmcnt(0)
	v_add_f64 v[4:5], v[4:5], v[36:37]
	v_add_co_u32 v36, vcc_lo, s0, v44
	v_add_co_ci_u32_e64 v37, null, s1, v45, vcc_lo
	v_add_co_u32 v0, vcc_lo, s2, v0
	v_add_co_ci_u32_e64 v1, null, s3, v1, vcc_lo
	global_load_dwordx2 v[36:37], v[36:37], off
	v_add_co_u32 v8, vcc_lo, s2, v8
	global_load_dwordx2 v[0:1], v[0:1], off
	v_add_co_ci_u32_e64 v9, null, s3, v9, vcc_lo
	global_load_dwordx2 v[8:9], v[8:9], off
	s_waitcnt vmcnt(1)
	v_add_f64 v[0:1], v[36:37], v[0:1]
	s_waitcnt vmcnt(0)
	v_add_f64 v[0:1], v[0:1], v[8:9]
	v_add_co_u32 v8, vcc_lo, s2, v22
	v_add_co_ci_u32_e64 v9, null, s3, v23, vcc_lo
	global_load_dwordx2 v[8:9], v[8:9], off
	s_waitcnt vmcnt(0)
	v_add_f64 v[0:1], v[0:1], v[8:9]
	v_add_co_u32 v8, vcc_lo, s2, v30
	v_add_co_ci_u32_e64 v9, null, s3, v31, vcc_lo
	global_load_dwordx2 v[8:9], v[8:9], off
	;; [unrolled: 5-line block ×5, first 2 shown]
	s_waitcnt vmcnt(0)
	v_add_f64 v[0:1], v[0:1], v[8:9]
	v_div_scale_f64 v[8:9], null, v[4:5], v[4:5], 1.0
	v_rcp_f64_e32 v[22:23], v[8:9]
	v_fma_f64 v[30:31], -v[8:9], v[22:23], 1.0
	v_fma_f64 v[22:23], v[22:23], v[30:31], v[22:23]
	v_fma_f64 v[30:31], -v[8:9], v[22:23], 1.0
	v_fma_f64 v[22:23], v[22:23], v[30:31], v[22:23]
	v_div_scale_f64 v[30:31], vcc_lo, 1.0, v[4:5], 1.0
	v_mul_f64 v[32:33], v[30:31], v[22:23]
	v_fma_f64 v[8:9], -v[8:9], v[32:33], v[30:31]
	v_div_fmas_f64 v[8:9], v[8:9], v[22:23], v[32:33]
	v_div_fixup_f64 v[8:9], v[8:9], v[4:5], 1.0
	v_add_co_u32 v4, vcc_lo, s8, v40
	v_add_co_ci_u32_e64 v5, null, s9, v41, vcc_lo
	v_mul_f64 v[0:1], v[8:9], v[0:1]
	global_store_dwordx2 v[4:5], v[0:1], off
	s_clause 0x1
	buffer_load_dword v0, off, s[20:23], 0
	buffer_load_dword v1, off, s[20:23], 0 offset:4
	v_mad_u64_u32 v[4:5], null, 0xffffffe9, s5, v[18:19]
	v_mov_b32_e32 v5, v25
	v_lshlrev_b64 v[18:19], 3, v[4:5]
	v_add_co_u32 v18, vcc_lo, s8, v18
	v_add_co_ci_u32_e64 v19, null, s9, v19, vcc_lo
	v_add_co_u32 v2, vcc_lo, s8, v2
	v_add_co_ci_u32_e64 v3, null, s9, v3, vcc_lo
	s_waitcnt vmcnt(0)
	global_load_dwordx2 v[0:1], v[0:1], off
	s_waitcnt vmcnt(0)
	v_mul_f64 v[0:1], v[8:9], v[0:1]
	global_store_dwordx2 v[18:19], v[0:1], off
	s_clause 0x1
	global_load_dwordx2 v[0:1], v[16:17], off
	global_load_dwordx2 v[14:15], v[14:15], off
	s_waitcnt vmcnt(0)
	v_add_f64 v[0:1], v[0:1], v[14:15]
	v_mul_f64 v[0:1], v[8:9], v[0:1]
	global_load_dwordx2 v[8:9], v[12:13], off
	global_store_dwordx2 v[2:3], v[0:1], off
	v_mad_u64_u32 v[0:1], null, 0x61, s5, v[4:5]
	v_mov_b32_e32 v1, v25
	global_load_dwordx2 v[5:6], v[6:7], off
	v_lshlrev_b64 v[1:2], 3, v[0:1]
	v_add_nc_u32_e32 v24, s6, v0
	v_add_co_u32 v3, vcc_lo, s0, v1
	v_add_co_ci_u32_e64 v4, null, s1, v2, vcc_lo
	global_load_dwordx2 v[3:4], v[3:4], off
	s_waitcnt vmcnt(0)
	v_add_f64 v[3:4], v[10:11], v[3:4]
	v_add_f64 v[3:4], v[3:4], v[8:9]
	v_lshlrev_b64 v[8:9], 3, v[24:25]
	v_add_nc_u32_e32 v24, s5, v24
	v_add_co_u32 v10, vcc_lo, s0, v8
	v_add_co_ci_u32_e64 v11, null, s1, v9, vcc_lo
	global_load_dwordx2 v[10:11], v[10:11], off
	s_waitcnt vmcnt(0)
	v_add_f64 v[3:4], v[3:4], v[10:11]
	v_lshlrev_b64 v[10:11], 3, v[24:25]
	v_add_nc_u32_e32 v24, s6, v24
	v_add_co_u32 v12, vcc_lo, s0, v10
	v_add_co_ci_u32_e64 v13, null, s1, v11, vcc_lo
	global_load_dwordx2 v[12:13], v[12:13], off
	s_waitcnt vmcnt(0)
	v_add_f64 v[3:4], v[3:4], v[12:13]
	v_add_f64 v[3:4], v[3:4], v[5:6]
	v_lshlrev_b64 v[5:6], 3, v[24:25]
	v_add_co_u32 v12, vcc_lo, s0, v5
	v_add_co_ci_u32_e64 v13, null, s1, v6, vcc_lo
	global_load_dwordx2 v[12:13], v[12:13], off
	s_waitcnt vmcnt(0)
	v_add_f64 v[3:4], v[3:4], v[12:13]
	v_mad_u64_u32 v[12:13], null, 0xffffffdc, s5, v[24:25]
	v_mov_b32_e32 v13, v25
	v_lshlrev_b64 v[13:14], 3, v[12:13]
	v_add_nc_u32_e32 v24, s10, v12
	v_add_co_u32 v15, vcc_lo, s2, v13
	v_add_co_ci_u32_e64 v16, null, s3, v14, vcc_lo
	global_load_dwordx2 v[15:16], v[15:16], off
	s_waitcnt vmcnt(0)
	v_add_f64 v[3:4], v[3:4], v[15:16]
	v_lshlrev_b64 v[15:16], 3, v[24:25]
	v_add_co_u32 v17, vcc_lo, s2, v15
	v_add_co_ci_u32_e64 v18, null, s3, v16, vcc_lo
	v_add_co_u32 v12, vcc_lo, s0, v13
	v_add_co_ci_u32_e64 v13, null, s1, v14, vcc_lo
	;; [unrolled: 2-line block ×3, first 2 shown]
	global_load_dwordx2 v[12:13], v[12:13], off
	v_add_co_u32 v0, vcc_lo, s2, v1
	global_load_dwordx2 v[14:15], v[14:15], off
	v_add_co_ci_u32_e64 v1, null, s3, v2, vcc_lo
	v_add_co_u32 v7, vcc_lo, s2, v8
	v_add_co_ci_u32_e64 v8, null, s3, v9, vcc_lo
	s_clause 0x2
	global_load_dwordx2 v[0:1], v[0:1], off
	global_load_dwordx2 v[17:18], v[17:18], off
	;; [unrolled: 1-line block ×3, first 2 shown]
	s_waitcnt vmcnt(3)
	v_add_f64 v[12:13], v[12:13], v[14:15]
	s_waitcnt vmcnt(2)
	v_add_f64 v[0:1], v[12:13], v[0:1]
	;; [unrolled: 2-line block ×3, first 2 shown]
	v_add_co_u32 v7, vcc_lo, s2, v10
	v_add_co_ci_u32_e64 v8, null, s3, v11, vcc_lo
	v_add_co_u32 v5, vcc_lo, s2, v5
	v_add_co_ci_u32_e64 v6, null, s3, v6, vcc_lo
	global_load_dwordx2 v[7:8], v[7:8], off
	v_add_f64 v[3:4], v[3:4], v[17:18]
	global_load_dwordx2 v[5:6], v[5:6], off
	s_waitcnt vmcnt(1)
	v_add_f64 v[0:1], v[0:1], v[7:8]
	s_waitcnt vmcnt(0)
	v_add_f64 v[0:1], v[0:1], v[5:6]
	v_div_scale_f64 v[5:6], null, v[3:4], v[3:4], 1.0
	v_rcp_f64_e32 v[7:8], v[5:6]
	v_fma_f64 v[9:10], -v[5:6], v[7:8], 1.0
	v_fma_f64 v[7:8], v[7:8], v[9:10], v[7:8]
	v_fma_f64 v[9:10], -v[5:6], v[7:8], 1.0
	v_fma_f64 v[7:8], v[7:8], v[9:10], v[7:8]
	v_div_scale_f64 v[9:10], vcc_lo, 1.0, v[3:4], 1.0
	v_mul_f64 v[11:12], v[9:10], v[7:8]
	v_fma_f64 v[5:6], -v[5:6], v[11:12], v[9:10]
	v_div_fmas_f64 v[5:6], v[5:6], v[7:8], v[11:12]
	v_div_fixup_f64 v[4:5], v[5:6], v[3:4], 1.0
	v_mad_u64_u32 v[2:3], null, 0xffffffb0, s5, v[24:25]
	v_mov_b32_e32 v3, v25
	v_lshlrev_b64 v[6:7], 3, v[2:3]
	v_add_nc_u32_e32 v24, s4, v2
	v_add_co_u32 v6, vcc_lo, s8, v6
	v_add_co_ci_u32_e64 v7, null, s9, v7, vcc_lo
	v_lshlrev_b64 v[2:3], 3, v[24:25]
	v_mul_f64 v[0:1], v[4:5], v[0:1]
	v_add_co_u32 v2, vcc_lo, s8, v2
	v_add_co_ci_u32_e64 v3, null, s9, v3, vcc_lo
	global_store_dwordx2 v[6:7], v[0:1], off
	s_clause 0x2
	global_load_dwordx2 v[0:1], v[26:27], off
	global_load_dwordx2 v[6:7], v[28:29], off
	global_load_dwordx2 v[8:9], v[20:21], off
	s_waitcnt vmcnt(1)
	v_add_f64 v[6:7], v[0:1], v[6:7]
	s_waitcnt vmcnt(0)
	v_add_f64 v[0:1], v[6:7], v[8:9]
	v_mul_f64 v[0:1], v[4:5], v[0:1]
	global_store_dwordx2 v[2:3], v[0:1], off
	s_endpgm
	.section	.rodata,"a",@progbits
	.p2align	6, 0x0
	.amdhsa_kernel _Z11qssa_kernelIdEvPT_S1_S1_
		.amdhsa_group_segment_fixed_size 0
		.amdhsa_private_segment_fixed_size 36
		.amdhsa_kernarg_size 280
		.amdhsa_user_sgpr_count 6
		.amdhsa_user_sgpr_private_segment_buffer 1
		.amdhsa_user_sgpr_dispatch_ptr 0
		.amdhsa_user_sgpr_queue_ptr 0
		.amdhsa_user_sgpr_kernarg_segment_ptr 1
		.amdhsa_user_sgpr_dispatch_id 0
		.amdhsa_user_sgpr_flat_scratch_init 0
		.amdhsa_user_sgpr_private_segment_size 0
		.amdhsa_wavefront_size32 1
		.amdhsa_uses_dynamic_stack 0
		.amdhsa_system_sgpr_private_segment_wavefront_offset 1
		.amdhsa_system_sgpr_workgroup_id_x 1
		.amdhsa_system_sgpr_workgroup_id_y 0
		.amdhsa_system_sgpr_workgroup_id_z 0
		.amdhsa_system_sgpr_workgroup_info 0
		.amdhsa_system_vgpr_workitem_id 0
		.amdhsa_next_free_vgpr 128
		.amdhsa_next_free_sgpr 24
		.amdhsa_reserve_vcc 1
		.amdhsa_reserve_flat_scratch 0
		.amdhsa_float_round_mode_32 0
		.amdhsa_float_round_mode_16_64 0
		.amdhsa_float_denorm_mode_32 3
		.amdhsa_float_denorm_mode_16_64 3
		.amdhsa_dx10_clamp 1
		.amdhsa_ieee_mode 1
		.amdhsa_fp16_overflow 0
		.amdhsa_workgroup_processor_mode 1
		.amdhsa_memory_ordered 1
		.amdhsa_forward_progress 1
		.amdhsa_shared_vgpr_count 0
		.amdhsa_exception_fp_ieee_invalid_op 0
		.amdhsa_exception_fp_denorm_src 0
		.amdhsa_exception_fp_ieee_div_zero 0
		.amdhsa_exception_fp_ieee_overflow 0
		.amdhsa_exception_fp_ieee_underflow 0
		.amdhsa_exception_fp_ieee_inexact 0
		.amdhsa_exception_int_div_zero 0
	.end_amdhsa_kernel
	.section	.text._Z11qssa_kernelIdEvPT_S1_S1_,"axG",@progbits,_Z11qssa_kernelIdEvPT_S1_S1_,comdat
.Lfunc_end43:
	.size	_Z11qssa_kernelIdEvPT_S1_S1_, .Lfunc_end43-_Z11qssa_kernelIdEvPT_S1_S1_
                                        ; -- End function
	.set _Z11qssa_kernelIdEvPT_S1_S1_.num_vgpr, 128
	.set _Z11qssa_kernelIdEvPT_S1_S1_.num_agpr, 0
	.set _Z11qssa_kernelIdEvPT_S1_S1_.numbered_sgpr, 24
	.set _Z11qssa_kernelIdEvPT_S1_S1_.num_named_barrier, 0
	.set _Z11qssa_kernelIdEvPT_S1_S1_.private_seg_size, 36
	.set _Z11qssa_kernelIdEvPT_S1_S1_.uses_vcc, 1
	.set _Z11qssa_kernelIdEvPT_S1_S1_.uses_flat_scratch, 0
	.set _Z11qssa_kernelIdEvPT_S1_S1_.has_dyn_sized_stack, 0
	.set _Z11qssa_kernelIdEvPT_S1_S1_.has_recursion, 0
	.set _Z11qssa_kernelIdEvPT_S1_S1_.has_indirect_call, 0
	.section	.AMDGPU.csdata,"",@progbits
; Kernel info:
; codeLenInByte = 15736
; TotalNumSgprs: 26
; NumVgprs: 128
; ScratchSize: 36
; MemoryBound: 1
; FloatMode: 240
; IeeeMode: 1
; LDSByteSize: 0 bytes/workgroup (compile time only)
; SGPRBlocks: 0
; VGPRBlocks: 15
; NumSGPRsForWavesPerEU: 26
; NumVGPRsForWavesPerEU: 128
; Occupancy: 8
; WaveLimiterHint : 1
; COMPUTE_PGM_RSRC2:SCRATCH_EN: 1
; COMPUTE_PGM_RSRC2:USER_SGPR: 6
; COMPUTE_PGM_RSRC2:TRAP_HANDLER: 0
; COMPUTE_PGM_RSRC2:TGID_X_EN: 1
; COMPUTE_PGM_RSRC2:TGID_Y_EN: 0
; COMPUTE_PGM_RSRC2:TGID_Z_EN: 0
; COMPUTE_PGM_RSRC2:TIDIG_COMP_CNT: 0
	.section	.text._Z12qssab_kernelIdEvPT_S1_S1_,"axG",@progbits,_Z12qssab_kernelIdEvPT_S1_S1_,comdat
	.protected	_Z12qssab_kernelIdEvPT_S1_S1_ ; -- Begin function _Z12qssab_kernelIdEvPT_S1_S1_
	.globl	_Z12qssab_kernelIdEvPT_S1_S1_
	.p2align	8
	.type	_Z12qssab_kernelIdEvPT_S1_S1_,@function
_Z12qssab_kernelIdEvPT_S1_S1_:          ; @_Z12qssab_kernelIdEvPT_S1_S1_
; %bb.0:
	s_clause 0x1
	s_load_dword s0, s[4:5], 0x24
	s_load_dword s2, s[4:5], 0x18
	v_mov_b32_e32 v13, 0
	s_waitcnt lgkmcnt(0)
	s_and_b32 s3, s0, 0xffff
	s_load_dwordx2 s[0:1], s[4:5], 0x10
	s_mul_i32 s2, s2, s3
	s_mul_i32 s6, s6, s3
	;; [unrolled: 1-line block ×4, first 2 shown]
	v_add3_u32 v12, s3, s6, v0
	s_mul_i32 s8, s2, 5
	s_mul_i32 s4, s2, 3
	s_lshl_b32 s3, s2, 1
	s_mul_i32 s9, s2, 7
	v_mad_u64_u32 v[0:1], null, s2, 10, v[12:13]
	v_mov_b32_e32 v1, v13
	v_lshlrev_b64 v[2:3], 3, v[12:13]
	s_mul_i32 s6, s2, 9
	s_mul_i32 s7, s2, -3
	v_mad_u64_u32 v[4:5], null, s2, 12, v[0:1]
	v_mov_b32_e32 v5, v13
	v_lshlrev_b64 v[0:1], 3, v[0:1]
	s_waitcnt lgkmcnt(0)
	v_add_co_u32 v18, vcc_lo, s0, v2
	v_add_co_ci_u32_e64 v19, null, s1, v3, vcc_lo
	v_lshlrev_b64 v[2:3], 3, v[4:5]
	v_add_co_u32 v0, vcc_lo, s0, v0
	v_add_co_ci_u32_e64 v1, null, s1, v1, vcc_lo
	v_lshl_add_u32 v12, s2, 3, v4
	v_add_co_u32 v2, vcc_lo, s0, v2
	v_add_co_ci_u32_e64 v3, null, s1, v3, vcc_lo
	s_clause 0x2
	global_load_dwordx2 v[5:6], v[18:19], off
	global_load_dwordx2 v[7:8], v[0:1], off
	;; [unrolled: 1-line block ×3, first 2 shown]
	s_waitcnt vmcnt(0)
	v_fma_f64 v[2:3], v[7:8], v[2:3], v[5:6]
	v_lshlrev_b64 v[4:5], 3, v[12:13]
	v_add_co_u32 v4, vcc_lo, s0, v4
	v_add_co_ci_u32_e64 v5, null, s1, v5, vcc_lo
	global_store_dwordx2 v[18:19], v[2:3], off
	s_clause 0x1
	global_load_dwordx2 v[0:1], v[0:1], off
	global_load_dwordx2 v[4:5], v[4:5], off
	s_waitcnt vmcnt(0)
	v_fma_f64 v[0:1], -v[0:1], v[4:5], 1.0
	v_div_scale_f64 v[4:5], null, v[0:1], v[0:1], 1.0
	v_div_scale_f64 v[10:11], vcc_lo, 1.0, v[0:1], 1.0
	v_rcp_f64_e32 v[6:7], v[4:5]
	v_fma_f64 v[8:9], -v[4:5], v[6:7], 1.0
	v_fma_f64 v[6:7], v[6:7], v[8:9], v[6:7]
	v_fma_f64 v[8:9], -v[4:5], v[6:7], 1.0
	v_fma_f64 v[6:7], v[6:7], v[8:9], v[6:7]
	v_mul_f64 v[8:9], v[10:11], v[6:7]
	v_fma_f64 v[4:5], -v[4:5], v[8:9], v[10:11]
	v_div_fmas_f64 v[4:5], v[4:5], v[6:7], v[8:9]
	v_div_fixup_f64 v[0:1], v[4:5], v[0:1], 1.0
	v_mad_u64_u32 v[4:5], null, 0xffffffe6, s2, v[12:13]
	v_mov_b32_e32 v5, v13
	v_lshlrev_b64 v[5:6], 3, v[4:5]
	v_subrev_nc_u32_e32 v12, s2, v4
	v_add_co_u32 v26, vcc_lo, s0, v5
	v_add_co_ci_u32_e64 v27, null, s1, v6, vcc_lo
	v_lshlrev_b64 v[4:5], 3, v[12:13]
	v_add_nc_u32_e32 v12, s5, v12
	v_mul_f64 v[2:3], v[2:3], v[0:1]
	v_add_co_u32 v30, vcc_lo, s0, v4
	v_add_co_ci_u32_e64 v31, null, s1, v5, vcc_lo
	v_lshlrev_b64 v[4:5], 3, v[12:13]
	v_add_nc_u32_e32 v12, s8, v12
	v_mad_u64_u32 v[6:7], null, s2, 17, v[12:13]
	v_mov_b32_e32 v7, v13
	v_lshlrev_b64 v[8:9], 3, v[12:13]
	v_add_nc_u32_e32 v12, s4, v6
	global_store_dwordx2 v[18:19], v[2:3], off
	global_load_dwordx2 v[2:3], v[26:27], off
	s_waitcnt vmcnt(0)
	v_mul_f64 v[2:3], v[2:3], v[0:1]
	global_store_dwordx2 v[26:27], v[2:3], off
	global_load_dwordx2 v[2:3], v[30:31], off
	s_waitcnt vmcnt(0)
	v_mul_f64 v[2:3], v[0:1], v[2:3]
	v_add_co_u32 v0, vcc_lo, s0, v4
	v_add_co_ci_u32_e64 v1, null, s1, v5, vcc_lo
	v_lshlrev_b64 v[4:5], 3, v[6:7]
	v_add_co_u32 v7, vcc_lo, s0, v8
	v_add_co_ci_u32_e64 v8, null, s1, v9, vcc_lo
	v_add_co_u32 v4, vcc_lo, s0, v4
	v_add_co_ci_u32_e64 v5, null, s1, v5, vcc_lo
	global_store_dwordx2 v[30:31], v[2:3], off
	s_clause 0x2
	global_load_dwordx2 v[2:3], v[0:1], off
	global_load_dwordx2 v[9:10], v[7:8], off
	global_load_dwordx2 v[4:5], v[4:5], off
	s_waitcnt vmcnt(0)
	v_fma_f64 v[2:3], v[9:10], v[4:5], v[2:3]
	v_lshlrev_b64 v[4:5], 3, v[12:13]
	v_add_co_u32 v4, vcc_lo, s0, v4
	v_add_co_ci_u32_e64 v5, null, s1, v5, vcc_lo
	global_store_dwordx2 v[0:1], v[2:3], off
	s_clause 0x1
	global_load_dwordx2 v[6:7], v[7:8], off
	global_load_dwordx2 v[4:5], v[4:5], off
	s_waitcnt vmcnt(0)
	v_fma_f64 v[4:5], -v[6:7], v[4:5], 1.0
	v_div_scale_f64 v[6:7], null, v[4:5], v[4:5], 1.0
	v_div_scale_f64 v[14:15], vcc_lo, 1.0, v[4:5], 1.0
	v_rcp_f64_e32 v[8:9], v[6:7]
	v_fma_f64 v[10:11], -v[6:7], v[8:9], 1.0
	v_fma_f64 v[8:9], v[8:9], v[10:11], v[8:9]
	v_fma_f64 v[10:11], -v[6:7], v[8:9], 1.0
	v_fma_f64 v[8:9], v[8:9], v[10:11], v[8:9]
	v_mul_f64 v[10:11], v[14:15], v[8:9]
	v_fma_f64 v[6:7], -v[6:7], v[10:11], v[14:15]
	v_div_fmas_f64 v[6:7], v[6:7], v[8:9], v[10:11]
	v_mad_u64_u32 v[8:9], null, 0xffffffeb, s2, v[12:13]
	v_mov_b32_e32 v9, v13
	v_subrev_nc_u32_e32 v12, s3, v8
	v_div_fixup_f64 v[4:5], v[6:7], v[4:5], 1.0
	v_mul_f64 v[6:7], v[2:3], v[4:5]
	v_lshlrev_b64 v[2:3], 3, v[8:9]
	v_add_co_u32 v2, vcc_lo, s0, v2
	v_add_co_ci_u32_e64 v3, null, s1, v3, vcc_lo
	global_store_dwordx2 v[0:1], v[6:7], off
	global_load_dwordx2 v[6:7], v[2:3], off
	s_waitcnt vmcnt(0)
	v_mul_f64 v[9:10], v[6:7], v[4:5]
	v_lshlrev_b64 v[6:7], 3, v[12:13]
	v_subrev_nc_u32_e32 v12, s2, v12
	v_add_co_u32 v6, vcc_lo, s0, v6
	v_add_co_ci_u32_e64 v7, null, s1, v7, vcc_lo
	global_store_dwordx2 v[2:3], v[9:10], off
	global_load_dwordx2 v[8:9], v[6:7], off
	v_lshlrev_b64 v[10:11], 3, v[12:13]
	v_add_nc_u32_e32 v12, s9, v12
	v_add_co_u32 v20, vcc_lo, s0, v10
	v_add_co_ci_u32_e64 v21, null, s1, v11, vcc_lo
	v_lshlrev_b64 v[10:11], 3, v[12:13]
	v_subrev_nc_u32_e32 v12, s3, v12
	v_add_co_u32 v34, vcc_lo, s0, v10
	v_add_co_ci_u32_e64 v35, null, s1, v11, vcc_lo
	v_lshlrev_b64 v[10:11], 3, v[12:13]
	v_add_nc_u32_e32 v12, s8, v12
	v_add_co_u32 v32, vcc_lo, s0, v10
	v_add_co_ci_u32_e64 v33, null, s1, v11, vcc_lo
	v_lshlrev_b64 v[10:11], 3, v[12:13]
	v_add_nc_u32_e32 v12, s6, v12
	v_mad_u64_u32 v[14:15], null, s2, 46, v[12:13]
	v_mov_b32_e32 v15, v13
	v_lshlrev_b64 v[16:17], 3, v[12:13]
	s_waitcnt vmcnt(0)
	v_mul_f64 v[8:9], v[4:5], v[8:9]
	global_store_dwordx2 v[6:7], v[8:9], off
	global_load_dwordx2 v[8:9], v[20:21], off
	s_waitcnt vmcnt(0)
	v_mul_f64 v[8:9], v[4:5], v[8:9]
	global_store_dwordx2 v[20:21], v[8:9], off
	global_load_dwordx2 v[8:9], v[34:35], off
	;; [unrolled: 4-line block ×3, first 2 shown]
	s_waitcnt vmcnt(0)
	v_mul_f64 v[8:9], v[4:5], v[8:9]
	v_add_co_u32 v4, vcc_lo, s0, v10
	v_add_co_ci_u32_e64 v5, null, s1, v11, vcc_lo
	v_lshlrev_b64 v[10:11], 3, v[14:15]
	v_add_co_u32 v15, vcc_lo, s0, v16
	v_add_co_ci_u32_e64 v16, null, s1, v17, vcc_lo
	v_add_co_u32 v24, vcc_lo, s0, v10
	v_add_co_ci_u32_e64 v25, null, s1, v11, vcc_lo
	v_mad_u64_u32 v[28:29], null, 0xffffffd0, s2, v[14:15]
	v_mov_b32_e32 v29, v13
	global_store_dwordx2 v[32:33], v[8:9], off
	s_clause 0x2
	global_load_dwordx2 v[8:9], v[4:5], off
	global_load_dwordx2 v[10:11], v[15:16], off
	global_load_dwordx2 v[22:23], v[24:25], off
	s_waitcnt vmcnt(0)
	v_fma_f64 v[8:9], v[10:11], v[22:23], v[8:9]
	v_mad_u64_u32 v[22:23], null, s2, 55, v[28:29]
	v_mov_b32_e32 v23, v13
	v_lshlrev_b64 v[10:11], 3, v[28:29]
	v_lshlrev_b64 v[28:29], 3, v[22:23]
	v_add_co_u32 v10, vcc_lo, s0, v10
	v_add_co_ci_u32_e64 v11, null, s1, v11, vcc_lo
	v_add_nc_u32_e32 v12, s7, v22
	v_add_co_u32 v28, vcc_lo, s0, v28
	v_add_co_ci_u32_e64 v29, null, s1, v29, vcc_lo
	v_lshlrev_b64 v[22:23], 3, v[12:13]
	global_store_dwordx2 v[4:5], v[8:9], off
	s_clause 0x2
	global_load_dwordx2 v[8:9], v[10:11], off
	global_load_dwordx2 v[36:37], v[28:29], off
	;; [unrolled: 1-line block ×3, first 2 shown]
	s_waitcnt vmcnt(0)
	v_fma_f64 v[8:9], v[38:39], v[36:37], v[8:9]
	v_add_co_u32 v38, vcc_lo, s0, v22
	v_add_co_ci_u32_e64 v39, null, s1, v23, vcc_lo
	global_store_dwordx2 v[10:11], v[8:9], off
	s_clause 0x2
	global_load_dwordx2 v[8:9], v[15:16], off
	global_load_dwordx2 v[14:15], v[38:39], off
	;; [unrolled: 1-line block ×3, first 2 shown]
	s_waitcnt vmcnt(1)
	v_fma_f64 v[8:9], -v[8:9], v[14:15], 1.0
	v_div_scale_f64 v[14:15], null, v[8:9], v[8:9], 1.0
	v_div_scale_f64 v[40:41], vcc_lo, 1.0, v[8:9], 1.0
	v_rcp_f64_e32 v[22:23], v[14:15]
	v_fma_f64 v[36:37], -v[14:15], v[22:23], 1.0
	v_fma_f64 v[22:23], v[22:23], v[36:37], v[22:23]
	v_fma_f64 v[36:37], -v[14:15], v[22:23], 1.0
	v_fma_f64 v[22:23], v[22:23], v[36:37], v[22:23]
	v_mul_f64 v[36:37], v[40:41], v[22:23]
	v_fma_f64 v[14:15], -v[14:15], v[36:37], v[40:41]
	v_div_fmas_f64 v[14:15], v[14:15], v[22:23], v[36:37]
	v_mad_u64_u32 v[22:23], null, 0xffffffc8, s2, v[12:13]
	v_mov_b32_e32 v23, v13
	v_subrev_nc_u32_e32 v12, s2, v22
	v_div_fixup_f64 v[14:15], v[14:15], v[8:9], 1.0
	v_lshlrev_b64 v[8:9], 3, v[22:23]
	v_lshlrev_b64 v[22:23], 3, v[12:13]
	v_subrev_nc_u32_e32 v12, s2, v12
	v_add_co_u32 v8, vcc_lo, s0, v8
	v_add_co_ci_u32_e64 v9, null, s1, v9, vcc_lo
	v_add_co_u32 v22, vcc_lo, s0, v22
	v_add_co_ci_u32_e64 v23, null, s1, v23, vcc_lo
	v_lshlrev_b64 v[36:37], 3, v[12:13]
	v_add_nc_u32_e32 v12, s9, v12
	v_add_co_u32 v36, vcc_lo, s0, v36
	s_waitcnt vmcnt(0)
	v_mul_f64 v[16:17], v[16:17], v[14:15]
	v_add_co_ci_u32_e64 v37, null, s1, v37, vcc_lo
	v_lshlrev_b64 v[40:41], 3, v[12:13]
	v_add_co_u32 v48, vcc_lo, s0, v40
	v_add_co_ci_u32_e64 v49, null, s1, v41, vcc_lo
	v_mad_u64_u32 v[40:41], null, s2, 25, v[12:13]
	v_mov_b32_e32 v41, v13
	v_add_nc_u32_e32 v12, s6, v40
	global_store_dwordx2 v[4:5], v[16:17], off
	global_load_dwordx2 v[16:17], v[8:9], off
	s_mul_i32 s6, s2, -5
	s_waitcnt vmcnt(0)
	v_mul_f64 v[16:17], v[16:17], v[14:15]
	global_store_dwordx2 v[8:9], v[16:17], off
	global_load_dwordx2 v[16:17], v[10:11], off
	s_waitcnt vmcnt(0)
	v_mul_f64 v[16:17], v[14:15], v[16:17]
	global_store_dwordx2 v[10:11], v[16:17], off
	global_load_dwordx2 v[16:17], v[22:23], off
	;; [unrolled: 4-line block ×4, first 2 shown]
	s_waitcnt vmcnt(0)
	v_mul_f64 v[16:17], v[14:15], v[16:17]
	v_lshlrev_b64 v[14:15], 3, v[40:41]
	v_lshlrev_b64 v[40:41], 3, v[12:13]
	v_add_nc_u32_e32 v12, s6, v12
	v_add_co_u32 v14, vcc_lo, s0, v14
	v_add_co_ci_u32_e64 v15, null, s1, v15, vcc_lo
	v_add_co_u32 v40, vcc_lo, s0, v40
	v_add_co_ci_u32_e64 v41, null, s1, v41, vcc_lo
	global_store_dwordx2 v[48:49], v[16:17], off
	s_clause 0x2
	global_load_dwordx2 v[16:17], v[14:15], off
	global_load_dwordx2 v[42:43], v[40:41], off
	global_load_dwordx2 v[24:25], v[24:25], off
	s_waitcnt vmcnt(0)
	v_fma_f64 v[24:25], v[42:43], v[24:25], v[16:17]
	v_lshlrev_b64 v[16:17], 3, v[12:13]
	v_subrev_nc_u32_e32 v12, s3, v12
	v_add_co_u32 v16, vcc_lo, s0, v16
	v_add_co_ci_u32_e64 v17, null, s1, v17, vcc_lo
	global_store_dwordx2 v[14:15], v[24:25], off
	s_clause 0x2
	global_load_dwordx2 v[24:25], v[16:17], off
	global_load_dwordx2 v[42:43], v[40:41], off
	;; [unrolled: 1-line block ×3, first 2 shown]
	s_waitcnt vmcnt(0)
	v_fma_f64 v[24:25], v[42:43], v[38:39], v[24:25]
	global_store_dwordx2 v[16:17], v[24:25], off
	s_clause 0x2
	global_load_dwordx2 v[24:25], v[40:41], off
	global_load_dwordx2 v[28:29], v[28:29], off
	global_load_dwordx2 v[38:39], v[14:15], off
	s_waitcnt vmcnt(1)
	v_fma_f64 v[24:25], -v[24:25], v[28:29], 1.0
	v_div_scale_f64 v[28:29], null, v[24:25], v[24:25], 1.0
	v_div_scale_f64 v[44:45], vcc_lo, 1.0, v[24:25], 1.0
	v_rcp_f64_e32 v[40:41], v[28:29]
	v_fma_f64 v[42:43], -v[28:29], v[40:41], 1.0
	v_fma_f64 v[40:41], v[40:41], v[42:43], v[40:41]
	v_fma_f64 v[42:43], -v[28:29], v[40:41], 1.0
	v_fma_f64 v[40:41], v[40:41], v[42:43], v[40:41]
	v_mul_f64 v[42:43], v[44:45], v[40:41]
	v_fma_f64 v[28:29], -v[28:29], v[42:43], v[44:45]
	v_div_fmas_f64 v[28:29], v[28:29], v[40:41], v[42:43]
	v_div_fixup_f64 v[28:29], v[28:29], v[24:25], 1.0
	s_waitcnt vmcnt(0)
	v_mul_f64 v[24:25], v[38:39], v[28:29]
	global_store_dwordx2 v[14:15], v[24:25], off
	global_load_dwordx2 v[24:25], v[16:17], off
	s_waitcnt vmcnt(0)
	v_mul_f64 v[38:39], v[24:25], v[28:29]
	v_lshlrev_b64 v[24:25], 3, v[12:13]
	v_subrev_nc_u32_e32 v12, s2, v12
	v_add_co_u32 v24, vcc_lo, s0, v24
	v_add_co_ci_u32_e64 v25, null, s1, v25, vcc_lo
	global_store_dwordx2 v[16:17], v[38:39], off
	global_load_dwordx2 v[38:39], v[24:25], off
	s_waitcnt vmcnt(0)
	v_mul_f64 v[40:41], v[28:29], v[38:39]
	v_lshlrev_b64 v[38:39], 3, v[12:13]
	v_add_nc_u32_e32 v12, s8, v12
	v_lshlrev_b64 v[42:43], 3, v[12:13]
	v_add_co_u32 v38, vcc_lo, s0, v38
	v_add_co_ci_u32_e64 v39, null, s1, v39, vcc_lo
	v_add_co_u32 v42, vcc_lo, s0, v42
	v_add_co_ci_u32_e64 v43, null, s1, v43, vcc_lo
	global_store_dwordx2 v[24:25], v[40:41], off
	global_load_dwordx2 v[40:41], v[38:39], off
	s_waitcnt vmcnt(0)
	v_mul_f64 v[40:41], v[28:29], v[40:41]
	global_store_dwordx2 v[38:39], v[40:41], off
	global_load_dwordx2 v[40:41], v[42:43], off
	s_waitcnt vmcnt(0)
	v_mul_f64 v[28:29], v[28:29], v[40:41]
	v_mad_u64_u32 v[40:41], null, 0xffffffef, s2, v[12:13]
	v_mov_b32_e32 v41, v13
	v_lshlrev_b64 v[44:45], 3, v[40:41]
	v_add_nc_u32_e32 v12, s9, v40
	v_lshlrev_b64 v[40:41], 3, v[12:13]
	v_add_co_u32 v44, vcc_lo, s0, v44
	v_add_co_ci_u32_e64 v45, null, s1, v45, vcc_lo
	global_store_dwordx2 v[42:43], v[28:29], off
	s_clause 0x2
	global_load_dwordx2 v[28:29], v[0:1], off
	global_load_dwordx2 v[46:47], v[32:33], off
	;; [unrolled: 1-line block ×3, first 2 shown]
	s_waitcnt vmcnt(0)
	v_fma_f64 v[28:29], v[46:47], v[50:51], v[28:29]
	v_add_co_u32 v46, vcc_lo, s0, v40
	v_add_co_ci_u32_e64 v47, null, s1, v41, vcc_lo
	v_mad_u64_u32 v[50:51], null, 0xffffffdf, s2, v[12:13]
	v_mov_b32_e32 v51, v13
	v_mad_u64_u32 v[52:53], null, s2, 28, v[50:51]
	v_mov_b32_e32 v53, v13
	v_add_nc_u32_e32 v12, s2, v52
	global_store_dwordx2 v[0:1], v[28:29], off
	s_clause 0x1
	global_load_dwordx2 v[28:29], v[32:33], off
	global_load_dwordx2 v[40:41], v[46:47], off
	s_waitcnt vmcnt(0)
	v_mul_f64 v[40:41], v[28:29], v[40:41]
	v_lshlrev_b64 v[28:29], 3, v[50:51]
	v_lshlrev_b64 v[50:51], 3, v[52:53]
	v_add_co_u32 v28, vcc_lo, s0, v28
	v_add_co_ci_u32_e64 v29, null, s1, v29, vcc_lo
	v_add_co_u32 v50, vcc_lo, s0, v50
	v_add_co_ci_u32_e64 v51, null, s1, v51, vcc_lo
	global_store_dwordx2 v[28:29], v[40:41], off
	s_clause 0x2
	global_load_dwordx2 v[40:41], v[6:7], off
	global_load_dwordx2 v[53:54], v[32:33], off
	;; [unrolled: 1-line block ×3, first 2 shown]
	s_waitcnt vmcnt(0)
	v_fma_f64 v[40:41], v[53:54], v[55:56], v[40:41]
	v_lshlrev_b64 v[52:53], 3, v[12:13]
	v_add_co_u32 v52, vcc_lo, s0, v52
	v_add_co_ci_u32_e64 v53, null, s1, v53, vcc_lo
	global_store_dwordx2 v[6:7], v[40:41], off
	s_clause 0x2
	global_load_dwordx2 v[32:33], v[32:33], off
	global_load_dwordx2 v[40:41], v[52:53], off
	;; [unrolled: 1-line block ×3, first 2 shown]
	s_waitcnt vmcnt(1)
	v_fma_f64 v[32:33], -v[32:33], v[40:41], 1.0
	v_div_scale_f64 v[40:41], null, v[32:33], v[32:33], 1.0
	v_rcp_f64_e32 v[56:57], v[40:41]
	v_fma_f64 v[58:59], -v[40:41], v[56:57], 1.0
	v_fma_f64 v[56:57], v[56:57], v[58:59], v[56:57]
	v_fma_f64 v[58:59], -v[40:41], v[56:57], 1.0
	v_fma_f64 v[56:57], v[56:57], v[58:59], v[56:57]
	v_div_scale_f64 v[58:59], vcc_lo, 1.0, v[32:33], 1.0
	v_mul_f64 v[60:61], v[58:59], v[56:57]
	v_fma_f64 v[40:41], -v[40:41], v[60:61], v[58:59]
	v_div_fmas_f64 v[40:41], v[40:41], v[56:57], v[60:61]
	v_div_fixup_f64 v[32:33], v[40:41], v[32:33], 1.0
	s_waitcnt vmcnt(0)
	v_mul_f64 v[40:41], v[54:55], v[32:33]
	global_store_dwordx2 v[0:1], v[40:41], off
	global_load_dwordx2 v[40:41], v[2:3], off
	s_waitcnt vmcnt(0)
	v_mul_f64 v[40:41], v[40:41], v[32:33]
	global_store_dwordx2 v[2:3], v[40:41], off
	global_load_dwordx2 v[40:41], v[28:29], off
	;; [unrolled: 4-line block ×5, first 2 shown]
	s_waitcnt vmcnt(0)
	v_mul_f64 v[32:33], v[32:33], v[40:41]
	global_store_dwordx2 v[34:35], v[32:33], off
	s_clause 0x2
	global_load_dwordx2 v[32:33], v[14:15], off
	global_load_dwordx2 v[40:41], v[42:43], off
	;; [unrolled: 1-line block ×3, first 2 shown]
	s_waitcnt vmcnt(0)
	v_fma_f64 v[32:33], v[40:41], v[54:55], v[32:33]
	v_mad_u64_u32 v[54:55], null, s2, 11, v[12:13]
	v_mov_b32_e32 v55, v13
	v_add_nc_u32_e32 v12, s5, v54
	s_lshl_b32 s5, s2, 2
	global_store_dwordx2 v[14:15], v[32:33], off
	s_clause 0x1
	global_load_dwordx2 v[32:33], v[42:43], off
	global_load_dwordx2 v[40:41], v[52:53], off
	s_waitcnt vmcnt(0)
	v_mul_f64 v[40:41], v[32:33], v[40:41]
	v_lshlrev_b64 v[32:33], 3, v[54:55]
	v_add_co_u32 v32, vcc_lo, s0, v32
	v_add_co_ci_u32_e64 v33, null, s1, v33, vcc_lo
	global_store_dwordx2 v[32:33], v[40:41], off
	s_clause 0x2
	global_load_dwordx2 v[40:41], v[24:25], off
	global_load_dwordx2 v[55:56], v[42:43], off
	global_load_dwordx2 v[57:58], v[50:51], off
	s_waitcnt vmcnt(0)
	v_fma_f64 v[40:41], v[55:56], v[57:58], v[40:41]
	global_store_dwordx2 v[24:25], v[40:41], off
	s_clause 0x2
	global_load_dwordx2 v[40:41], v[42:43], off
	global_load_dwordx2 v[42:43], v[46:47], off
	;; [unrolled: 1-line block ×3, first 2 shown]
	s_waitcnt vmcnt(1)
	v_fma_f64 v[40:41], -v[40:41], v[42:43], 1.0
	v_div_scale_f64 v[42:43], null, v[40:41], v[40:41], 1.0
	v_rcp_f64_e32 v[57:58], v[42:43]
	v_fma_f64 v[59:60], -v[42:43], v[57:58], 1.0
	v_fma_f64 v[57:58], v[57:58], v[59:60], v[57:58]
	v_fma_f64 v[59:60], -v[42:43], v[57:58], 1.0
	v_fma_f64 v[57:58], v[57:58], v[59:60], v[57:58]
	v_div_scale_f64 v[59:60], vcc_lo, 1.0, v[40:41], 1.0
	v_mul_f64 v[61:62], v[59:60], v[57:58]
	v_fma_f64 v[42:43], -v[42:43], v[61:62], v[59:60]
	v_div_fmas_f64 v[42:43], v[42:43], v[57:58], v[61:62]
	v_div_fixup_f64 v[40:41], v[42:43], v[40:41], 1.0
	s_waitcnt vmcnt(0)
	v_mul_f64 v[42:43], v[55:56], v[40:41]
	v_mad_u64_u32 v[54:55], null, s2, 6, v[12:13]
	v_mov_b32_e32 v55, v13
	v_lshlrev_b64 v[55:56], 3, v[54:55]
	global_store_dwordx2 v[14:15], v[42:43], off
	global_load_dwordx2 v[42:43], v[16:17], off
	s_waitcnt vmcnt(0)
	v_mul_f64 v[42:43], v[42:43], v[40:41]
	global_store_dwordx2 v[16:17], v[42:43], off
	global_load_dwordx2 v[42:43], v[32:33], off
	s_waitcnt vmcnt(0)
	v_mul_f64 v[42:43], v[40:41], v[42:43]
	;; [unrolled: 4-line block ×4, first 2 shown]
	v_lshlrev_b64 v[40:41], 3, v[12:13]
	v_add_nc_u32_e32 v12, s7, v54
	v_add_co_u32 v40, vcc_lo, s0, v40
	v_add_co_ci_u32_e64 v41, null, s1, v41, vcc_lo
	v_add_co_u32 v55, vcc_lo, s0, v55
	v_add_co_ci_u32_e64 v56, null, s1, v56, vcc_lo
	global_store_dwordx2 v[38:39], v[42:43], off
	s_clause 0x2
	global_load_dwordx2 v[42:43], v[40:41], off
	global_load_dwordx2 v[57:58], v[55:56], off
	;; [unrolled: 1-line block ×3, first 2 shown]
	s_waitcnt vmcnt(0)
	v_fma_f64 v[44:45], v[57:58], v[44:45], v[42:43]
	v_lshlrev_b64 v[42:43], 3, v[12:13]
	v_add_nc_u32_e32 v12, s5, v12
	v_add_co_u32 v42, vcc_lo, s0, v42
	v_add_co_ci_u32_e64 v43, null, s1, v43, vcc_lo
	global_store_dwordx2 v[40:41], v[44:45], off
	s_clause 0x2
	global_load_dwordx2 v[44:45], v[42:43], off
	global_load_dwordx2 v[57:58], v[55:56], off
	;; [unrolled: 1-line block ×3, first 2 shown]
	s_waitcnt vmcnt(0)
	v_fma_f64 v[52:53], v[57:58], v[52:53], v[44:45]
	v_lshlrev_b64 v[44:45], 3, v[12:13]
	v_add_nc_u32_e32 v12, s7, v12
	v_add_co_u32 v44, vcc_lo, s0, v44
	v_add_co_ci_u32_e64 v45, null, s1, v45, vcc_lo
	global_store_dwordx2 v[42:43], v[52:53], off
	s_clause 0x2
	global_load_dwordx2 v[52:53], v[44:45], off
	global_load_dwordx2 v[57:58], v[55:56], off
	;; [unrolled: 1-line block ×3, first 2 shown]
	s_waitcnt vmcnt(0)
	v_fma_f64 v[46:47], v[57:58], v[46:47], v[52:53]
	global_store_dwordx2 v[44:45], v[46:47], off
	s_clause 0x2
	global_load_dwordx2 v[46:47], v[55:56], off
	global_load_dwordx2 v[50:51], v[50:51], off
	global_load_dwordx2 v[52:53], v[40:41], off
	s_waitcnt vmcnt(1)
	v_fma_f64 v[46:47], -v[46:47], v[50:51], 1.0
	v_div_scale_f64 v[50:51], null, v[46:47], v[46:47], 1.0
	v_div_scale_f64 v[58:59], vcc_lo, 1.0, v[46:47], 1.0
	v_rcp_f64_e32 v[54:55], v[50:51]
	v_fma_f64 v[56:57], -v[50:51], v[54:55], 1.0
	v_fma_f64 v[54:55], v[54:55], v[56:57], v[54:55]
	v_fma_f64 v[56:57], -v[50:51], v[54:55], 1.0
	v_fma_f64 v[54:55], v[54:55], v[56:57], v[54:55]
	v_mul_f64 v[56:57], v[58:59], v[54:55]
	v_fma_f64 v[50:51], -v[50:51], v[56:57], v[58:59]
	v_div_fmas_f64 v[50:51], v[50:51], v[54:55], v[56:57]
	v_div_fixup_f64 v[54:55], v[50:51], v[46:47], 1.0
	v_lshlrev_b64 v[46:47], 3, v[12:13]
	v_add_nc_u32_e32 v12, s7, v12
	v_add_co_u32 v46, vcc_lo, s0, v46
	v_add_co_ci_u32_e64 v47, null, s1, v47, vcc_lo
	s_waitcnt vmcnt(0)
	v_mul_f64 v[50:51], v[52:53], v[54:55]
	global_store_dwordx2 v[40:41], v[50:51], off
	global_load_dwordx2 v[50:51], v[46:47], off
	s_waitcnt vmcnt(0)
	v_mul_f64 v[50:51], v[50:51], v[54:55]
	global_store_dwordx2 v[46:47], v[50:51], off
	global_load_dwordx2 v[50:51], v[42:43], off
	;; [unrolled: 4-line block ×3, first 2 shown]
	s_waitcnt vmcnt(0)
	v_mul_f64 v[52:53], v[54:55], v[50:51]
	v_lshlrev_b64 v[50:51], 3, v[12:13]
	v_add_co_u32 v50, vcc_lo, s0, v50
	v_add_co_ci_u32_e64 v51, null, s1, v51, vcc_lo
	global_store_dwordx2 v[44:45], v[52:53], off
	global_load_dwordx2 v[52:53], v[50:51], off
	s_waitcnt vmcnt(0)
	v_mul_f64 v[52:53], v[54:55], v[52:53]
	global_store_dwordx2 v[50:51], v[52:53], off
	s_clause 0x2
	global_load_dwordx2 v[52:53], v[4:5], off
	global_load_dwordx2 v[54:55], v[48:49], off
	;; [unrolled: 1-line block ×3, first 2 shown]
	s_waitcnt vmcnt(0)
	v_fma_f64 v[52:53], v[54:55], v[56:57], v[52:53]
	global_store_dwordx2 v[4:5], v[52:53], off
	s_clause 0x2
	global_load_dwordx2 v[52:53], v[8:9], off
	global_load_dwordx2 v[54:55], v[48:49], off
	;; [unrolled: 1-line block ×3, first 2 shown]
	s_waitcnt vmcnt(0)
	v_fma_f64 v[52:53], v[54:55], v[56:57], v[52:53]
	global_store_dwordx2 v[8:9], v[52:53], off
	s_clause 0x2
	global_load_dwordx2 v[48:49], v[48:49], off
	global_load_dwordx2 v[52:53], v[26:27], off
	;; [unrolled: 1-line block ×3, first 2 shown]
	s_waitcnt vmcnt(1)
	v_fma_f64 v[48:49], -v[48:49], v[52:53], 1.0
	v_div_scale_f64 v[52:53], null, v[48:49], v[48:49], 1.0
	v_rcp_f64_e32 v[56:57], v[52:53]
	v_fma_f64 v[58:59], -v[52:53], v[56:57], 1.0
	v_fma_f64 v[56:57], v[56:57], v[58:59], v[56:57]
	v_fma_f64 v[58:59], -v[52:53], v[56:57], 1.0
	v_fma_f64 v[56:57], v[56:57], v[58:59], v[56:57]
	v_div_scale_f64 v[58:59], vcc_lo, 1.0, v[48:49], 1.0
	v_mul_f64 v[60:61], v[58:59], v[56:57]
	v_fma_f64 v[52:53], -v[52:53], v[60:61], v[58:59]
	v_div_fmas_f64 v[52:53], v[52:53], v[56:57], v[60:61]
	v_div_fixup_f64 v[48:49], v[52:53], v[48:49], 1.0
	s_waitcnt vmcnt(0)
	v_mul_f64 v[52:53], v[54:55], v[48:49]
	global_store_dwordx2 v[4:5], v[52:53], off
	global_load_dwordx2 v[52:53], v[8:9], off
	s_waitcnt vmcnt(0)
	v_mul_f64 v[52:53], v[52:53], v[48:49]
	global_store_dwordx2 v[8:9], v[52:53], off
	global_load_dwordx2 v[52:53], v[10:11], off
	;; [unrolled: 4-line block ×4, first 2 shown]
	s_waitcnt vmcnt(0)
	v_mul_f64 v[48:49], v[48:49], v[52:53]
	global_store_dwordx2 v[36:37], v[48:49], off
	s_clause 0x2
	global_load_dwordx2 v[48:49], v[0:1], off
	global_load_dwordx2 v[52:53], v[34:35], off
	;; [unrolled: 1-line block ×3, first 2 shown]
	s_waitcnt vmcnt(0)
	v_fma_f64 v[18:19], v[52:53], v[18:19], v[48:49]
	global_store_dwordx2 v[0:1], v[18:19], off
	s_clause 0x2
	global_load_dwordx2 v[18:19], v[2:3], off
	global_load_dwordx2 v[48:49], v[34:35], off
	global_load_dwordx2 v[26:27], v[26:27], off
	s_waitcnt vmcnt(0)
	v_fma_f64 v[18:19], v[48:49], v[26:27], v[18:19]
	global_store_dwordx2 v[2:3], v[18:19], off
	s_clause 0x2
	global_load_dwordx2 v[18:19], v[34:35], off
	global_load_dwordx2 v[26:27], v[30:31], off
	;; [unrolled: 1-line block ×3, first 2 shown]
	s_waitcnt vmcnt(1)
	v_fma_f64 v[18:19], -v[18:19], v[26:27], 1.0
	v_div_scale_f64 v[26:27], null, v[18:19], v[18:19], 1.0
	v_div_scale_f64 v[52:53], vcc_lo, 1.0, v[18:19], 1.0
	v_rcp_f64_e32 v[34:35], v[26:27]
	v_fma_f64 v[48:49], -v[26:27], v[34:35], 1.0
	v_fma_f64 v[34:35], v[34:35], v[48:49], v[34:35]
	v_fma_f64 v[48:49], -v[26:27], v[34:35], 1.0
	v_fma_f64 v[34:35], v[34:35], v[48:49], v[34:35]
	v_mul_f64 v[48:49], v[52:53], v[34:35]
	v_fma_f64 v[26:27], -v[26:27], v[48:49], v[52:53]
	v_div_fmas_f64 v[26:27], v[26:27], v[34:35], v[48:49]
	v_div_fixup_f64 v[18:19], v[26:27], v[18:19], 1.0
	s_waitcnt vmcnt(0)
	v_mul_f64 v[26:27], v[30:31], v[18:19]
	global_store_dwordx2 v[0:1], v[26:27], off
	global_load_dwordx2 v[26:27], v[2:3], off
	s_waitcnt vmcnt(0)
	v_mul_f64 v[26:27], v[26:27], v[18:19]
	global_store_dwordx2 v[2:3], v[26:27], off
	global_load_dwordx2 v[26:27], v[28:29], off
	;; [unrolled: 4-line block ×4, first 2 shown]
	s_waitcnt vmcnt(0)
	v_mul_f64 v[18:19], v[18:19], v[26:27]
	v_mad_u64_u32 v[26:27], null, s2, -12, v[12:13]
	v_mov_b32_e32 v27, v13
	v_lshlrev_b64 v[30:31], 3, v[26:27]
	v_add_nc_u32_e32 v12, s4, v26
	v_add_co_u32 v30, vcc_lo, s0, v30
	v_add_co_ci_u32_e64 v31, null, s1, v31, vcc_lo
	v_lshlrev_b64 v[26:27], 3, v[12:13]
	v_add_nc_u32_e32 v12, s5, v12
	global_store_dwordx2 v[20:21], v[18:19], off
	s_clause 0x2
	global_load_dwordx2 v[18:19], v[4:5], off
	global_load_dwordx2 v[34:35], v[36:37], off
	global_load_dwordx2 v[48:49], v[30:31], off
	v_add_co_u32 v26, vcc_lo, s0, v26
	v_add_co_ci_u32_e64 v27, null, s1, v27, vcc_lo
	s_waitcnt vmcnt(0)
	v_fma_f64 v[18:19], v[34:35], v[48:49], v[18:19]
	global_store_dwordx2 v[4:5], v[18:19], off
	s_clause 0x2
	global_load_dwordx2 v[18:19], v[8:9], off
	global_load_dwordx2 v[34:35], v[36:37], off
	;; [unrolled: 1-line block ×3, first 2 shown]
	s_waitcnt vmcnt(0)
	v_fma_f64 v[18:19], v[34:35], v[48:49], v[18:19]
	v_lshlrev_b64 v[34:35], 3, v[12:13]
	v_add_nc_u32_e32 v12, s6, v12
	v_add_co_u32 v34, vcc_lo, s0, v34
	v_add_co_ci_u32_e64 v35, null, s1, v35, vcc_lo
	global_store_dwordx2 v[8:9], v[18:19], off
	s_clause 0x2
	global_load_dwordx2 v[18:19], v[10:11], off
	global_load_dwordx2 v[48:49], v[36:37], off
	;; [unrolled: 1-line block ×3, first 2 shown]
	s_waitcnt vmcnt(0)
	v_fma_f64 v[18:19], v[48:49], v[52:53], v[18:19]
	v_lshlrev_b64 v[48:49], 3, v[12:13]
	v_add_nc_u32_e32 v12, s3, v12
	v_add_co_u32 v48, vcc_lo, s0, v48
	v_add_co_ci_u32_e64 v49, null, s1, v49, vcc_lo
	v_lshlrev_b64 v[12:13], 3, v[12:13]
	v_add_co_u32 v12, vcc_lo, s0, v12
	v_add_co_ci_u32_e64 v13, null, s1, v13, vcc_lo
	global_store_dwordx2 v[10:11], v[18:19], off
	s_clause 0x2
	global_load_dwordx2 v[18:19], v[22:23], off
	global_load_dwordx2 v[52:53], v[36:37], off
	global_load_dwordx2 v[54:55], v[48:49], off
	s_waitcnt vmcnt(0)
	v_fma_f64 v[18:19], v[52:53], v[54:55], v[18:19]
	global_store_dwordx2 v[22:23], v[18:19], off
	s_clause 0x2
	global_load_dwordx2 v[18:19], v[36:37], off
	global_load_dwordx2 v[36:37], v[12:13], off
	global_load_dwordx2 v[52:53], v[4:5], off
	s_waitcnt vmcnt(1)
	v_fma_f64 v[18:19], -v[18:19], v[36:37], 1.0
	v_div_scale_f64 v[36:37], null, v[18:19], v[18:19], 1.0
	v_div_scale_f64 v[58:59], vcc_lo, 1.0, v[18:19], 1.0
	v_rcp_f64_e32 v[54:55], v[36:37]
	v_fma_f64 v[56:57], -v[36:37], v[54:55], 1.0
	v_fma_f64 v[54:55], v[54:55], v[56:57], v[54:55]
	v_fma_f64 v[56:57], -v[36:37], v[54:55], 1.0
	v_fma_f64 v[54:55], v[54:55], v[56:57], v[54:55]
	v_mul_f64 v[56:57], v[58:59], v[54:55]
	v_fma_f64 v[36:37], -v[36:37], v[56:57], v[58:59]
	v_div_fmas_f64 v[36:37], v[36:37], v[54:55], v[56:57]
	v_div_fixup_f64 v[18:19], v[36:37], v[18:19], 1.0
	s_waitcnt vmcnt(0)
	v_mul_f64 v[36:37], v[52:53], v[18:19]
	global_store_dwordx2 v[4:5], v[36:37], off
	global_load_dwordx2 v[36:37], v[8:9], off
	s_waitcnt vmcnt(0)
	v_mul_f64 v[36:37], v[36:37], v[18:19]
	global_store_dwordx2 v[8:9], v[36:37], off
	global_load_dwordx2 v[36:37], v[10:11], off
	s_waitcnt vmcnt(0)
	v_mul_f64 v[36:37], v[18:19], v[36:37]
	global_store_dwordx2 v[10:11], v[36:37], off
	global_load_dwordx2 v[36:37], v[22:23], off
	s_waitcnt vmcnt(0)
	v_mul_f64 v[18:19], v[18:19], v[36:37]
	global_store_dwordx2 v[22:23], v[18:19], off
	s_clause 0x2
	global_load_dwordx2 v[18:19], v[0:1], off
	global_load_dwordx2 v[36:37], v[20:21], off
	global_load_dwordx2 v[52:53], v[30:31], off
	s_waitcnt vmcnt(0)
	v_fma_f64 v[18:19], v[36:37], v[52:53], v[18:19]
	global_store_dwordx2 v[0:1], v[18:19], off
	s_clause 0x2
	global_load_dwordx2 v[18:19], v[2:3], off
	global_load_dwordx2 v[36:37], v[20:21], off
	global_load_dwordx2 v[52:53], v[12:13], off
	s_waitcnt vmcnt(0)
	v_fma_f64 v[18:19], v[36:37], v[52:53], v[18:19]
	global_store_dwordx2 v[2:3], v[18:19], off
	s_clause 0x2
	global_load_dwordx2 v[18:19], v[28:29], off
	global_load_dwordx2 v[36:37], v[34:35], off
	global_load_dwordx2 v[52:53], v[20:21], off
	s_waitcnt vmcnt(0)
	v_fma_f64 v[18:19], v[52:53], v[36:37], v[18:19]
	global_store_dwordx2 v[28:29], v[18:19], off
	s_clause 0x2
	global_load_dwordx2 v[18:19], v[6:7], off
	global_load_dwordx2 v[36:37], v[20:21], off
	global_load_dwordx2 v[52:53], v[48:49], off
	s_waitcnt vmcnt(0)
	v_fma_f64 v[18:19], v[36:37], v[52:53], v[18:19]
	global_store_dwordx2 v[6:7], v[18:19], off
	s_clause 0x2
	global_load_dwordx2 v[18:19], v[20:21], off
	global_load_dwordx2 v[20:21], v[26:27], off
	global_load_dwordx2 v[36:37], v[0:1], off
	s_waitcnt vmcnt(1)
	v_fma_f64 v[18:19], -v[18:19], v[20:21], 1.0
	v_div_scale_f64 v[20:21], null, v[18:19], v[18:19], 1.0
	v_div_scale_f64 v[56:57], vcc_lo, 1.0, v[18:19], 1.0
	v_rcp_f64_e32 v[52:53], v[20:21]
	v_fma_f64 v[54:55], -v[20:21], v[52:53], 1.0
	v_fma_f64 v[52:53], v[52:53], v[54:55], v[52:53]
	v_fma_f64 v[54:55], -v[20:21], v[52:53], 1.0
	v_fma_f64 v[52:53], v[52:53], v[54:55], v[52:53]
	v_mul_f64 v[54:55], v[56:57], v[52:53]
	v_fma_f64 v[20:21], -v[20:21], v[54:55], v[56:57]
	v_div_fmas_f64 v[20:21], v[20:21], v[52:53], v[54:55]
	v_div_fixup_f64 v[18:19], v[20:21], v[18:19], 1.0
	s_waitcnt vmcnt(0)
	v_mul_f64 v[20:21], v[36:37], v[18:19]
	global_store_dwordx2 v[0:1], v[20:21], off
	global_load_dwordx2 v[20:21], v[2:3], off
	s_waitcnt vmcnt(0)
	v_mul_f64 v[20:21], v[20:21], v[18:19]
	global_store_dwordx2 v[2:3], v[20:21], off
	global_load_dwordx2 v[20:21], v[28:29], off
	s_waitcnt vmcnt(0)
	v_mul_f64 v[20:21], v[18:19], v[20:21]
	global_store_dwordx2 v[28:29], v[20:21], off
	global_load_dwordx2 v[20:21], v[6:7], off
	s_waitcnt vmcnt(0)
	v_mul_f64 v[18:19], v[18:19], v[20:21]
	global_store_dwordx2 v[6:7], v[18:19], off
	s_clause 0x2
	global_load_dwordx2 v[18:19], v[14:15], off
	global_load_dwordx2 v[20:21], v[38:39], off
	global_load_dwordx2 v[36:37], v[30:31], off
	s_waitcnt vmcnt(0)
	v_fma_f64 v[18:19], v[20:21], v[36:37], v[18:19]
	global_store_dwordx2 v[14:15], v[18:19], off
	s_clause 0x2
	global_load_dwordx2 v[18:19], v[16:17], off
	global_load_dwordx2 v[20:21], v[38:39], off
	global_load_dwordx2 v[36:37], v[12:13], off
	s_waitcnt vmcnt(0)
	v_fma_f64 v[18:19], v[20:21], v[36:37], v[18:19]
	global_store_dwordx2 v[16:17], v[18:19], off
	s_clause 0x2
	global_load_dwordx2 v[18:19], v[32:33], off
	global_load_dwordx2 v[20:21], v[26:27], off
	global_load_dwordx2 v[36:37], v[38:39], off
	s_waitcnt vmcnt(0)
	v_fma_f64 v[18:19], v[36:37], v[20:21], v[18:19]
	;; [unrolled: 60-line block ×4, first 2 shown]
	global_store_dwordx2 v[10:11], v[12:13], off
	s_clause 0x2
	global_load_dwordx2 v[12:13], v[22:23], off
	global_load_dwordx2 v[18:19], v[46:47], off
	;; [unrolled: 1-line block ×3, first 2 shown]
	s_waitcnt vmcnt(1)
	v_fma_f64 v[12:13], -v[12:13], v[18:19], 1.0
	v_div_scale_f64 v[18:19], null, v[12:13], v[12:13], 1.0
	v_div_scale_f64 v[30:31], vcc_lo, 1.0, v[12:13], 1.0
	v_rcp_f64_e32 v[22:23], v[18:19]
	v_fma_f64 v[26:27], -v[18:19], v[22:23], 1.0
	v_fma_f64 v[22:23], v[22:23], v[26:27], v[22:23]
	v_fma_f64 v[26:27], -v[18:19], v[22:23], 1.0
	v_fma_f64 v[22:23], v[22:23], v[26:27], v[22:23]
	v_mul_f64 v[26:27], v[30:31], v[22:23]
	v_fma_f64 v[18:19], -v[18:19], v[26:27], v[30:31]
	v_div_fmas_f64 v[18:19], v[18:19], v[22:23], v[26:27]
	v_div_fixup_f64 v[12:13], v[18:19], v[12:13], 1.0
	s_waitcnt vmcnt(0)
	v_mul_f64 v[18:19], v[20:21], v[12:13]
	global_store_dwordx2 v[4:5], v[18:19], off
	global_load_dwordx2 v[18:19], v[8:9], off
	s_waitcnt vmcnt(0)
	v_mul_f64 v[18:19], v[18:19], v[12:13]
	global_store_dwordx2 v[8:9], v[18:19], off
	global_load_dwordx2 v[18:19], v[10:11], off
	s_waitcnt vmcnt(0)
	v_mul_f64 v[12:13], v[12:13], v[18:19]
	global_store_dwordx2 v[10:11], v[12:13], off
	s_clause 0x2
	global_load_dwordx2 v[12:13], v[0:1], off
	global_load_dwordx2 v[18:19], v[6:7], off
	global_load_dwordx2 v[20:21], v[40:41], off
	s_waitcnt vmcnt(0)
	v_fma_f64 v[12:13], v[18:19], v[20:21], v[12:13]
	global_store_dwordx2 v[0:1], v[12:13], off
	s_clause 0x2
	global_load_dwordx2 v[12:13], v[2:3], off
	global_load_dwordx2 v[18:19], v[6:7], off
	global_load_dwordx2 v[20:21], v[46:47], off
	s_waitcnt vmcnt(0)
	v_fma_f64 v[12:13], v[18:19], v[20:21], v[12:13]
	;; [unrolled: 7-line block ×3, first 2 shown]
	global_store_dwordx2 v[28:29], v[12:13], off
	s_clause 0x2
	global_load_dwordx2 v[6:7], v[6:7], off
	global_load_dwordx2 v[12:13], v[42:43], off
	global_load_dwordx2 v[18:19], v[0:1], off
	s_waitcnt vmcnt(1)
	v_fma_f64 v[6:7], -v[6:7], v[12:13], 1.0
	v_div_scale_f64 v[12:13], null, v[6:7], v[6:7], 1.0
	v_div_scale_f64 v[26:27], vcc_lo, 1.0, v[6:7], 1.0
	v_rcp_f64_e32 v[20:21], v[12:13]
	v_fma_f64 v[22:23], -v[12:13], v[20:21], 1.0
	v_fma_f64 v[20:21], v[20:21], v[22:23], v[20:21]
	v_fma_f64 v[22:23], -v[12:13], v[20:21], 1.0
	v_fma_f64 v[20:21], v[20:21], v[22:23], v[20:21]
	v_mul_f64 v[22:23], v[26:27], v[20:21]
	v_fma_f64 v[12:13], -v[12:13], v[22:23], v[26:27]
	v_div_fmas_f64 v[12:13], v[12:13], v[20:21], v[22:23]
	v_div_fixup_f64 v[6:7], v[12:13], v[6:7], 1.0
	s_waitcnt vmcnt(0)
	v_mul_f64 v[12:13], v[18:19], v[6:7]
	global_store_dwordx2 v[0:1], v[12:13], off
	global_load_dwordx2 v[12:13], v[2:3], off
	s_waitcnt vmcnt(0)
	v_mul_f64 v[12:13], v[12:13], v[6:7]
	global_store_dwordx2 v[2:3], v[12:13], off
	global_load_dwordx2 v[12:13], v[28:29], off
	s_waitcnt vmcnt(0)
	v_mul_f64 v[6:7], v[6:7], v[12:13]
	global_store_dwordx2 v[28:29], v[6:7], off
	s_clause 0x2
	global_load_dwordx2 v[6:7], v[14:15], off
	global_load_dwordx2 v[12:13], v[24:25], off
	global_load_dwordx2 v[18:19], v[40:41], off
	s_waitcnt vmcnt(0)
	v_fma_f64 v[6:7], v[12:13], v[18:19], v[6:7]
	global_store_dwordx2 v[14:15], v[6:7], off
	s_clause 0x2
	global_load_dwordx2 v[6:7], v[16:17], off
	global_load_dwordx2 v[12:13], v[24:25], off
	global_load_dwordx2 v[18:19], v[46:47], off
	s_waitcnt vmcnt(0)
	v_fma_f64 v[6:7], v[12:13], v[18:19], v[6:7]
	;; [unrolled: 7-line block ×3, first 2 shown]
	global_store_dwordx2 v[32:33], v[6:7], off
	s_clause 0x2
	global_load_dwordx2 v[6:7], v[24:25], off
	global_load_dwordx2 v[12:13], v[44:45], off
	;; [unrolled: 1-line block ×3, first 2 shown]
	s_waitcnt vmcnt(1)
	v_fma_f64 v[6:7], -v[6:7], v[12:13], 1.0
	v_div_scale_f64 v[12:13], null, v[6:7], v[6:7], 1.0
	v_div_scale_f64 v[24:25], vcc_lo, 1.0, v[6:7], 1.0
	v_rcp_f64_e32 v[20:21], v[12:13]
	v_fma_f64 v[22:23], -v[12:13], v[20:21], 1.0
	v_fma_f64 v[20:21], v[20:21], v[22:23], v[20:21]
	v_fma_f64 v[22:23], -v[12:13], v[20:21], 1.0
	v_fma_f64 v[20:21], v[20:21], v[22:23], v[20:21]
	v_mul_f64 v[22:23], v[24:25], v[20:21]
	v_fma_f64 v[12:13], -v[12:13], v[22:23], v[24:25]
	v_div_fmas_f64 v[12:13], v[12:13], v[20:21], v[22:23]
	v_div_fixup_f64 v[6:7], v[12:13], v[6:7], 1.0
	s_waitcnt vmcnt(0)
	v_mul_f64 v[12:13], v[18:19], v[6:7]
	global_store_dwordx2 v[14:15], v[12:13], off
	global_load_dwordx2 v[12:13], v[16:17], off
	s_waitcnt vmcnt(0)
	v_mul_f64 v[12:13], v[12:13], v[6:7]
	global_store_dwordx2 v[16:17], v[12:13], off
	global_load_dwordx2 v[12:13], v[32:33], off
	s_waitcnt vmcnt(0)
	v_mul_f64 v[6:7], v[6:7], v[12:13]
	global_store_dwordx2 v[32:33], v[6:7], off
	s_clause 0x2
	global_load_dwordx2 v[6:7], v[4:5], off
	global_load_dwordx2 v[12:13], v[10:11], off
	global_load_dwordx2 v[18:19], v[14:15], off
	s_waitcnt vmcnt(0)
	v_fma_f64 v[6:7], v[12:13], v[18:19], v[6:7]
	global_store_dwordx2 v[4:5], v[6:7], off
	s_clause 0x2
	global_load_dwordx2 v[6:7], v[8:9], off
	global_load_dwordx2 v[12:13], v[32:33], off
	;; [unrolled: 1-line block ×3, first 2 shown]
	s_waitcnt vmcnt(0)
	v_fma_f64 v[6:7], v[18:19], v[12:13], v[6:7]
	global_store_dwordx2 v[8:9], v[6:7], off
	s_clause 0x2
	global_load_dwordx2 v[6:7], v[10:11], off
	global_load_dwordx2 v[10:11], v[16:17], off
	;; [unrolled: 1-line block ×3, first 2 shown]
	s_waitcnt vmcnt(1)
	v_fma_f64 v[6:7], -v[6:7], v[10:11], 1.0
	v_div_scale_f64 v[10:11], null, v[6:7], v[6:7], 1.0
	v_div_scale_f64 v[22:23], vcc_lo, 1.0, v[6:7], 1.0
	v_rcp_f64_e32 v[18:19], v[10:11]
	v_fma_f64 v[20:21], -v[10:11], v[18:19], 1.0
	v_fma_f64 v[18:19], v[18:19], v[20:21], v[18:19]
	v_fma_f64 v[20:21], -v[10:11], v[18:19], 1.0
	v_fma_f64 v[18:19], v[18:19], v[20:21], v[18:19]
	v_mul_f64 v[20:21], v[22:23], v[18:19]
	v_fma_f64 v[10:11], -v[10:11], v[20:21], v[22:23]
	v_div_fmas_f64 v[10:11], v[10:11], v[18:19], v[20:21]
	v_div_fixup_f64 v[6:7], v[10:11], v[6:7], 1.0
	s_waitcnt vmcnt(0)
	v_mul_f64 v[10:11], v[12:13], v[6:7]
	global_store_dwordx2 v[4:5], v[10:11], off
	global_load_dwordx2 v[10:11], v[8:9], off
	s_waitcnt vmcnt(0)
	v_mul_f64 v[6:7], v[10:11], v[6:7]
	global_store_dwordx2 v[8:9], v[6:7], off
	s_clause 0x2
	global_load_dwordx2 v[6:7], v[0:1], off
	global_load_dwordx2 v[10:11], v[28:29], off
	;; [unrolled: 1-line block ×3, first 2 shown]
	s_waitcnt vmcnt(0)
	v_fma_f64 v[6:7], v[10:11], v[12:13], v[6:7]
	global_store_dwordx2 v[0:1], v[6:7], off
	s_clause 0x2
	global_load_dwordx2 v[6:7], v[2:3], off
	global_load_dwordx2 v[10:11], v[28:29], off
	;; [unrolled: 1-line block ×3, first 2 shown]
	s_waitcnt vmcnt(0)
	v_fma_f64 v[6:7], v[10:11], v[12:13], v[6:7]
	global_store_dwordx2 v[2:3], v[6:7], off
	s_clause 0x2
	global_load_dwordx2 v[6:7], v[28:29], off
	global_load_dwordx2 v[10:11], v[32:33], off
	;; [unrolled: 1-line block ×3, first 2 shown]
	s_waitcnt vmcnt(1)
	v_fma_f64 v[6:7], -v[6:7], v[10:11], 1.0
	v_div_scale_f64 v[10:11], null, v[6:7], v[6:7], 1.0
	v_div_scale_f64 v[18:19], vcc_lo, 1.0, v[6:7], 1.0
	v_rcp_f64_e32 v[14:15], v[10:11]
	v_fma_f64 v[16:17], -v[10:11], v[14:15], 1.0
	v_fma_f64 v[14:15], v[14:15], v[16:17], v[14:15]
	v_fma_f64 v[16:17], -v[10:11], v[14:15], 1.0
	v_fma_f64 v[14:15], v[14:15], v[16:17], v[14:15]
	v_mul_f64 v[16:17], v[18:19], v[14:15]
	v_fma_f64 v[10:11], -v[10:11], v[16:17], v[18:19]
	v_div_fmas_f64 v[10:11], v[10:11], v[14:15], v[16:17]
	v_div_fixup_f64 v[6:7], v[10:11], v[6:7], 1.0
	s_waitcnt vmcnt(0)
	v_mul_f64 v[10:11], v[12:13], v[6:7]
	global_store_dwordx2 v[0:1], v[10:11], off
	global_load_dwordx2 v[10:11], v[2:3], off
	s_waitcnt vmcnt(0)
	v_mul_f64 v[6:7], v[10:11], v[6:7]
	global_store_dwordx2 v[2:3], v[6:7], off
	s_clause 0x2
	global_load_dwordx2 v[6:7], v[4:5], off
	global_load_dwordx2 v[10:11], v[8:9], off
	;; [unrolled: 1-line block ×3, first 2 shown]
	s_waitcnt vmcnt(0)
	v_fma_f64 v[0:1], v[10:11], v[0:1], v[6:7]
	global_store_dwordx2 v[4:5], v[0:1], off
	s_clause 0x1
	global_load_dwordx2 v[6:7], v[8:9], off
	global_load_dwordx2 v[2:3], v[2:3], off
	s_waitcnt vmcnt(0)
	v_fma_f64 v[2:3], -v[6:7], v[2:3], 1.0
	v_div_scale_f64 v[6:7], null, v[2:3], v[2:3], 1.0
	v_rcp_f64_e32 v[8:9], v[6:7]
	v_fma_f64 v[10:11], -v[6:7], v[8:9], 1.0
	v_fma_f64 v[8:9], v[8:9], v[10:11], v[8:9]
	v_fma_f64 v[10:11], -v[6:7], v[8:9], 1.0
	v_fma_f64 v[8:9], v[8:9], v[10:11], v[8:9]
	v_div_scale_f64 v[10:11], vcc_lo, 1.0, v[2:3], 1.0
	v_mul_f64 v[12:13], v[10:11], v[8:9]
	v_fma_f64 v[6:7], -v[6:7], v[12:13], v[10:11]
	v_div_fmas_f64 v[6:7], v[6:7], v[8:9], v[12:13]
	v_div_fixup_f64 v[2:3], v[6:7], v[2:3], 1.0
	v_mul_f64 v[0:1], v[0:1], v[2:3]
	global_store_dwordx2 v[4:5], v[0:1], off
	s_endpgm
	.section	.rodata,"a",@progbits
	.p2align	6, 0x0
	.amdhsa_kernel _Z12qssab_kernelIdEvPT_S1_S1_
		.amdhsa_group_segment_fixed_size 0
		.amdhsa_private_segment_fixed_size 0
		.amdhsa_kernarg_size 280
		.amdhsa_user_sgpr_count 6
		.amdhsa_user_sgpr_private_segment_buffer 1
		.amdhsa_user_sgpr_dispatch_ptr 0
		.amdhsa_user_sgpr_queue_ptr 0
		.amdhsa_user_sgpr_kernarg_segment_ptr 1
		.amdhsa_user_sgpr_dispatch_id 0
		.amdhsa_user_sgpr_flat_scratch_init 0
		.amdhsa_user_sgpr_private_segment_size 0
		.amdhsa_wavefront_size32 1
		.amdhsa_uses_dynamic_stack 0
		.amdhsa_system_sgpr_private_segment_wavefront_offset 0
		.amdhsa_system_sgpr_workgroup_id_x 1
		.amdhsa_system_sgpr_workgroup_id_y 0
		.amdhsa_system_sgpr_workgroup_id_z 0
		.amdhsa_system_sgpr_workgroup_info 0
		.amdhsa_system_vgpr_workitem_id 0
		.amdhsa_next_free_vgpr 63
		.amdhsa_next_free_sgpr 10
		.amdhsa_reserve_vcc 1
		.amdhsa_reserve_flat_scratch 0
		.amdhsa_float_round_mode_32 0
		.amdhsa_float_round_mode_16_64 0
		.amdhsa_float_denorm_mode_32 3
		.amdhsa_float_denorm_mode_16_64 3
		.amdhsa_dx10_clamp 1
		.amdhsa_ieee_mode 1
		.amdhsa_fp16_overflow 0
		.amdhsa_workgroup_processor_mode 1
		.amdhsa_memory_ordered 1
		.amdhsa_forward_progress 1
		.amdhsa_shared_vgpr_count 0
		.amdhsa_exception_fp_ieee_invalid_op 0
		.amdhsa_exception_fp_denorm_src 0
		.amdhsa_exception_fp_ieee_div_zero 0
		.amdhsa_exception_fp_ieee_overflow 0
		.amdhsa_exception_fp_ieee_underflow 0
		.amdhsa_exception_fp_ieee_inexact 0
		.amdhsa_exception_int_div_zero 0
	.end_amdhsa_kernel
	.section	.text._Z12qssab_kernelIdEvPT_S1_S1_,"axG",@progbits,_Z12qssab_kernelIdEvPT_S1_S1_,comdat
.Lfunc_end44:
	.size	_Z12qssab_kernelIdEvPT_S1_S1_, .Lfunc_end44-_Z12qssab_kernelIdEvPT_S1_S1_
                                        ; -- End function
	.set _Z12qssab_kernelIdEvPT_S1_S1_.num_vgpr, 63
	.set _Z12qssab_kernelIdEvPT_S1_S1_.num_agpr, 0
	.set _Z12qssab_kernelIdEvPT_S1_S1_.numbered_sgpr, 10
	.set _Z12qssab_kernelIdEvPT_S1_S1_.num_named_barrier, 0
	.set _Z12qssab_kernelIdEvPT_S1_S1_.private_seg_size, 0
	.set _Z12qssab_kernelIdEvPT_S1_S1_.uses_vcc, 1
	.set _Z12qssab_kernelIdEvPT_S1_S1_.uses_flat_scratch, 0
	.set _Z12qssab_kernelIdEvPT_S1_S1_.has_dyn_sized_stack, 0
	.set _Z12qssab_kernelIdEvPT_S1_S1_.has_recursion, 0
	.set _Z12qssab_kernelIdEvPT_S1_S1_.has_indirect_call, 0
	.section	.AMDGPU.csdata,"",@progbits
; Kernel info:
; codeLenInByte = 8244
; TotalNumSgprs: 12
; NumVgprs: 63
; ScratchSize: 0
; MemoryBound: 1
; FloatMode: 240
; IeeeMode: 1
; LDSByteSize: 0 bytes/workgroup (compile time only)
; SGPRBlocks: 0
; VGPRBlocks: 7
; NumSGPRsForWavesPerEU: 12
; NumVGPRsForWavesPerEU: 63
; Occupancy: 16
; WaveLimiterHint : 1
; COMPUTE_PGM_RSRC2:SCRATCH_EN: 0
; COMPUTE_PGM_RSRC2:USER_SGPR: 6
; COMPUTE_PGM_RSRC2:TRAP_HANDLER: 0
; COMPUTE_PGM_RSRC2:TGID_X_EN: 1
; COMPUTE_PGM_RSRC2:TGID_Y_EN: 0
; COMPUTE_PGM_RSRC2:TGID_Z_EN: 0
; COMPUTE_PGM_RSRC2:TIDIG_COMP_CNT: 0
	.section	.text._Z12qssa2_kernelIdEvPT_S1_PKS0_,"axG",@progbits,_Z12qssa2_kernelIdEvPT_S1_PKS0_,comdat
	.protected	_Z12qssa2_kernelIdEvPT_S1_PKS0_ ; -- Begin function _Z12qssa2_kernelIdEvPT_S1_PKS0_
	.globl	_Z12qssa2_kernelIdEvPT_S1_PKS0_
	.p2align	8
	.type	_Z12qssa2_kernelIdEvPT_S1_PKS0_,@function
_Z12qssa2_kernelIdEvPT_S1_PKS0_:        ; @_Z12qssa2_kernelIdEvPT_S1_PKS0_
; %bb.0:
	s_clause 0x1
	s_load_dword s0, s[4:5], 0x24
	s_load_dword s7, s[4:5], 0x18
	v_mov_b32_e32 v1, 0
	s_load_dwordx2 s[8:9], s[4:5], 0x10
	s_waitcnt lgkmcnt(0)
	s_and_b32 s0, s0, 0xffff
	s_mul_i32 s7, s7, s0
	s_mul_i32 s6, s6, s0
	;; [unrolled: 1-line block ×4, first 2 shown]
	v_add3_u32 v0, s0, s6, v0
	s_lshl_b32 s6, s7, 2
	s_mul_i32 s0, s7, -5
	v_mad_u64_u32 v[2:3], null, s7, -11, v[0:1]
	v_lshlrev_b64 v[45:46], 3, v[0:1]
	v_mov_b32_e32 v3, v1
	v_add_co_u32 v5, vcc_lo, s8, v45
	v_add_nc_u32_e32 v0, s6, v2
	v_lshlrev_b64 v[3:4], 3, v[2:3]
	v_add_co_ci_u32_e64 v6, null, s9, v46, vcc_lo
	v_mad_u64_u32 v[7:8], null, s7, 40, v[0:1]
	v_lshlrev_b64 v[47:48], 3, v[0:1]
	v_add_co_u32 v9, vcc_lo, s8, v3
	v_add_co_ci_u32_e64 v10, null, s9, v4, vcc_lo
	v_mov_b32_e32 v8, v1
	v_add_nc_u32_e32 v0, s6, v7
	v_add_co_u32 v11, vcc_lo, s8, v47
	v_add_co_ci_u32_e64 v12, null, s9, v48, vcc_lo
	v_lshlrev_b64 v[20:21], 3, v[0:1]
	v_subrev_nc_u32_e32 v0, s7, v0
	v_lshlrev_b64 v[34:35], 3, v[7:8]
	s_clause 0x2
	global_load_dwordx2 v[2:3], v[5:6], off
	global_load_dwordx2 v[4:5], v[9:10], off
	;; [unrolled: 1-line block ×3, first 2 shown]
	v_mad_u64_u32 v[12:13], null, 0xffffffc6, s7, v[0:1]
	v_mov_b32_e32 v13, v1
	v_lshlrev_b64 v[24:25], 3, v[0:1]
	v_add_co_u32 v8, vcc_lo, s8, v34
	v_add_co_ci_u32_e64 v9, null, s9, v35, vcc_lo
	v_add_nc_u32_e32 v0, s6, v12
	v_add_co_u32 v10, vcc_lo, s8, v20
	v_lshlrev_b64 v[12:13], 3, v[12:13]
	v_add_co_ci_u32_e64 v11, null, s9, v21, vcc_lo
	v_lshlrev_b64 v[14:15], 3, v[0:1]
	s_clause 0x1
	global_load_dwordx2 v[8:9], v[8:9], off
	global_load_dwordx2 v[10:11], v[10:11], off
	v_add_co_u32 v12, vcc_lo, s8, v12
	v_add_co_ci_u32_e64 v13, null, s9, v13, vcc_lo
	v_add_co_u32 v14, vcc_lo, s8, v14
	v_add_co_ci_u32_e64 v15, null, s9, v15, vcc_lo
	;; [unrolled: 2-line block ×3, first 2 shown]
	s_clause 0x2
	global_load_dwordx2 v[22:23], v[12:13], off
	global_load_dwordx2 v[38:39], v[14:15], off
	;; [unrolled: 1-line block ×3, first 2 shown]
	v_subrev_nc_u32_e32 v0, s7, v0
	v_lshlrev_b64 v[12:13], 3, v[0:1]
	v_add_nc_u32_e32 v0, s6, v0
	v_mad_u64_u32 v[16:17], null, 0xffffffee, s7, v[0:1]
	v_lshlrev_b64 v[26:27], 3, v[0:1]
	v_mov_b32_e32 v17, v1
	v_add_nc_u32_e32 v0, s6, v16
	v_lshlrev_b64 v[30:31], 3, v[0:1]
	v_subrev_nc_u32_e32 v0, s7, v0
	v_lshlrev_b64 v[32:33], 3, v[0:1]
	v_add_nc_u32_e32 v0, s6, v0
	v_lshlrev_b64 v[42:43], 3, v[0:1]
	v_add_nc_u32_e32 v0, s0, v0
	v_mad_u64_u32 v[51:52], null, 0x4b, s7, v[0:1]
	v_lshlrev_b64 v[49:50], 3, v[0:1]
	v_add_co_u32 v52, vcc_lo, s8, v12
	v_add_co_ci_u32_e64 v53, null, s9, v13, vcc_lo
	v_lshlrev_b64 v[12:13], 3, v[16:17]
	v_add_nc_u32_e32 v0, s6, v51
	v_add_co_u32 v54, vcc_lo, s8, v26
	v_add_co_ci_u32_e64 v55, null, s9, v27, vcc_lo
	v_lshlrev_b64 v[14:15], 3, v[0:1]
	v_subrev_nc_u32_e32 v0, s7, v0
	v_add_co_u32 v56, vcc_lo, s8, v12
	v_add_co_ci_u32_e64 v57, null, s9, v13, vcc_lo
	v_mad_u64_u32 v[18:19], null, 0xffffffe7, s7, v[0:1]
	v_lshlrev_b64 v[16:17], 3, v[0:1]
	v_add_co_u32 v58, vcc_lo, s8, v30
	v_add_co_ci_u32_e64 v59, null, s9, v31, vcc_lo
	v_add_co_u32 v60, vcc_lo, s8, v32
	v_add_nc_u32_e32 v0, s10, v18
	v_add_co_ci_u32_e64 v61, null, s9, v33, vcc_lo
	v_add_co_u32 v62, vcc_lo, s8, v42
	v_lshlrev_b64 v[28:29], 3, v[0:1]
	v_add_nc_u32_e32 v0, s6, v0
	v_add_co_ci_u32_e64 v63, null, s9, v43, vcc_lo
	v_add_co_u32 v64, vcc_lo, s8, v49
	v_lshlrev_b64 v[26:27], 3, v[0:1]
	v_add_nc_u32_e32 v0, s0, v0
	v_add_co_ci_u32_e64 v65, null, s9, v50, vcc_lo
	s_load_dwordx4 s[0:3], s[4:5], 0x0
	s_lshl_b32 s4, s7, 1
	v_mad_u64_u32 v[36:37], null, s7, 31, v[0:1]
	v_lshlrev_b64 v[32:33], 3, v[0:1]
	v_mov_b32_e32 v19, v1
	v_add_nc_u32_e32 v0, s6, v36
	v_lshlrev_b64 v[30:31], 3, v[0:1]
	v_add_nc_u32_e32 v0, s10, v0
	v_mad_u64_u32 v[49:50], null, 0xffffffcd, s7, v[0:1]
	v_lshlrev_b64 v[12:13], 3, v[0:1]
	v_add_nc_u32_e32 v0, s10, v49
	v_mad_u64_u32 v[42:43], null, s7, 52, v[0:1]
	v_lshlrev_b64 v[43:44], 3, v[0:1]
	v_lshl_add_u32 v0, s7, 3, v42
	v_mad_u64_u32 v[66:67], null, 0xffffffac, s7, v[0:1]
	v_mov_b32_e32 v67, v1
	s_waitcnt vmcnt(5)
	v_fma_f64 v[6:7], v[2:3], v[6:7], v[4:5]
	s_waitcnt vmcnt(3)
	v_fma_f64 v[4:5], v[2:3], v[10:11], v[8:9]
	v_lshlrev_b64 v[8:9], 3, v[66:67]
	s_waitcnt lgkmcnt(0)
	v_add_co_u32 v67, vcc_lo, s0, v8
	v_add_co_ci_u32_e64 v68, null, s1, v9, vcc_lo
	s_waitcnt vmcnt(1)
	v_fma_f64 v[8:9], v[2:3], v[38:39], v[22:23]
	s_clause 0x6
	global_load_dwordx2 v[10:11], v[52:53], off
	global_load_dwordx2 v[22:23], v[56:57], off
	global_load_dwordx2 v[37:38], v[58:59], off
	global_load_dwordx2 v[53:54], v[54:55], off
	global_load_dwordx2 v[55:56], v[60:61], off
	global_load_dwordx2 v[57:58], v[62:63], off
	global_load_dwordx2 v[59:60], v[64:65], off
	v_mov_b32_e32 v52, v1
	s_waitcnt vmcnt(7)
	v_fma_f64 v[4:5], v[6:7], v[40:41], v[4:5]
	v_lshlrev_b64 v[40:41], 3, v[51:52]
	global_load_dwordx2 v[50:51], v[67:68], off
	s_waitcnt vmcnt(7)
	v_fma_f64 v[8:9], v[6:7], v[10:11], v[8:9]
	s_waitcnt vmcnt(5)
	v_fma_f64 v[37:38], v[2:3], v[37:38], v[22:23]
	s_waitcnt vmcnt(4)
	v_fma_f64 v[10:11], v[4:5], v[53:54], v[8:9]
	v_add_co_u32 v8, vcc_lo, s8, v40
	v_add_co_ci_u32_e64 v9, null, s9, v41, vcc_lo
	global_load_dwordx2 v[22:23], v[8:9], off
	s_waitcnt vmcnt(4)
	v_fma_f64 v[8:9], v[6:7], v[55:56], v[37:38]
	v_mov_b32_e32 v37, v1
	s_waitcnt vmcnt(3)
	v_fma_f64 v[8:9], v[4:5], v[57:58], v[8:9]
	s_waitcnt vmcnt(2)
	v_fma_f64 v[38:39], v[10:11], v[59:60], v[8:9]
	v_lshlrev_b64 v[8:9], 3, v[0:1]
	v_add_nc_u32_e32 v0, s7, v66
	v_lshlrev_b64 v[52:53], 3, v[0:1]
	v_add_nc_u32_e32 v0, s7, v0
	v_add_co_u32 v54, vcc_lo, s0, v52
	v_add_co_ci_u32_e64 v55, null, s1, v53, vcc_lo
	v_lshlrev_b64 v[56:57], 3, v[0:1]
	v_add_nc_u32_e32 v0, s4, v0
	s_waitcnt vmcnt(1)
	v_mul_f64 v[50:51], v[38:39], v[50:51]
	global_store_dwordx2 v[67:68], v[50:51], off
	global_load_dwordx2 v[50:51], v[54:55], off
	s_waitcnt vmcnt(0)
	v_mul_f64 v[50:51], v[38:39], v[50:51]
	global_store_dwordx2 v[54:55], v[50:51], off
	v_add_co_u32 v50, vcc_lo, s0, v56
	v_add_co_ci_u32_e64 v51, null, s1, v57, vcc_lo
	v_add_co_u32 v52, vcc_lo, s2, v52
	v_add_co_ci_u32_e64 v53, null, s3, v53, vcc_lo
	global_load_dwordx2 v[54:55], v[50:51], off
	v_add_co_u32 v47, vcc_lo, s0, v47
	v_add_co_ci_u32_e64 v48, null, s1, v48, vcc_lo
	s_waitcnt vmcnt(0)
	v_mul_f64 v[54:55], v[38:39], v[54:55]
	global_store_dwordx2 v[50:51], v[54:55], off
	global_load_dwordx2 v[50:51], v[52:53], off
	global_load_dwordx2 v[54:55], v[47:48], off
	s_waitcnt vmcnt(1)
	v_mul_f64 v[50:51], v[2:3], v[50:51]
	s_waitcnt vmcnt(0)
	v_mul_f64 v[54:55], v[38:39], v[54:55]
	global_store_dwordx2 v[52:53], v[50:51], off
	v_lshlrev_b64 v[50:51], 3, v[0:1]
	global_store_dwordx2 v[47:48], v[54:55], off
	v_add_nc_u32_e32 v0, s7, v0
	v_add_co_u32 v47, vcc_lo, s0, v50
	v_add_co_ci_u32_e64 v48, null, s1, v51, vcc_lo
	v_lshlrev_b64 v[52:53], 3, v[0:1]
	v_add_nc_u32_e32 v0, s7, v0
	global_load_dwordx2 v[54:55], v[47:48], off
	v_add_co_u32 v52, vcc_lo, s0, v52
	v_add_co_ci_u32_e64 v53, null, s1, v53, vcc_lo
	s_waitcnt vmcnt(0)
	v_mul_f64 v[54:55], v[38:39], v[54:55]
	global_store_dwordx2 v[47:48], v[54:55], off
	global_load_dwordx2 v[47:48], v[52:53], off
	v_lshlrev_b64 v[54:55], 3, v[0:1]
	v_add_nc_u32_e32 v0, s7, v0
	s_waitcnt vmcnt(0)
	v_mul_f64 v[47:48], v[38:39], v[47:48]
	global_store_dwordx2 v[52:53], v[47:48], off
	v_add_co_u32 v47, vcc_lo, s0, v54
	v_add_co_ci_u32_e64 v48, null, s1, v55, vcc_lo
	global_load_dwordx2 v[52:53], v[47:48], off
	s_waitcnt vmcnt(0)
	v_mul_f64 v[52:53], v[38:39], v[52:53]
	global_store_dwordx2 v[47:48], v[52:53], off
	v_lshlrev_b64 v[47:48], 3, v[0:1]
	v_add_nc_u32_e32 v0, s7, v0
	v_add_co_u32 v47, vcc_lo, s0, v47
	v_add_co_ci_u32_e64 v48, null, s1, v48, vcc_lo
	global_load_dwordx2 v[52:53], v[47:48], off
	s_waitcnt vmcnt(0)
	v_mul_f64 v[52:53], v[2:3], v[52:53]
	global_store_dwordx2 v[47:48], v[52:53], off
	v_lshlrev_b64 v[47:48], 3, v[0:1]
	v_add_nc_u32_e32 v0, s7, v0
	;; [unrolled: 8-line block ×3, first 2 shown]
	v_add_co_u32 v47, vcc_lo, s0, v47
	v_add_co_ci_u32_e64 v48, null, s1, v48, vcc_lo
	v_add_co_u32 v45, vcc_lo, s0, v45
	v_add_co_ci_u32_e64 v46, null, s1, v46, vcc_lo
	global_load_dwordx2 v[52:53], v[47:48], off
	s_waitcnt vmcnt(0)
	v_mul_f64 v[52:53], v[2:3], v[52:53]
	global_store_dwordx2 v[47:48], v[52:53], off
	global_load_dwordx2 v[52:53], v[45:46], off
	v_lshlrev_b64 v[47:48], 3, v[0:1]
	v_add_nc_u32_e32 v0, s7, v0
	v_add_co_u32 v47, vcc_lo, s0, v47
	v_add_co_ci_u32_e64 v48, null, s1, v48, vcc_lo
	s_waitcnt vmcnt(0)
	v_mul_f64 v[52:53], v[2:3], v[52:53]
	global_store_dwordx2 v[45:46], v[52:53], off
	global_load_dwordx2 v[45:46], v[47:48], off
	v_lshlrev_b64 v[52:53], 3, v[0:1]
	v_add_nc_u32_e32 v0, s7, v0
	s_waitcnt vmcnt(0)
	v_mul_f64 v[45:46], v[2:3], v[45:46]
	global_store_dwordx2 v[47:48], v[45:46], off
	v_add_co_u32 v47, vcc_lo, s0, v52
	v_add_co_ci_u32_e64 v48, null, s1, v53, vcc_lo
	v_lshlrev_b64 v[45:46], 3, v[0:1]
	v_add_nc_u32_e32 v0, s7, v0
	global_load_dwordx2 v[52:53], v[47:48], off
	v_add_co_u32 v45, vcc_lo, s0, v45
	v_add_co_ci_u32_e64 v46, null, s1, v46, vcc_lo
	s_waitcnt vmcnt(0)
	v_mul_f64 v[52:53], v[2:3], v[52:53]
	global_store_dwordx2 v[47:48], v[52:53], off
	global_load_dwordx2 v[47:48], v[45:46], off
	v_add_co_u32 v52, vcc_lo, s2, v56
	v_add_co_ci_u32_e64 v53, null, s3, v57, vcc_lo
	v_lshlrev_b64 v[56:57], 3, v[0:1]
	v_add_nc_u32_e32 v0, s7, v0
	s_waitcnt vmcnt(0)
	v_mul_f64 v[47:48], v[2:3], v[47:48]
	global_store_dwordx2 v[45:46], v[47:48], off
	v_add_co_u32 v47, vcc_lo, s0, v56
	v_add_co_ci_u32_e64 v48, null, s1, v57, vcc_lo
	v_lshlrev_b64 v[45:46], 3, v[0:1]
	v_add_nc_u32_e32 v0, s7, v0
	global_load_dwordx2 v[56:57], v[47:48], off
	v_add_co_u32 v45, vcc_lo, s0, v45
	v_add_co_ci_u32_e64 v46, null, s1, v46, vcc_lo
	v_add_co_u32 v50, vcc_lo, s2, v50
	v_add_co_ci_u32_e64 v51, null, s3, v51, vcc_lo
	s_waitcnt vmcnt(0)
	v_mul_f64 v[56:57], v[10:11], v[56:57]
	global_store_dwordx2 v[47:48], v[56:57], off
	global_load_dwordx2 v[47:48], v[52:53], off
	global_load_dwordx2 v[56:57], v[45:46], off
	s_waitcnt vmcnt(1)
	v_mul_f64 v[47:48], v[10:11], v[47:48]
	s_waitcnt vmcnt(0)
	v_mul_f64 v[56:57], v[10:11], v[56:57]
	global_store_dwordx2 v[52:53], v[47:48], off
	v_lshlrev_b64 v[47:48], 3, v[0:1]
	global_store_dwordx2 v[45:46], v[56:57], off
	global_load_dwordx2 v[52:53], v[50:51], off
	v_add_nc_u32_e32 v0, s7, v0
	v_add_co_u32 v45, vcc_lo, s0, v47
	v_add_co_ci_u32_e64 v46, null, s1, v48, vcc_lo
	global_load_dwordx2 v[56:57], v[45:46], off
	s_waitcnt vmcnt(1)
	v_mul_f64 v[52:53], v[2:3], v[52:53]
	s_waitcnt vmcnt(0)
	v_mul_f64 v[56:57], v[10:11], v[56:57]
	global_store_dwordx2 v[50:51], v[52:53], off
	v_lshlrev_b64 v[51:52], 3, v[0:1]
	v_add_nc_u32_e32 v0, s7, v0
	v_mov_b32_e32 v50, v1
	v_lshlrev_b64 v[58:59], 3, v[0:1]
	v_add_nc_u32_e32 v0, s7, v0
	v_lshlrev_b64 v[49:50], 3, v[49:50]
	global_store_dwordx2 v[45:46], v[56:57], off
	v_add_co_u32 v45, vcc_lo, s0, v51
	v_add_co_ci_u32_e64 v46, null, s1, v52, vcc_lo
	v_add_co_u32 v56, vcc_lo, s0, v58
	v_add_co_ci_u32_e64 v57, null, s1, v59, vcc_lo
	global_load_dwordx2 v[58:59], v[45:46], off
	v_add_co_u32 v53, vcc_lo, s2, v54
	v_add_co_ci_u32_e64 v54, null, s3, v55, vcc_lo
	s_waitcnt vmcnt(0)
	v_mul_f64 v[58:59], v[10:11], v[58:59]
	global_store_dwordx2 v[45:46], v[58:59], off
	global_load_dwordx2 v[45:46], v[56:57], off
	v_lshlrev_b64 v[58:59], 3, v[0:1]
	v_add_nc_u32_e32 v0, s7, v0
	v_add_co_u32 v55, vcc_lo, s0, v58
	s_waitcnt vmcnt(0)
	v_mul_f64 v[45:46], v[10:11], v[45:46]
	global_store_dwordx2 v[56:57], v[45:46], off
	global_load_dwordx2 v[45:46], v[53:54], off
	v_add_co_ci_u32_e64 v56, null, s1, v59, vcc_lo
	global_load_dwordx2 v[57:58], v[55:56], off
	s_waitcnt vmcnt(1)
	v_mul_f64 v[45:46], v[2:3], v[45:46]
	s_waitcnt vmcnt(0)
	v_mul_f64 v[57:58], v[10:11], v[57:58]
	global_store_dwordx2 v[53:54], v[45:46], off
	v_lshlrev_b64 v[45:46], 3, v[0:1]
	v_add_nc_u32_e32 v0, s4, v0
	global_store_dwordx2 v[55:56], v[57:58], off
	v_add_co_u32 v53, vcc_lo, s0, v45
	v_add_co_ci_u32_e64 v54, null, s1, v46, vcc_lo
	v_add_co_u32 v57, vcc_lo, s0, v49
	v_add_co_ci_u32_e64 v58, null, s1, v50, vcc_lo
	global_load_dwordx2 v[55:56], v[53:54], off
	v_add_co_u32 v47, vcc_lo, s2, v47
	v_add_co_ci_u32_e64 v48, null, s3, v48, vcc_lo
	s_waitcnt vmcnt(0)
	v_mul_f64 v[55:56], v[10:11], v[55:56]
	global_store_dwordx2 v[53:54], v[55:56], off
	global_load_dwordx2 v[53:54], v[57:58], off
	v_lshlrev_b64 v[55:56], 3, v[0:1]
	v_add_nc_u32_e32 v0, s10, v0
	v_add_co_u32 v55, vcc_lo, s0, v55
	v_add_co_ci_u32_e64 v56, null, s1, v56, vcc_lo
	v_add_co_u32 v51, vcc_lo, s2, v51
	v_add_co_ci_u32_e64 v52, null, s3, v52, vcc_lo
	s_waitcnt vmcnt(0)
	v_mul_f64 v[53:54], v[10:11], v[53:54]
	global_store_dwordx2 v[57:58], v[53:54], off
	global_load_dwordx2 v[53:54], v[47:48], off
	global_load_dwordx2 v[57:58], v[55:56], off
	s_waitcnt vmcnt(1)
	v_mul_f64 v[53:54], v[2:3], v[53:54]
	s_waitcnt vmcnt(0)
	v_mul_f64 v[57:58], v[10:11], v[57:58]
	global_store_dwordx2 v[47:48], v[53:54], off
	v_lshlrev_b64 v[47:48], 3, v[0:1]
	global_load_dwordx2 v[53:54], v[51:52], off
	global_store_dwordx2 v[55:56], v[57:58], off
	v_add_nc_u32_e32 v0, s7, v0
	v_add_co_u32 v55, vcc_lo, s0, v47
	v_add_co_ci_u32_e64 v56, null, s1, v48, vcc_lo
	global_load_dwordx2 v[57:58], v[55:56], off
	s_waitcnt vmcnt(1)
	v_mul_f64 v[53:54], v[2:3], v[53:54]
	s_waitcnt vmcnt(0)
	v_mul_f64 v[57:58], v[6:7], v[57:58]
	global_store_dwordx2 v[51:52], v[53:54], off
	v_lshlrev_b64 v[51:52], 3, v[0:1]
	v_add_nc_u32_e32 v0, s7, v0
	v_add_co_u32 v53, vcc_lo, s0, v51
	v_add_co_ci_u32_e64 v54, null, s1, v52, vcc_lo
	v_add_co_u32 v45, vcc_lo, s2, v45
	global_store_dwordx2 v[55:56], v[57:58], off
	global_load_dwordx2 v[55:56], v[53:54], off
	v_add_co_ci_u32_e64 v46, null, s3, v46, vcc_lo
	v_lshlrev_b64 v[57:58], 3, v[0:1]
	v_add_nc_u32_e32 v0, s7, v0
	s_waitcnt vmcnt(0)
	v_mul_f64 v[55:56], v[6:7], v[55:56]
	global_store_dwordx2 v[53:54], v[55:56], off
	global_load_dwordx2 v[53:54], v[45:46], off
	v_add_co_u32 v55, vcc_lo, s0, v57
	v_add_co_ci_u32_e64 v56, null, s1, v58, vcc_lo
	global_load_dwordx2 v[57:58], v[55:56], off
	s_waitcnt vmcnt(1)
	v_mul_f64 v[53:54], v[38:39], v[53:54]
	s_waitcnt vmcnt(0)
	v_mul_f64 v[57:58], v[6:7], v[57:58]
	global_store_dwordx2 v[45:46], v[53:54], off
	v_lshlrev_b64 v[45:46], 3, v[0:1]
	v_add_nc_u32_e32 v0, s7, v0
	v_add_co_u32 v53, vcc_lo, s0, v45
	v_add_co_ci_u32_e64 v54, null, s1, v46, vcc_lo
	global_store_dwordx2 v[55:56], v[57:58], off
	v_add_co_u32 v47, vcc_lo, s2, v47
	global_load_dwordx2 v[55:56], v[53:54], off
	v_add_co_ci_u32_e64 v48, null, s3, v48, vcc_lo
	global_load_dwordx2 v[57:58], v[47:48], off
	s_waitcnt vmcnt(1)
	v_mul_f64 v[55:56], v[6:7], v[55:56]
	s_waitcnt vmcnt(0)
	v_mul_f64 v[57:58], v[10:11], v[57:58]
	global_store_dwordx2 v[53:54], v[55:56], off
	v_lshlrev_b64 v[53:54], 3, v[0:1]
	v_add_nc_u32_e32 v0, s7, v0
	global_store_dwordx2 v[47:48], v[57:58], off
	v_add_co_u32 v53, vcc_lo, s0, v53
	v_add_co_ci_u32_e64 v54, null, s1, v54, vcc_lo
	v_lshlrev_b64 v[47:48], 3, v[0:1]
	v_add_co_u32 v51, vcc_lo, s2, v51
	global_load_dwordx2 v[55:56], v[53:54], off
	v_add_co_ci_u32_e64 v52, null, s3, v52, vcc_lo
	v_add_co_u32 v47, vcc_lo, s0, v47
	v_add_co_ci_u32_e64 v48, null, s1, v48, vcc_lo
	global_load_dwordx2 v[57:58], v[51:52], off
	v_add_nc_u32_e32 v0, s7, v0
	s_waitcnt vmcnt(1)
	v_mul_f64 v[55:56], v[6:7], v[55:56]
	global_store_dwordx2 v[53:54], v[55:56], off
	global_load_dwordx2 v[53:54], v[47:48], off
	s_waitcnt vmcnt(1)
	v_mul_f64 v[55:56], v[38:39], v[57:58]
	v_add_co_u32 v57, vcc_lo, s2, v45
	v_add_co_ci_u32_e64 v58, null, s3, v46, vcc_lo
	v_lshlrev_b64 v[45:46], 3, v[0:1]
	v_add_nc_u32_e32 v0, s4, v0
	global_store_dwordx2 v[51:52], v[55:56], off
	v_add_co_u32 v55, vcc_lo, s0, v45
	global_load_dwordx2 v[51:52], v[57:58], off
	v_add_co_ci_u32_e64 v56, null, s1, v46, vcc_lo
	s_waitcnt vmcnt(1)
	v_mul_f64 v[53:54], v[6:7], v[53:54]
	global_store_dwordx2 v[47:48], v[53:54], off
	global_load_dwordx2 v[45:46], v[55:56], off
	v_lshlrev_b64 v[53:54], 3, v[0:1]
	v_add_nc_u32_e32 v0, s10, v0
	s_waitcnt vmcnt(1)
	v_mul_f64 v[47:48], v[2:3], v[51:52]
	v_add_co_u32 v59, vcc_lo, s2, v53
	v_add_co_ci_u32_e64 v60, null, s3, v54, vcc_lo
	global_store_dwordx2 v[57:58], v[47:48], off
	v_lshlrev_b64 v[57:58], 3, v[0:1]
	v_add_nc_u32_e32 v0, s7, v0
	s_waitcnt vmcnt(0)
	v_mul_f64 v[51:52], v[6:7], v[45:46]
	v_lshlrev_b64 v[45:46], 3, v[18:19]
	global_load_dwordx2 v[18:19], v[59:60], off
	v_add_co_u32 v47, vcc_lo, s0, v45
	v_add_co_ci_u32_e64 v48, null, s1, v46, vcc_lo
	global_store_dwordx2 v[55:56], v[51:52], off
	global_load_dwordx2 v[51:52], v[47:48], off
	v_add_co_u32 v55, vcc_lo, s2, v32
	v_add_co_ci_u32_e64 v56, null, s3, v33, vcc_lo
	v_add_co_u32 v53, vcc_lo, s0, v53
	v_add_co_ci_u32_e64 v54, null, s1, v54, vcc_lo
	s_waitcnt vmcnt(1)
	v_mul_f64 v[18:19], v[10:11], v[18:19]
	s_waitcnt vmcnt(0)
	v_mul_f64 v[51:52], v[6:7], v[51:52]
	global_store_dwordx2 v[59:60], v[18:19], off
	global_load_dwordx2 v[18:19], v[55:56], off
	global_store_dwordx2 v[47:48], v[51:52], off
	global_load_dwordx2 v[47:48], v[53:54], off
	v_add_co_u32 v51, vcc_lo, s2, v28
	v_add_co_ci_u32_e64 v52, null, s3, v29, vcc_lo
	v_add_co_u32 v49, vcc_lo, s8, v49
	v_add_co_ci_u32_e64 v50, null, s9, v50, vcc_lo
	s_waitcnt vmcnt(1)
	v_mul_f64 v[18:19], v[10:11], v[18:19]
	s_waitcnt vmcnt(0)
	v_mul_f64 v[47:48], v[6:7], v[47:48]
	global_store_dwordx2 v[55:56], v[18:19], off
	v_add_co_u32 v55, vcc_lo, s0, v32
	global_load_dwordx2 v[18:19], v[51:52], off
	v_add_co_ci_u32_e64 v56, null, s1, v33, vcc_lo
	v_add_co_u32 v43, vcc_lo, s8, v43
	v_add_co_ci_u32_e64 v44, null, s9, v44, vcc_lo
	global_store_dwordx2 v[53:54], v[47:48], off
	global_load_dwordx2 v[53:54], v[55:56], off
	s_clause 0x1
	global_load_dwordx2 v[49:50], v[49:50], off
	global_load_dwordx2 v[59:60], v[43:44], off
	v_lshlrev_b64 v[47:48], 3, v[0:1]
	v_add_nc_u32_e32 v0, s7, v0
	v_add_co_u32 v47, vcc_lo, s2, v47
	v_add_co_ci_u32_e64 v48, null, s3, v48, vcc_lo
	s_waitcnt vmcnt(3)
	v_mul_f64 v[18:19], v[10:11], v[18:19]
	s_waitcnt vmcnt(2)
	v_mul_f64 v[43:44], v[6:7], v[53:54]
	v_add_co_u32 v53, vcc_lo, s0, v28
	global_store_dwordx2 v[51:52], v[18:19], off
	global_load_dwordx2 v[51:52], v[47:48], off
	v_add_co_ci_u32_e64 v54, null, s1, v29, vcc_lo
	global_store_dwordx2 v[55:56], v[43:44], off
	global_load_dwordx2 v[55:56], v[53:54], off
	v_mov_b32_e32 v43, v1
	v_lshlrev_b64 v[18:19], 3, v[42:43]
	s_waitcnt vmcnt(2)
	v_fma_f64 v[42:43], v[6:7], v[59:60], v[49:50]
	v_add_co_u32 v18, vcc_lo, s8, v18
	v_add_co_ci_u32_e64 v19, null, s9, v19, vcc_lo
	global_load_dwordx2 v[18:19], v[18:19], off
	s_waitcnt vmcnt(2)
	v_mul_f64 v[49:50], v[42:43], v[51:52]
	v_lshlrev_b64 v[51:52], 3, v[0:1]
	v_add_nc_u32_e32 v0, s4, v0
	v_add_co_u32 v51, vcc_lo, s2, v51
	v_add_co_ci_u32_e64 v52, null, s3, v52, vcc_lo
	s_waitcnt vmcnt(1)
	v_mul_f64 v[55:56], v[6:7], v[55:56]
	global_store_dwordx2 v[47:48], v[49:50], off
	v_add_co_u32 v49, vcc_lo, s0, v57
	global_load_dwordx2 v[47:48], v[51:52], off
	v_add_co_ci_u32_e64 v50, null, s1, v58, vcc_lo
	global_store_dwordx2 v[53:54], v[55:56], off
	global_load_dwordx2 v[53:54], v[49:50], off
	v_add_co_u32 v55, vcc_lo, s2, v26
	v_add_co_ci_u32_e64 v56, null, s3, v27, vcc_lo
	v_add_co_u32 v57, vcc_lo, s0, v34
	v_add_co_ci_u32_e64 v58, null, s1, v35, vcc_lo
	s_waitcnt vmcnt(1)
	v_mul_f64 v[47:48], v[2:3], v[47:48]
	s_waitcnt vmcnt(0)
	v_mul_f64 v[53:54], v[6:7], v[53:54]
	global_store_dwordx2 v[51:52], v[47:48], off
	global_load_dwordx2 v[47:48], v[55:56], off
	global_store_dwordx2 v[49:50], v[53:54], off
	global_load_dwordx2 v[34:35], v[57:58], off
	v_lshlrev_b64 v[49:50], 3, v[0:1]
	v_add_nc_u32_e32 v0, s7, v0
	v_lshlrev_b64 v[59:60], 3, v[0:1]
	v_add_nc_u32_e32 v0, s7, v0
	v_mad_u64_u32 v[53:54], null, s7, 6, v[0:1]
	v_lshlrev_b64 v[63:64], 3, v[0:1]
	v_add_nc_u32_e32 v0, s10, v53
	v_lshlrev_b64 v[51:52], 3, v[0:1]
	v_add_nc_u32_e32 v0, s4, v0
	s_waitcnt vmcnt(1)
	v_mul_f64 v[47:48], v[2:3], v[47:48]
	s_waitcnt vmcnt(0)
	v_mul_f64 v[61:62], v[38:39], v[34:35]
	v_lshlrev_b64 v[34:35], 3, v[0:1]
	v_add_nc_u32_e32 v0, s4, v0
	global_store_dwordx2 v[55:56], v[47:48], off
	v_add_co_u32 v47, vcc_lo, s0, v34
	v_add_co_ci_u32_e64 v48, null, s1, v35, vcc_lo
	v_add_co_u32 v40, vcc_lo, s0, v40
	v_add_co_ci_u32_e64 v41, null, s1, v41, vcc_lo
	;; [unrolled: 2-line block ×3, first 2 shown]
	global_store_dwordx2 v[57:58], v[61:62], off
	global_load_dwordx2 v[54:55], v[47:48], off
	s_waitcnt vmcnt(0)
	v_mul_f64 v[54:55], v[38:39], v[54:55]
	global_store_dwordx2 v[47:48], v[54:55], off
	global_load_dwordx2 v[47:48], v[40:41], off
	v_lshlrev_b64 v[54:55], 3, v[0:1]
	v_add_nc_u32_e32 v0, s7, v0
	s_waitcnt vmcnt(0)
	v_mul_f64 v[47:48], v[2:3], v[47:48]
	global_store_dwordx2 v[40:41], v[47:48], off
	v_add_co_u32 v47, vcc_lo, s0, v54
	global_load_dwordx2 v[40:41], v[49:50], off
	v_add_co_ci_u32_e64 v48, null, s1, v55, vcc_lo
	v_add_co_u32 v54, vcc_lo, s2, v59
	v_add_co_ci_u32_e64 v55, null, s3, v60, vcc_lo
	global_load_dwordx2 v[56:57], v[47:48], off
	s_waitcnt vmcnt(1)
	v_mul_f64 v[40:41], v[2:3], v[40:41]
	s_waitcnt vmcnt(0)
	v_mul_f64 v[56:57], v[2:3], v[56:57]
	global_store_dwordx2 v[49:50], v[40:41], off
	v_add_co_u32 v49, vcc_lo, s0, v16
	v_add_co_ci_u32_e64 v50, null, s1, v17, vcc_lo
	global_load_dwordx2 v[40:41], v[54:55], off
	global_store_dwordx2 v[47:48], v[56:57], off
	global_load_dwordx2 v[47:48], v[49:50], off
	s_waitcnt vmcnt(1)
	v_mul_f64 v[40:41], v[2:3], v[40:41]
	s_waitcnt vmcnt(0)
	v_mul_f64 v[56:57], v[10:11], v[47:48]
	v_lshlrev_b64 v[47:48], 3, v[0:1]
	v_add_nc_u32_e32 v0, s6, v0
	global_store_dwordx2 v[54:55], v[40:41], off
	v_lshlrev_b64 v[40:41], 3, v[0:1]
	v_add_nc_u32_e32 v0, s4, v0
	global_store_dwordx2 v[49:50], v[56:57], off
	v_add_co_u32 v49, vcc_lo, s0, v14
	v_add_co_ci_u32_e64 v50, null, s1, v15, vcc_lo
	v_lshlrev_b64 v[54:55], 3, v[0:1]
	v_add_nc_u32_e32 v0, s7, v0
	global_load_dwordx2 v[56:57], v[49:50], off
	v_add_co_u32 v54, vcc_lo, s0, v54
	v_add_co_ci_u32_e64 v55, null, s1, v55, vcc_lo
	v_lshlrev_b64 v[58:59], 3, v[0:1]
	v_add_nc_u32_e32 v0, s7, v0
	s_waitcnt vmcnt(0)
	v_mul_f64 v[56:57], v[6:7], v[56:57]
	global_store_dwordx2 v[49:50], v[56:57], off
	global_load_dwordx2 v[49:50], v[54:55], off
	v_add_co_u32 v56, vcc_lo, s2, v63
	v_add_co_ci_u32_e64 v57, null, s3, v64, vcc_lo
	s_waitcnt vmcnt(0)
	v_mul_f64 v[49:50], v[42:43], v[49:50]
	global_store_dwordx2 v[54:55], v[49:50], off
	global_load_dwordx2 v[49:50], v[56:57], off
	v_add_co_u32 v54, vcc_lo, s0, v58
	v_add_co_ci_u32_e64 v55, null, s1, v59, vcc_lo
	global_load_dwordx2 v[58:59], v[54:55], off
	s_waitcnt vmcnt(1)
	v_mul_f64 v[49:50], v[2:3], v[49:50]
	s_waitcnt vmcnt(0)
	v_mul_f64 v[58:59], v[42:43], v[58:59]
	global_store_dwordx2 v[56:57], v[49:50], off
	v_lshlrev_b64 v[49:50], 3, v[0:1]
	v_add_nc_u32_e32 v0, s4, v0
	v_add_co_u32 v56, vcc_lo, s0, v49
	v_add_co_ci_u32_e64 v57, null, s1, v50, vcc_lo
	global_store_dwordx2 v[54:55], v[58:59], off
	v_lshlrev_b64 v[58:59], 3, v[36:37]
	v_lshlrev_b64 v[36:37], 3, v[0:1]
	global_load_dwordx2 v[54:55], v[56:57], off
	v_add_nc_u32_e32 v0, s7, v0
	s_waitcnt vmcnt(0)
	v_mul_f64 v[54:55], v[42:43], v[54:55]
	global_store_dwordx2 v[56:57], v[54:55], off
	v_add_co_u32 v54, vcc_lo, s0, v58
	v_add_co_ci_u32_e64 v55, null, s1, v59, vcc_lo
	v_add_co_u32 v36, vcc_lo, s0, v36
	v_add_co_ci_u32_e64 v37, null, s1, v37, vcc_lo
	global_load_dwordx2 v[56:57], v[54:55], off
	s_waitcnt vmcnt(0)
	v_mul_f64 v[56:57], v[42:43], v[56:57]
	global_store_dwordx2 v[54:55], v[56:57], off
	global_load_dwordx2 v[54:55], v[36:37], off
	v_lshlrev_b64 v[56:57], 3, v[0:1]
	v_add_nc_u32_e32 v0, s6, v0
	s_waitcnt vmcnt(0)
	v_mul_f64 v[54:55], v[42:43], v[54:55]
	global_store_dwordx2 v[36:37], v[54:55], off
	v_add_co_u32 v54, vcc_lo, s0, v56
	v_add_co_ci_u32_e64 v55, null, s1, v57, vcc_lo
	v_lshlrev_b64 v[36:37], 3, v[0:1]
	v_add_nc_u32_e32 v0, s4, v0
	global_load_dwordx2 v[56:57], v[54:55], off
	v_add_co_u32 v36, vcc_lo, s0, v36
	v_add_co_ci_u32_e64 v37, null, s1, v37, vcc_lo
	s_waitcnt vmcnt(0)
	v_mul_f64 v[56:57], v[42:43], v[56:57]
	global_store_dwordx2 v[54:55], v[56:57], off
	global_load_dwordx2 v[54:55], v[36:37], off
	v_lshlrev_b64 v[56:57], 3, v[0:1]
	v_add_nc_u32_e32 v0, s7, v0
	s_waitcnt vmcnt(0)
	v_mul_f64 v[54:55], v[38:39], v[54:55]
	global_store_dwordx2 v[36:37], v[54:55], off
	v_add_co_u32 v36, vcc_lo, s0, v12
	v_add_co_ci_u32_e64 v37, null, s1, v13, vcc_lo
	v_add_co_u32 v54, vcc_lo, s0, v56
	v_add_co_ci_u32_e64 v55, null, s1, v57, vcc_lo
	global_load_dwordx2 v[56:57], v[36:37], off
	s_waitcnt vmcnt(0)
	v_mul_f64 v[56:57], v[10:11], v[56:57]
	global_store_dwordx2 v[36:37], v[56:57], off
	global_load_dwordx2 v[36:37], v[54:55], off
	s_waitcnt vmcnt(0)
	v_mul_f64 v[56:57], v[6:7], v[36:37]
	v_lshlrev_b64 v[36:37], 3, v[0:1]
	v_add_nc_u32_e32 v0, s10, v0
	global_store_dwordx2 v[54:55], v[56:57], off
	v_lshlrev_b64 v[54:55], 3, v[0:1]
	v_add_nc_u32_e32 v0, s7, v0
	v_add_co_u32 v54, vcc_lo, s0, v54
	v_add_co_ci_u32_e64 v55, null, s1, v55, vcc_lo
	v_add_co_u32 v24, vcc_lo, s2, v24
	v_add_co_ci_u32_e64 v25, null, s3, v25, vcc_lo
	global_load_dwordx2 v[56:57], v[54:55], off
	s_waitcnt vmcnt(0)
	v_mul_f64 v[56:57], v[38:39], v[56:57]
	global_load_dwordx2 v[38:39], v[24:25], off
	global_store_dwordx2 v[54:55], v[56:57], off
	s_waitcnt vmcnt(0)
	v_mul_f64 v[38:39], v[10:11], v[38:39]
	global_store_dwordx2 v[24:25], v[38:39], off
	v_lshlrev_b64 v[38:39], 3, v[0:1]
	v_add_nc_u32_e32 v0, s4, v0
	v_add_co_u32 v24, vcc_lo, s0, v38
	v_add_co_ci_u32_e64 v25, null, s1, v39, vcc_lo
	v_add_co_u32 v56, vcc_lo, s2, v20
	v_add_co_ci_u32_e64 v57, null, s3, v21, vcc_lo
	global_load_dwordx2 v[54:55], v[24:25], off
	v_add_co_u32 v20, vcc_lo, s8, v45
	v_add_co_ci_u32_e64 v21, null, s9, v46, vcc_lo
	v_add_co_u32 v44, vcc_lo, s8, v28
	v_add_co_ci_u32_e64 v45, null, s9, v29, vcc_lo
	v_lshlrev_b64 v[28:29], 3, v[0:1]
	v_add_nc_u32_e32 v0, s7, v0
	v_add_co_u32 v26, vcc_lo, s8, v26
	v_add_co_ci_u32_e64 v27, null, s9, v27, vcc_lo
	s_waitcnt vmcnt(0)
	v_mul_f64 v[54:55], v[10:11], v[54:55]
	global_store_dwordx2 v[24:25], v[54:55], off
	v_lshlrev_b64 v[24:25], 3, v[0:1]
	v_add_nc_u32_e32 v0, s4, v0
	v_add_co_u32 v24, vcc_lo, s0, v24
	v_add_co_ci_u32_e64 v25, null, s1, v25, vcc_lo
	v_add_co_u32 v54, vcc_lo, s8, v32
	v_add_co_ci_u32_e64 v55, null, s9, v33, vcc_lo
	global_load_dwordx2 v[32:33], v[24:25], off
	s_clause 0x2
	global_load_dwordx2 v[20:21], v[20:21], off
	global_load_dwordx2 v[44:45], v[44:45], off
	;; [unrolled: 1-line block ×3, first 2 shown]
	v_add_co_u32 v58, vcc_lo, s8, v58
	v_add_co_ci_u32_e64 v59, null, s9, v59, vcc_lo
	s_waitcnt vmcnt(3)
	v_mul_f64 v[26:27], v[4:5], v[32:33]
	s_waitcnt vmcnt(1)
	v_fma_f64 v[20:21], v[6:7], v[44:45], v[20:21]
	v_lshlrev_b64 v[44:45], 3, v[0:1]
	v_add_nc_u32_e32 v0, s10, v0
	v_lshlrev_b64 v[32:33], 3, v[0:1]
	v_add_nc_u32_e32 v0, s4, v0
	global_store_dwordx2 v[24:25], v[26:27], off
	v_add_co_u32 v26, vcc_lo, s8, v30
	v_add_co_ci_u32_e64 v27, null, s9, v31, vcc_lo
	v_add_co_u32 v30, vcc_lo, s0, v32
	v_add_co_ci_u32_e64 v31, null, s1, v33, vcc_lo
	s_clause 0x2
	global_load_dwordx2 v[62:63], v[54:55], off
	global_load_dwordx2 v[24:25], v[58:59], off
	;; [unrolled: 1-line block ×3, first 2 shown]
	s_waitcnt vmcnt(3)
	v_fma_f64 v[20:21], v[4:5], v[60:61], v[20:21]
	global_load_dwordx2 v[54:55], v[30:31], off
	s_waitcnt vmcnt(3)
	v_fma_f64 v[20:21], v[10:11], v[62:63], v[20:21]
	s_waitcnt vmcnt(1)
	v_fma_f64 v[24:25], v[2:3], v[26:27], v[24:25]
	s_waitcnt vmcnt(0)
	v_mul_f64 v[58:59], v[2:3], v[54:55]
	v_mov_b32_e32 v54, v1
	v_lshlrev_b64 v[53:54], 3, v[53:54]
	v_add_co_u32 v53, vcc_lo, s2, v53
	v_add_co_ci_u32_e64 v54, null, s3, v54, vcc_lo
	global_store_dwordx2 v[30:31], v[58:59], off
	v_lshlrev_b64 v[30:31], 3, v[0:1]
	v_add_nc_u32_e32 v0, s7, v0
	v_add_co_u32 v58, vcc_lo, s0, v30
	v_add_co_ci_u32_e64 v59, null, s1, v31, vcc_lo
	global_load_dwordx2 v[30:31], v[56:57], off
	global_load_dwordx2 v[60:61], v[58:59], off
	s_waitcnt vmcnt(1)
	v_mul_f64 v[30:31], v[6:7], v[30:31]
	s_waitcnt vmcnt(0)
	v_mul_f64 v[60:61], v[20:21], v[60:61]
	global_store_dwordx2 v[56:57], v[30:31], off
	v_lshlrev_b64 v[30:31], 3, v[0:1]
	global_load_dwordx2 v[55:56], v[53:54], off
	global_store_dwordx2 v[58:59], v[60:61], off
	v_add_nc_u32_e32 v0, s7, v0
	v_add_co_u32 v57, vcc_lo, s0, v30
	v_add_co_ci_u32_e64 v58, null, s1, v31, vcc_lo
	global_load_dwordx2 v[59:60], v[57:58], off
	s_waitcnt vmcnt(1)
	v_mul_f64 v[55:56], v[42:43], v[55:56]
	s_waitcnt vmcnt(0)
	v_mul_f64 v[59:60], v[20:21], v[59:60]
	global_store_dwordx2 v[53:54], v[55:56], off
	v_lshlrev_b64 v[53:54], 3, v[0:1]
	v_add_co_u32 v55, vcc_lo, s2, v51
	v_add_co_ci_u32_e64 v56, null, s3, v52, vcc_lo
	v_add_nc_u32_e32 v0, s7, v0
	v_add_co_u32 v61, vcc_lo, s0, v53
	v_add_co_ci_u32_e64 v62, null, s1, v54, vcc_lo
	global_load_dwordx2 v[51:52], v[55:56], off
	global_store_dwordx2 v[57:58], v[59:60], off
	global_load_dwordx2 v[53:54], v[61:62], off
	s_waitcnt vmcnt(1)
	v_mul_f64 v[42:43], v[42:43], v[51:52]
	s_waitcnt vmcnt(0)
	v_mul_f64 v[57:58], v[20:21], v[53:54]
	v_lshlrev_b64 v[53:54], 3, v[0:1]
	v_add_nc_u32_e32 v0, s7, v0
	v_lshlrev_b64 v[51:52], 3, v[0:1]
	v_add_nc_u32_e32 v0, s6, v0
	global_store_dwordx2 v[55:56], v[42:43], off
	v_lshlrev_b64 v[42:43], 3, v[0:1]
	v_add_nc_u32_e32 v0, s4, v0
	global_store_dwordx2 v[61:62], v[57:58], off
	v_add_co_u32 v57, vcc_lo, s0, v53
	v_add_co_ci_u32_e64 v58, null, s1, v54, vcc_lo
	v_lshlrev_b64 v[55:56], 3, v[0:1]
	v_add_nc_u32_e32 v0, s7, v0
	global_load_dwordx2 v[59:60], v[57:58], off
	v_add_co_u32 v55, vcc_lo, s0, v55
	v_add_co_ci_u32_e64 v56, null, s1, v56, vcc_lo
	v_add_co_u32 v34, vcc_lo, s2, v34
	v_add_co_ci_u32_e64 v35, null, s3, v35, vcc_lo
	s_waitcnt vmcnt(0)
	v_mul_f64 v[59:60], v[20:21], v[59:60]
	global_store_dwordx2 v[57:58], v[59:60], off
	global_load_dwordx2 v[57:58], v[55:56], off
	v_lshlrev_b64 v[59:60], 3, v[0:1]
	v_add_nc_u32_e32 v0, s7, v0
	s_waitcnt vmcnt(0)
	v_mul_f64 v[57:58], v[4:5], v[57:58]
	global_store_dwordx2 v[55:56], v[57:58], off
	v_add_co_u32 v57, vcc_lo, s0, v59
	global_load_dwordx2 v[55:56], v[34:35], off
	v_add_co_ci_u32_e64 v58, null, s1, v60, vcc_lo
	global_load_dwordx2 v[59:60], v[57:58], off
	s_waitcnt vmcnt(1)
	v_mul_f64 v[55:56], v[4:5], v[55:56]
	s_waitcnt vmcnt(0)
	v_mul_f64 v[59:60], v[4:5], v[59:60]
	global_store_dwordx2 v[34:35], v[55:56], off
	v_lshlrev_b64 v[34:35], 3, v[0:1]
	v_add_nc_u32_e32 v0, s7, v0
	global_store_dwordx2 v[57:58], v[59:60], off
	v_add_co_u32 v57, vcc_lo, s0, v34
	v_add_co_ci_u32_e64 v58, null, s1, v35, vcc_lo
	v_lshlrev_b64 v[55:56], 3, v[0:1]
	v_add_nc_u32_e32 v0, s7, v0
	global_load_dwordx2 v[59:60], v[57:58], off
	v_add_co_u32 v55, vcc_lo, s0, v55
	v_add_co_ci_u32_e64 v56, null, s1, v56, vcc_lo
	v_add_co_u32 v46, vcc_lo, s2, v47
	v_add_co_ci_u32_e64 v47, null, s3, v48, vcc_lo
	;; [unrolled: 2-line block ×3, first 2 shown]
	s_waitcnt vmcnt(0)
	v_mul_f64 v[59:60], v[4:5], v[59:60]
	global_store_dwordx2 v[57:58], v[59:60], off
	global_load_dwordx2 v[57:58], v[55:56], off
	v_lshlrev_b64 v[59:60], 3, v[0:1]
	v_add_nc_u32_e32 v0, s7, v0
	s_waitcnt vmcnt(0)
	v_mul_f64 v[57:58], v[4:5], v[57:58]
	global_store_dwordx2 v[55:56], v[57:58], off
	global_load_dwordx2 v[55:56], v[46:47], off
	v_add_co_u32 v57, vcc_lo, s0, v59
	v_add_co_ci_u32_e64 v58, null, s1, v60, vcc_lo
	global_load_dwordx2 v[59:60], v[57:58], off
	global_load_dwordx2 v[14:15], v[14:15], off
	v_add_co_u32 v16, vcc_lo, s8, v16
	v_add_co_ci_u32_e64 v17, null, s9, v17, vcc_lo
	v_add_co_u32 v40, vcc_lo, s2, v40
	v_add_co_ci_u32_e64 v41, null, s3, v41, vcc_lo
	global_load_dwordx2 v[16:17], v[16:17], off
	s_waitcnt vmcnt(3)
	v_mul_f64 v[55:56], v[2:3], v[55:56]
	s_waitcnt vmcnt(2)
	v_mul_f64 v[59:60], v[4:5], v[59:60]
	s_waitcnt vmcnt(1)
	v_fma_f64 v[14:15], v[2:3], v[14:15], v[22:23]
	global_store_dwordx2 v[46:47], v[55:56], off
	v_lshlrev_b64 v[46:47], 3, v[0:1]
	global_load_dwordx2 v[55:56], v[40:41], off
	v_add_nc_u32_e32 v0, s7, v0
	v_add_co_u32 v46, vcc_lo, s0, v46
	v_add_co_ci_u32_e64 v47, null, s1, v47, vcc_lo
	global_store_dwordx2 v[57:58], v[59:60], off
	s_waitcnt vmcnt(1)
	v_fma_f64 v[14:15], v[6:7], v[16:17], v[14:15]
	v_add_co_u32 v48, vcc_lo, s2, v49
	global_load_dwordx2 v[57:58], v[46:47], off
	v_add_co_ci_u32_e64 v49, null, s3, v50, vcc_lo
	s_waitcnt vmcnt(1)
	v_mul_f64 v[16:17], v[14:15], v[55:56]
	v_lshlrev_b64 v[55:56], 3, v[0:1]
	v_add_nc_u32_e32 v0, s7, v0
	v_add_co_u32 v55, vcc_lo, s0, v55
	v_add_co_ci_u32_e64 v56, null, s1, v56, vcc_lo
	v_add_co_u32 v36, vcc_lo, s2, v36
	s_waitcnt vmcnt(0)
	v_mul_f64 v[22:23], v[4:5], v[57:58]
	v_add_co_ci_u32_e64 v37, null, s3, v37, vcc_lo
	global_store_dwordx2 v[40:41], v[16:17], off
	global_load_dwordx2 v[16:17], v[48:49], off
	v_lshlrev_b64 v[40:41], 3, v[0:1]
	v_add_nc_u32_e32 v0, s7, v0
	global_store_dwordx2 v[46:47], v[22:23], off
	global_load_dwordx2 v[22:23], v[55:56], off
	v_add_co_u32 v46, vcc_lo, s0, v40
	v_add_co_ci_u32_e64 v47, null, s1, v41, vcc_lo
	v_add_co_u32 v38, vcc_lo, s2, v38
	v_add_co_ci_u32_e64 v39, null, s3, v39, vcc_lo
	s_waitcnt vmcnt(1)
	v_mul_f64 v[16:17], v[6:7], v[16:17]
	s_waitcnt vmcnt(0)
	v_mul_f64 v[22:23], v[4:5], v[22:23]
	global_store_dwordx2 v[48:49], v[16:17], off
	global_load_dwordx2 v[16:17], v[36:37], off
	v_lshlrev_b64 v[48:49], 3, v[0:1]
	v_add_nc_u32_e32 v0, s7, v0
	global_store_dwordx2 v[55:56], v[22:23], off
	global_load_dwordx2 v[22:23], v[46:47], off
	v_add_co_u32 v55, vcc_lo, s0, v48
	v_add_co_ci_u32_e64 v56, null, s1, v49, vcc_lo
	v_add_co_u32 v28, vcc_lo, s2, v28
	v_add_co_ci_u32_e64 v29, null, s3, v29, vcc_lo
	s_waitcnt vmcnt(1)
	v_mul_f64 v[16:17], v[6:7], v[16:17]
	s_waitcnt vmcnt(0)
	v_mul_f64 v[22:23], v[4:5], v[22:23]
	;; [unrolled: 14-line block ×3, first 2 shown]
	global_store_dwordx2 v[38:39], v[16:17], off
	global_load_dwordx2 v[16:17], v[28:29], off
	v_lshlrev_b64 v[38:39], 3, v[0:1]
	v_add_nc_u32_e32 v0, s4, v0
	v_add_co_u32 v38, vcc_lo, s0, v38
	v_add_co_ci_u32_e64 v39, null, s1, v39, vcc_lo
	v_add_co_u32 v32, vcc_lo, s2, v32
	global_store_dwordx2 v[55:56], v[22:23], off
	global_load_dwordx2 v[22:23], v[46:47], off
	v_add_co_ci_u32_e64 v33, null, s3, v33, vcc_lo
	s_waitcnt vmcnt(1)
	v_mul_f64 v[16:17], v[20:21], v[16:17]
	s_waitcnt vmcnt(0)
	v_mul_f64 v[22:23], v[4:5], v[22:23]
	global_store_dwordx2 v[28:29], v[16:17], off
	global_load_dwordx2 v[16:17], v[44:45], off
	v_lshlrev_b64 v[28:29], 3, v[0:1]
	v_add_nc_u32_e32 v0, s7, v0
	v_add_co_u32 v28, vcc_lo, s0, v28
	v_add_co_ci_u32_e64 v29, null, s1, v29, vcc_lo
	v_add_co_u32 v30, vcc_lo, s2, v30
	global_store_dwordx2 v[46:47], v[22:23], off
	global_load_dwordx2 v[22:23], v[38:39], off
	v_add_co_ci_u32_e64 v31, null, s3, v31, vcc_lo
	s_waitcnt vmcnt(1)
	v_mul_f64 v[16:17], v[10:11], v[16:17]
	s_waitcnt vmcnt(0)
	v_mul_f64 v[22:23], v[4:5], v[22:23]
	global_store_dwordx2 v[44:45], v[16:17], off
	global_load_dwordx2 v[16:17], v[32:33], off
	global_store_dwordx2 v[38:39], v[22:23], off
	global_load_dwordx2 v[22:23], v[28:29], off
	v_lshlrev_b64 v[38:39], 3, v[0:1]
	v_add_nc_u32_e32 v0, s7, v0
	v_add_co_u32 v38, vcc_lo, s0, v38
	v_add_co_ci_u32_e64 v39, null, s1, v39, vcc_lo
	s_waitcnt vmcnt(1)
	v_mul_f64 v[16:17], v[4:5], v[16:17]
	s_waitcnt vmcnt(0)
	v_mul_f64 v[22:23], v[4:5], v[22:23]
	global_store_dwordx2 v[32:33], v[16:17], off
	global_load_dwordx2 v[16:17], v[30:31], off
	v_add_co_u32 v32, vcc_lo, s2, v53
	v_add_co_ci_u32_e64 v33, null, s3, v54, vcc_lo
	global_store_dwordx2 v[28:29], v[22:23], off
	global_load_dwordx2 v[22:23], v[38:39], off
	v_lshlrev_b64 v[28:29], 3, v[0:1]
	v_add_nc_u32_e32 v0, s7, v0
	v_add_co_u32 v28, vcc_lo, s0, v28
	v_add_co_ci_u32_e64 v29, null, s1, v29, vcc_lo
	v_add_co_u32 v12, vcc_lo, s8, v12
	v_add_co_ci_u32_e64 v13, null, s9, v13, vcc_lo
	global_load_dwordx2 v[12:13], v[12:13], off
	s_waitcnt vmcnt(2)
	v_mul_f64 v[16:17], v[10:11], v[16:17]
	s_waitcnt vmcnt(1)
	v_mul_f64 v[22:23], v[4:5], v[22:23]
	global_store_dwordx2 v[30:31], v[16:17], off
	global_load_dwordx2 v[16:17], v[32:33], off
	v_lshlrev_b64 v[30:31], 3, v[0:1]
	v_add_nc_u32_e32 v0, s7, v0
	s_waitcnt vmcnt(1)
	v_fma_f64 v[12:13], v[4:5], v[12:13], v[24:25]
	v_lshlrev_b64 v[24:25], 3, v[0:1]
	v_add_nc_u32_e32 v0, s7, v0
	global_store_dwordx2 v[38:39], v[22:23], off
	global_load_dwordx2 v[22:23], v[28:29], off
	v_add_co_u32 v38, vcc_lo, s2, v51
	v_add_co_ci_u32_e64 v39, null, s3, v52, vcc_lo
	v_add_co_u32 v30, vcc_lo, s0, v30
	v_add_co_ci_u32_e64 v31, null, s1, v31, vcc_lo
	;; [unrolled: 2-line block ×4, first 2 shown]
	s_waitcnt vmcnt(1)
	v_mul_f64 v[16:17], v[10:11], v[16:17]
	s_waitcnt vmcnt(0)
	v_mul_f64 v[22:23], v[4:5], v[22:23]
	global_store_dwordx2 v[32:33], v[16:17], off
	global_load_dwordx2 v[16:17], v[38:39], off
	global_store_dwordx2 v[28:29], v[22:23], off
	global_load_dwordx2 v[22:23], v[30:31], off
	v_lshlrev_b64 v[28:29], 3, v[0:1]
	v_add_nc_u32_e32 v0, s7, v0
	s_waitcnt vmcnt(1)
	v_mul_f64 v[16:17], v[12:13], v[16:17]
	s_waitcnt vmcnt(0)
	v_mul_f64 v[22:23], v[12:13], v[22:23]
	global_store_dwordx2 v[38:39], v[16:17], off
	global_load_dwordx2 v[16:17], v[26:27], off
	global_store_dwordx2 v[30:31], v[22:23], off
	global_load_dwordx2 v[22:23], v[24:25], off
	v_add_co_u32 v30, vcc_lo, s2, v34
	v_add_co_ci_u32_e64 v31, null, s3, v35, vcc_lo
	v_add_co_u32 v32, vcc_lo, s0, v28
	v_add_co_ci_u32_e64 v33, null, s1, v29, vcc_lo
	s_waitcnt vmcnt(1)
	v_mul_f64 v[16:17], v[10:11], v[16:17]
	s_waitcnt vmcnt(0)
	v_mul_f64 v[22:23], v[12:13], v[22:23]
	global_store_dwordx2 v[26:27], v[16:17], off
	global_load_dwordx2 v[16:17], v[30:31], off
	v_add_co_u32 v26, vcc_lo, s2, v40
	v_add_co_ci_u32_e64 v27, null, s3, v41, vcc_lo
	global_store_dwordx2 v[24:25], v[22:23], off
	global_load_dwordx2 v[22:23], v[32:33], off
	v_lshlrev_b64 v[24:25], 3, v[0:1]
	v_add_nc_u32_e32 v0, s7, v0
	v_add_co_u32 v24, vcc_lo, s0, v24
	v_add_co_ci_u32_e64 v25, null, s1, v25, vcc_lo
	s_waitcnt vmcnt(1)
	v_mul_f64 v[16:17], v[20:21], v[16:17]
	s_waitcnt vmcnt(0)
	v_mul_f64 v[22:23], v[12:13], v[22:23]
	global_store_dwordx2 v[30:31], v[16:17], off
	global_load_dwordx2 v[16:17], v[26:27], off
	v_lshlrev_b64 v[30:31], 3, v[0:1]
	v_add_nc_u32_e32 v0, s7, v0
	global_store_dwordx2 v[32:33], v[22:23], off
	global_load_dwordx2 v[22:23], v[24:25], off
	v_add_co_u32 v32, vcc_lo, s2, v48
	v_add_co_ci_u32_e64 v33, null, s3, v49, vcc_lo
	v_add_co_u32 v30, vcc_lo, s0, v30
	v_add_co_ci_u32_e64 v31, null, s1, v31, vcc_lo
	s_waitcnt vmcnt(1)
	v_mul_f64 v[16:17], v[12:13], v[16:17]
	s_waitcnt vmcnt(0)
	v_mul_f64 v[22:23], v[12:13], v[22:23]
	global_store_dwordx2 v[26:27], v[16:17], off
	global_load_dwordx2 v[16:17], v[32:33], off
	v_add_co_u32 v26, vcc_lo, s2, v36
	v_add_co_ci_u32_e64 v27, null, s3, v37, vcc_lo
	global_store_dwordx2 v[24:25], v[22:23], off
	global_load_dwordx2 v[22:23], v[30:31], off
	v_lshlrev_b64 v[24:25], 3, v[0:1]
	v_add_nc_u32_e32 v0, s7, v0
	v_add_co_u32 v24, vcc_lo, s0, v24
	v_add_co_ci_u32_e64 v25, null, s1, v25, vcc_lo
	v_add_co_u32 v28, vcc_lo, s2, v28
	v_add_co_ci_u32_e64 v29, null, s3, v29, vcc_lo
	s_waitcnt vmcnt(1)
	v_mul_f64 v[16:17], v[2:3], v[16:17]
	s_waitcnt vmcnt(0)
	v_mul_f64 v[22:23], v[12:13], v[22:23]
	global_store_dwordx2 v[32:33], v[16:17], off
	global_load_dwordx2 v[16:17], v[26:27], off
	global_store_dwordx2 v[30:31], v[22:23], off
	global_load_dwordx2 v[22:23], v[24:25], off
	v_lshlrev_b64 v[30:31], 3, v[0:1]
	v_add_nc_u32_e32 v0, s7, v0
	v_add_co_u32 v30, vcc_lo, s0, v30
	v_add_co_ci_u32_e64 v31, null, s1, v31, vcc_lo
	s_waitcnt vmcnt(1)
	v_mul_f64 v[16:17], v[12:13], v[16:17]
	s_waitcnt vmcnt(0)
	v_mul_f64 v[22:23], v[12:13], v[22:23]
	global_store_dwordx2 v[26:27], v[16:17], off
	global_load_dwordx2 v[16:17], v[28:29], off
	global_store_dwordx2 v[24:25], v[22:23], off
	global_load_dwordx2 v[22:23], v[30:31], off
	v_lshlrev_b64 v[24:25], 3, v[0:1]
	v_add_nc_u32_e32 v0, s7, v0
	v_lshlrev_b64 v[26:27], 3, v[0:1]
	v_add_nc_u32_e32 v0, s7, v0
	v_add_co_u32 v26, vcc_lo, s2, v26
	v_add_co_ci_u32_e64 v27, null, s3, v27, vcc_lo
	v_add_co_u32 v24, vcc_lo, s0, v24
	v_add_co_ci_u32_e64 v25, null, s1, v25, vcc_lo
	s_waitcnt vmcnt(1)
	v_mul_f64 v[16:17], v[2:3], v[16:17]
	s_waitcnt vmcnt(0)
	v_mul_f64 v[22:23], v[12:13], v[22:23]
	global_store_dwordx2 v[28:29], v[16:17], off
	global_load_dwordx2 v[16:17], v[26:27], off
	v_lshlrev_b64 v[28:29], 3, v[0:1]
	v_add_nc_u32_e32 v0, s7, v0
	v_add_co_u32 v28, vcc_lo, s2, v28
	v_add_co_ci_u32_e64 v29, null, s3, v29, vcc_lo
	global_store_dwordx2 v[30:31], v[22:23], off
	global_load_dwordx2 v[22:23], v[24:25], off
	v_lshlrev_b64 v[30:31], 3, v[0:1]
	v_add_nc_u32_e32 v0, s7, v0
	v_lshlrev_b64 v[32:33], 3, v[0:1]
	v_add_nc_u32_e32 v0, s7, v0
	;; [unrolled: 2-line block ×5, first 2 shown]
	s_waitcnt vmcnt(1)
	v_mul_f64 v[16:17], v[20:21], v[16:17]
	s_waitcnt vmcnt(0)
	v_mul_f64 v[12:13], v[12:13], v[22:23]
	v_lshlrev_b64 v[22:23], 3, v[0:1]
	v_add_nc_u32_e32 v0, s4, v0
	v_lshlrev_b64 v[40:41], 3, v[0:1]
	global_store_dwordx2 v[26:27], v[16:17], off
	global_load_dwordx2 v[16:17], v[28:29], off
	v_add_nc_u32_e32 v0, s7, v0
	v_add_co_u32 v42, vcc_lo, s0, v40
	v_add_co_ci_u32_e64 v43, null, s1, v41, vcc_lo
	v_add_co_u32 v26, vcc_lo, s2, v30
	v_add_co_ci_u32_e64 v27, null, s3, v31, vcc_lo
	global_store_dwordx2 v[24:25], v[12:13], off
	global_load_dwordx2 v[12:13], v[42:43], off
	v_lshlrev_b64 v[24:25], 3, v[0:1]
	v_add_nc_u32_e32 v0, s7, v0
	v_add_co_u32 v24, vcc_lo, s0, v24
	v_add_co_ci_u32_e64 v25, null, s1, v25, vcc_lo
	v_add_co_u32 v30, vcc_lo, s2, v32
	v_add_co_ci_u32_e64 v31, null, s3, v33, vcc_lo
	s_waitcnt vmcnt(1)
	v_mul_f64 v[16:17], v[14:15], v[16:17]
	s_waitcnt vmcnt(0)
	v_mul_f64 v[12:13], v[2:3], v[12:13]
	global_store_dwordx2 v[28:29], v[16:17], off
	global_load_dwordx2 v[16:17], v[26:27], off
	v_lshlrev_b64 v[28:29], 3, v[0:1]
	v_add_nc_u32_e32 v0, s7, v0
	v_add_co_u32 v32, vcc_lo, s0, v28
	v_add_co_ci_u32_e64 v33, null, s1, v29, vcc_lo
	global_store_dwordx2 v[42:43], v[12:13], off
	global_load_dwordx2 v[12:13], v[24:25], off
	s_waitcnt vmcnt(1)
	v_mul_f64 v[16:17], v[4:5], v[16:17]
	s_waitcnt vmcnt(0)
	v_mul_f64 v[12:13], v[10:11], v[12:13]
	global_store_dwordx2 v[26:27], v[16:17], off
	global_load_dwordx2 v[16:17], v[30:31], off
	v_add_co_u32 v26, vcc_lo, s2, v34
	v_add_co_ci_u32_e64 v27, null, s3, v35, vcc_lo
	global_store_dwordx2 v[24:25], v[12:13], off
	global_load_dwordx2 v[12:13], v[32:33], off
	v_lshlrev_b64 v[24:25], 3, v[0:1]
	v_add_nc_u32_e32 v0, s7, v0
	v_add_co_u32 v24, vcc_lo, s0, v24
	v_add_co_ci_u32_e64 v25, null, s1, v25, vcc_lo
	v_add_co_u32 v36, vcc_lo, s2, v36
	v_add_co_ci_u32_e64 v37, null, s3, v37, vcc_lo
	s_waitcnt vmcnt(1)
	v_mul_f64 v[16:17], v[4:5], v[16:17]
	s_waitcnt vmcnt(0)
	v_mul_f64 v[12:13], v[6:7], v[12:13]
	global_store_dwordx2 v[30:31], v[16:17], off
	global_load_dwordx2 v[16:17], v[26:27], off
	v_lshlrev_b64 v[30:31], 3, v[0:1]
	v_add_nc_u32_e32 v0, s7, v0
	global_store_dwordx2 v[32:33], v[12:13], off
	global_load_dwordx2 v[12:13], v[24:25], off
	v_lshlrev_b64 v[32:33], 3, v[0:1]
	v_add_nc_u32_e32 v0, s7, v0
	v_lshlrev_b64 v[34:35], 3, v[0:1]
	v_add_nc_u32_e32 v0, s7, v0
	v_add_co_u32 v34, vcc_lo, s0, v34
	v_add_co_ci_u32_e64 v35, null, s1, v35, vcc_lo
	s_waitcnt vmcnt(1)
	v_mul_f64 v[16:17], v[2:3], v[16:17]
	s_waitcnt vmcnt(0)
	v_mul_f64 v[12:13], v[6:7], v[12:13]
	global_store_dwordx2 v[26:27], v[16:17], off
	global_load_dwordx2 v[16:17], v[36:37], off
	global_store_dwordx2 v[24:25], v[12:13], off
	global_load_dwordx2 v[12:13], v[34:35], off
	v_add_co_u32 v24, vcc_lo, s2, v38
	v_add_co_ci_u32_e64 v25, null, s3, v39, vcc_lo
	s_waitcnt vmcnt(1)
	v_mul_f64 v[10:11], v[10:11], v[16:17]
	v_lshlrev_b64 v[16:17], 3, v[0:1]
	v_add_nc_u32_e32 v0, s7, v0
	v_add_co_u32 v16, vcc_lo, s0, v16
	v_add_co_ci_u32_e64 v17, null, s1, v17, vcc_lo
	v_lshlrev_b64 v[26:27], 3, v[0:1]
	v_add_co_u32 v22, vcc_lo, s2, v22
	s_waitcnt vmcnt(0)
	v_mul_f64 v[12:13], v[14:15], v[12:13]
	v_add_co_ci_u32_e64 v23, null, s3, v23, vcc_lo
	v_add_co_u32 v26, vcc_lo, s0, v26
	v_add_co_ci_u32_e64 v27, null, s1, v27, vcc_lo
	v_add_nc_u32_e32 v0, s7, v0
	global_store_dwordx2 v[36:37], v[10:11], off
	global_load_dwordx2 v[10:11], v[24:25], off
	global_store_dwordx2 v[34:35], v[12:13], off
	global_load_dwordx2 v[12:13], v[16:17], off
	s_waitcnt vmcnt(1)
	v_mul_f64 v[10:11], v[4:5], v[10:11]
	s_waitcnt vmcnt(0)
	v_mul_f64 v[12:13], v[14:15], v[12:13]
	global_store_dwordx2 v[24:25], v[10:11], off
	global_load_dwordx2 v[10:11], v[22:23], off
	v_add_co_u32 v24, vcc_lo, s2, v40
	v_add_co_ci_u32_e64 v25, null, s3, v41, vcc_lo
	global_store_dwordx2 v[16:17], v[12:13], off
	global_load_dwordx2 v[12:13], v[26:27], off
	v_lshlrev_b64 v[16:17], 3, v[0:1]
	v_add_nc_u32_e32 v0, s7, v0
	v_add_co_u32 v16, vcc_lo, s0, v16
	v_add_co_ci_u32_e64 v17, null, s1, v17, vcc_lo
	s_waitcnt vmcnt(1)
	v_mul_f64 v[10:11], v[4:5], v[10:11]
	s_waitcnt vmcnt(0)
	v_mul_f64 v[12:13], v[14:15], v[12:13]
	global_store_dwordx2 v[22:23], v[10:11], off
	global_load_dwordx2 v[10:11], v[24:25], off
	v_lshlrev_b64 v[22:23], 3, v[0:1]
	v_add_nc_u32_e32 v0, s7, v0
	global_store_dwordx2 v[26:27], v[12:13], off
	global_load_dwordx2 v[12:13], v[16:17], off
	v_add_co_u32 v26, vcc_lo, s2, v28
	v_add_co_ci_u32_e64 v27, null, s3, v29, vcc_lo
	v_add_co_u32 v22, vcc_lo, s0, v22
	v_add_co_ci_u32_e64 v23, null, s1, v23, vcc_lo
	s_waitcnt vmcnt(1)
	v_mul_f64 v[10:11], v[14:15], v[10:11]
	s_waitcnt vmcnt(0)
	v_mul_f64 v[12:13], v[14:15], v[12:13]
	global_store_dwordx2 v[24:25], v[10:11], off
	global_load_dwordx2 v[10:11], v[26:27], off
	v_add_co_u32 v24, vcc_lo, s2, v30
	v_add_co_ci_u32_e64 v25, null, s3, v31, vcc_lo
	global_store_dwordx2 v[16:17], v[12:13], off
	global_load_dwordx2 v[12:13], v[22:23], off
	v_lshlrev_b64 v[16:17], 3, v[0:1]
	v_add_nc_u32_e32 v0, s7, v0
	v_add_co_u32 v16, vcc_lo, s0, v16
	v_add_co_ci_u32_e64 v17, null, s1, v17, vcc_lo
	v_add_co_u32 v8, vcc_lo, s8, v8
	v_add_co_ci_u32_e64 v9, null, s9, v9, vcc_lo
	global_load_dwordx2 v[8:9], v[8:9], off
	s_waitcnt vmcnt(2)
	v_mul_f64 v[10:11], v[20:21], v[10:11]
	s_waitcnt vmcnt(1)
	v_mul_f64 v[12:13], v[14:15], v[12:13]
	global_store_dwordx2 v[26:27], v[10:11], off
	global_load_dwordx2 v[10:11], v[24:25], off
	v_add_co_u32 v26, vcc_lo, s2, v32
	v_add_co_ci_u32_e64 v27, null, s3, v33, vcc_lo
	s_waitcnt vmcnt(1)
	v_fma_f64 v[8:9], v[14:15], v[8:9], v[18:19]
	global_store_dwordx2 v[22:23], v[12:13], off
	global_load_dwordx2 v[12:13], v[16:17], off
	v_lshlrev_b64 v[22:23], 3, v[0:1]
	v_add_nc_u32_e32 v0, s7, v0
	v_add_co_u32 v22, vcc_lo, s0, v22
	v_add_co_ci_u32_e64 v23, null, s1, v23, vcc_lo
	s_waitcnt vmcnt(1)
	v_mul_f64 v[10:11], v[4:5], v[10:11]
	s_waitcnt vmcnt(0)
	v_mul_f64 v[12:13], v[14:15], v[12:13]
	global_store_dwordx2 v[24:25], v[10:11], off
	global_load_dwordx2 v[10:11], v[26:27], off
	global_store_dwordx2 v[16:17], v[12:13], off
	global_load_dwordx2 v[12:13], v[22:23], off
	v_lshlrev_b64 v[16:17], 3, v[0:1]
	v_add_nc_u32_e32 v0, s7, v0
	v_lshlrev_b64 v[18:19], 3, v[0:1]
	v_add_nc_u32_e32 v0, s4, v0
	;; [unrolled: 2-line block ×3, first 2 shown]
	v_add_co_u32 v24, vcc_lo, s2, v24
	v_add_co_ci_u32_e64 v25, null, s3, v25, vcc_lo
	v_add_co_u32 v16, vcc_lo, s0, v16
	v_add_co_ci_u32_e64 v17, null, s1, v17, vcc_lo
	s_waitcnt vmcnt(1)
	v_mul_f64 v[10:11], v[8:9], v[10:11]
	s_waitcnt vmcnt(0)
	v_mul_f64 v[12:13], v[14:15], v[12:13]
	global_store_dwordx2 v[26:27], v[10:11], off
	global_load_dwordx2 v[10:11], v[24:25], off
	global_store_dwordx2 v[22:23], v[12:13], off
	global_load_dwordx2 v[12:13], v[16:17], off
	v_lshlrev_b64 v[22:23], 3, v[0:1]
	v_add_nc_u32_e32 v0, s7, v0
	v_add_co_u32 v22, vcc_lo, s2, v22
	v_add_co_ci_u32_e64 v23, null, s3, v23, vcc_lo
	v_add_co_u32 v18, vcc_lo, s0, v18
	v_add_co_ci_u32_e64 v19, null, s1, v19, vcc_lo
	s_waitcnt vmcnt(1)
	v_mul_f64 v[10:11], v[14:15], v[10:11]
	s_waitcnt vmcnt(0)
	v_mul_f64 v[12:13], v[14:15], v[12:13]
	global_store_dwordx2 v[24:25], v[10:11], off
	global_load_dwordx2 v[10:11], v[22:23], off
	global_store_dwordx2 v[16:17], v[12:13], off
	global_load_dwordx2 v[12:13], v[18:19], off
	v_lshlrev_b64 v[16:17], 3, v[0:1]
	v_add_nc_u32_e32 v0, s7, v0
	v_lshlrev_b64 v[24:25], 3, v[0:1]
	v_add_co_u32 v16, vcc_lo, s2, v16
	v_add_co_ci_u32_e64 v17, null, s3, v17, vcc_lo
	v_add_nc_u32_e32 v0, s7, v0
	v_add_co_u32 v26, vcc_lo, s0, v24
	v_add_co_ci_u32_e64 v27, null, s1, v25, vcc_lo
	v_add_co_u32 v24, vcc_lo, s2, v24
	v_add_co_ci_u32_e64 v25, null, s3, v25, vcc_lo
	s_waitcnt vmcnt(1)
	v_mul_f64 v[10:11], v[14:15], v[10:11]
	s_waitcnt vmcnt(0)
	v_mul_f64 v[12:13], v[14:15], v[12:13]
	global_store_dwordx2 v[22:23], v[10:11], off
	global_load_dwordx2 v[10:11], v[16:17], off
	global_store_dwordx2 v[18:19], v[12:13], off
	global_load_dwordx2 v[12:13], v[26:27], off
	v_lshlrev_b64 v[18:19], 3, v[0:1]
	v_add_nc_u32_e32 v0, s4, v0
	v_lshlrev_b64 v[22:23], 3, v[0:1]
	v_add_nc_u32_e32 v0, s4, v0
	s_waitcnt vmcnt(1)
	v_mul_f64 v[10:11], v[14:15], v[10:11]
	s_waitcnt vmcnt(0)
	v_mul_f64 v[6:7], v[6:7], v[12:13]
	v_lshlrev_b64 v[12:13], 3, v[0:1]
	v_add_nc_u32_e32 v0, s7, v0
	v_lshlrev_b64 v[28:29], 3, v[0:1]
	global_store_dwordx2 v[16:17], v[10:11], off
	global_load_dwordx2 v[10:11], v[24:25], off
	v_add_nc_u32_e32 v0, s7, v0
	v_add_co_u32 v28, vcc_lo, s0, v28
	v_add_co_ci_u32_e64 v29, null, s1, v29, vcc_lo
	v_add_co_u32 v18, vcc_lo, s2, v18
	v_add_co_ci_u32_e64 v19, null, s3, v19, vcc_lo
	global_store_dwordx2 v[26:27], v[6:7], off
	global_load_dwordx2 v[6:7], v[28:29], off
	s_waitcnt vmcnt(1)
	v_mul_f64 v[10:11], v[14:15], v[10:11]
	s_waitcnt vmcnt(0)
	v_mul_f64 v[2:3], v[2:3], v[6:7]
	v_mad_u64_u32 v[6:7], null, s7, 9, v[0:1]
	v_mov_b32_e32 v7, v1
	global_store_dwordx2 v[24:25], v[10:11], off
	v_lshlrev_b64 v[16:17], 3, v[6:7]
	global_load_dwordx2 v[10:11], v[18:19], off
	v_lshlrev_b64 v[24:25], 3, v[0:1]
	v_add_nc_u32_e32 v0, s7, v6
	v_add_co_u32 v26, vcc_lo, s0, v16
	v_add_co_ci_u32_e64 v27, null, s1, v17, vcc_lo
	v_lshlrev_b64 v[6:7], 3, v[0:1]
	v_add_co_u32 v22, vcc_lo, s2, v22
	global_store_dwordx2 v[28:29], v[2:3], off
	global_load_dwordx2 v[2:3], v[26:27], off
	v_add_co_ci_u32_e64 v23, null, s3, v23, vcc_lo
	v_add_co_u32 v6, vcc_lo, s0, v6
	v_add_co_ci_u32_e64 v7, null, s1, v7, vcc_lo
	v_add_nc_u32_e32 v0, s7, v0
	v_add_co_u32 v12, vcc_lo, s2, v12
	v_add_co_ci_u32_e64 v13, null, s3, v13, vcc_lo
	s_waitcnt vmcnt(1)
	v_mul_f64 v[10:11], v[14:15], v[10:11]
	s_waitcnt vmcnt(0)
	v_mul_f64 v[2:3], v[8:9], v[2:3]
	global_store_dwordx2 v[18:19], v[10:11], off
	global_load_dwordx2 v[10:11], v[22:23], off
	v_lshlrev_b64 v[18:19], 3, v[0:1]
	v_add_nc_u32_e32 v0, s7, v0
	global_store_dwordx2 v[26:27], v[2:3], off
	global_load_dwordx2 v[2:3], v[6:7], off
	s_waitcnt vmcnt(1)
	v_mul_f64 v[10:11], v[20:21], v[10:11]
	v_add_co_u32 v20, vcc_lo, s0, v18
	v_add_co_ci_u32_e64 v21, null, s1, v19, vcc_lo
	s_waitcnt vmcnt(0)
	v_mul_f64 v[2:3], v[8:9], v[2:3]
	global_store_dwordx2 v[22:23], v[10:11], off
	global_load_dwordx2 v[10:11], v[12:13], off
	global_store_dwordx2 v[6:7], v[2:3], off
	global_load_dwordx2 v[2:3], v[20:21], off
	v_lshlrev_b64 v[6:7], 3, v[0:1]
	v_add_nc_u32_e32 v0, s7, v0
	s_waitcnt vmcnt(1)
	v_mul_f64 v[4:5], v[4:5], v[10:11]
	v_add_co_u32 v10, vcc_lo, s2, v24
	v_add_co_ci_u32_e64 v11, null, s3, v25, vcc_lo
	v_add_co_u32 v6, vcc_lo, s0, v6
	v_add_co_ci_u32_e64 v7, null, s1, v7, vcc_lo
	v_add_co_u32 v16, vcc_lo, s2, v16
	v_add_co_ci_u32_e64 v17, null, s3, v17, vcc_lo
	s_waitcnt vmcnt(0)
	v_mul_f64 v[2:3], v[8:9], v[2:3]
	global_store_dwordx2 v[12:13], v[4:5], off
	global_load_dwordx2 v[4:5], v[10:11], off
	v_lshlrev_b64 v[12:13], 3, v[0:1]
	v_add_nc_u32_e32 v0, s7, v0
	v_add_co_u32 v12, vcc_lo, s0, v12
	v_add_co_ci_u32_e64 v13, null, s1, v13, vcc_lo
	global_store_dwordx2 v[20:21], v[2:3], off
	global_load_dwordx2 v[2:3], v[6:7], off
	s_waitcnt vmcnt(1)
	v_mul_f64 v[4:5], v[8:9], v[4:5]
	s_waitcnt vmcnt(0)
	v_mul_f64 v[2:3], v[8:9], v[2:3]
	global_store_dwordx2 v[10:11], v[4:5], off
	global_load_dwordx2 v[4:5], v[16:17], off
	v_add_co_u32 v10, vcc_lo, s2, v18
	v_add_co_ci_u32_e64 v11, null, s3, v19, vcc_lo
	global_store_dwordx2 v[6:7], v[2:3], off
	global_load_dwordx2 v[2:3], v[12:13], off
	v_lshlrev_b64 v[6:7], 3, v[0:1]
	v_add_nc_u32_e32 v0, s7, v0
	v_add_co_u32 v18, vcc_lo, s0, v6
	v_add_co_ci_u32_e64 v19, null, s1, v7, vcc_lo
	v_lshlrev_b64 v[0:1], 3, v[0:1]
	v_add_co_u32 v6, vcc_lo, s2, v6
	v_add_co_ci_u32_e64 v7, null, s3, v7, vcc_lo
	v_add_co_u32 v0, vcc_lo, s0, v0
	v_add_co_ci_u32_e64 v1, null, s1, v1, vcc_lo
	s_waitcnt vmcnt(1)
	v_mul_f64 v[4:5], v[14:15], v[4:5]
	s_waitcnt vmcnt(0)
	v_mul_f64 v[2:3], v[8:9], v[2:3]
	global_store_dwordx2 v[16:17], v[4:5], off
	global_load_dwordx2 v[4:5], v[10:11], off
	global_store_dwordx2 v[12:13], v[2:3], off
	global_load_dwordx2 v[2:3], v[18:19], off
	s_waitcnt vmcnt(1)
	v_mul_f64 v[4:5], v[14:15], v[4:5]
	s_waitcnt vmcnt(0)
	v_mul_f64 v[2:3], v[8:9], v[2:3]
	global_store_dwordx2 v[10:11], v[4:5], off
	global_store_dwordx2 v[18:19], v[2:3], off
	global_load_dwordx2 v[2:3], v[6:7], off
	global_load_dwordx2 v[4:5], v[0:1], off
	s_waitcnt vmcnt(1)
	v_mul_f64 v[2:3], v[14:15], v[2:3]
	s_waitcnt vmcnt(0)
	v_mul_f64 v[4:5], v[8:9], v[4:5]
	global_store_dwordx2 v[6:7], v[2:3], off
	global_store_dwordx2 v[0:1], v[4:5], off
	s_endpgm
	.section	.rodata,"a",@progbits
	.p2align	6, 0x0
	.amdhsa_kernel _Z12qssa2_kernelIdEvPT_S1_PKS0_
		.amdhsa_group_segment_fixed_size 0
		.amdhsa_private_segment_fixed_size 0
		.amdhsa_kernarg_size 280
		.amdhsa_user_sgpr_count 6
		.amdhsa_user_sgpr_private_segment_buffer 1
		.amdhsa_user_sgpr_dispatch_ptr 0
		.amdhsa_user_sgpr_queue_ptr 0
		.amdhsa_user_sgpr_kernarg_segment_ptr 1
		.amdhsa_user_sgpr_dispatch_id 0
		.amdhsa_user_sgpr_flat_scratch_init 0
		.amdhsa_user_sgpr_private_segment_size 0
		.amdhsa_wavefront_size32 1
		.amdhsa_uses_dynamic_stack 0
		.amdhsa_system_sgpr_private_segment_wavefront_offset 0
		.amdhsa_system_sgpr_workgroup_id_x 1
		.amdhsa_system_sgpr_workgroup_id_y 0
		.amdhsa_system_sgpr_workgroup_id_z 0
		.amdhsa_system_sgpr_workgroup_info 0
		.amdhsa_system_vgpr_workitem_id 0
		.amdhsa_next_free_vgpr 69
		.amdhsa_next_free_sgpr 11
		.amdhsa_reserve_vcc 1
		.amdhsa_reserve_flat_scratch 0
		.amdhsa_float_round_mode_32 0
		.amdhsa_float_round_mode_16_64 0
		.amdhsa_float_denorm_mode_32 3
		.amdhsa_float_denorm_mode_16_64 3
		.amdhsa_dx10_clamp 1
		.amdhsa_ieee_mode 1
		.amdhsa_fp16_overflow 0
		.amdhsa_workgroup_processor_mode 1
		.amdhsa_memory_ordered 1
		.amdhsa_forward_progress 1
		.amdhsa_shared_vgpr_count 0
		.amdhsa_exception_fp_ieee_invalid_op 0
		.amdhsa_exception_fp_denorm_src 0
		.amdhsa_exception_fp_ieee_div_zero 0
		.amdhsa_exception_fp_ieee_overflow 0
		.amdhsa_exception_fp_ieee_underflow 0
		.amdhsa_exception_fp_ieee_inexact 0
		.amdhsa_exception_int_div_zero 0
	.end_amdhsa_kernel
	.section	.text._Z12qssa2_kernelIdEvPT_S1_PKS0_,"axG",@progbits,_Z12qssa2_kernelIdEvPT_S1_PKS0_,comdat
.Lfunc_end45:
	.size	_Z12qssa2_kernelIdEvPT_S1_PKS0_, .Lfunc_end45-_Z12qssa2_kernelIdEvPT_S1_PKS0_
                                        ; -- End function
	.set _Z12qssa2_kernelIdEvPT_S1_PKS0_.num_vgpr, 69
	.set _Z12qssa2_kernelIdEvPT_S1_PKS0_.num_agpr, 0
	.set _Z12qssa2_kernelIdEvPT_S1_PKS0_.numbered_sgpr, 11
	.set _Z12qssa2_kernelIdEvPT_S1_PKS0_.num_named_barrier, 0
	.set _Z12qssa2_kernelIdEvPT_S1_PKS0_.private_seg_size, 0
	.set _Z12qssa2_kernelIdEvPT_S1_PKS0_.uses_vcc, 1
	.set _Z12qssa2_kernelIdEvPT_S1_PKS0_.uses_flat_scratch, 0
	.set _Z12qssa2_kernelIdEvPT_S1_PKS0_.has_dyn_sized_stack, 0
	.set _Z12qssa2_kernelIdEvPT_S1_PKS0_.has_recursion, 0
	.set _Z12qssa2_kernelIdEvPT_S1_PKS0_.has_indirect_call, 0
	.section	.AMDGPU.csdata,"",@progbits
; Kernel info:
; codeLenInByte = 10272
; TotalNumSgprs: 13
; NumVgprs: 69
; ScratchSize: 0
; MemoryBound: 1
; FloatMode: 240
; IeeeMode: 1
; LDSByteSize: 0 bytes/workgroup (compile time only)
; SGPRBlocks: 0
; VGPRBlocks: 8
; NumSGPRsForWavesPerEU: 13
; NumVGPRsForWavesPerEU: 69
; Occupancy: 12
; WaveLimiterHint : 1
; COMPUTE_PGM_RSRC2:SCRATCH_EN: 0
; COMPUTE_PGM_RSRC2:USER_SGPR: 6
; COMPUTE_PGM_RSRC2:TRAP_HANDLER: 0
; COMPUTE_PGM_RSRC2:TGID_X_EN: 1
; COMPUTE_PGM_RSRC2:TGID_Y_EN: 0
; COMPUTE_PGM_RSRC2:TGID_Z_EN: 0
; COMPUTE_PGM_RSRC2:TIDIG_COMP_CNT: 0
	.section	.text._Z13rdwdot_kernelIdEvPKT_S2_PS0_S0_S2_,"axG",@progbits,_Z13rdwdot_kernelIdEvPKT_S2_PS0_S0_S2_,comdat
	.protected	_Z13rdwdot_kernelIdEvPKT_S2_PS0_S0_S2_ ; -- Begin function _Z13rdwdot_kernelIdEvPKT_S2_PS0_S0_S2_
	.globl	_Z13rdwdot_kernelIdEvPKT_S2_PS0_S0_S2_
	.p2align	8
	.type	_Z13rdwdot_kernelIdEvPKT_S2_PS0_S0_S2_,@function
_Z13rdwdot_kernelIdEvPKT_S2_PS0_S0_S2_: ; @_Z13rdwdot_kernelIdEvPKT_S2_PS0_S0_S2_
; %bb.0:
	s_clause 0x3
	s_load_dwordx8 s[8:15], s[4:5], 0x0
	s_load_dwordx2 s[0:1], s[4:5], 0x20
	s_load_dword s2, s[4:5], 0x28
	s_load_dword s3, s[4:5], 0x34
	v_mov_b32_e32 v3, 0
	s_waitcnt lgkmcnt(0)
	s_load_dwordx2 s[0:1], s[0:1], 0x8
	s_and_b32 s4, s3, 0xffff
	v_mad_u64_u32 v[0:1], null, s6, s4, v[0:1]
	s_mul_i32 s2, s2, s4
	s_lshl_b32 s3, s2, 2
	s_mul_i32 s4, s2, 6
	s_mul_i32 s5, s2, 7
	;; [unrolled: 1-line block ×3, first 2 shown]
	v_add_nc_u32_e32 v2, s3, v0
	s_lshl_b32 s7, s2, 1
	s_mul_i32 s16, s2, 3
	s_lshl_b32 s17, s2, 3
	v_lshlrev_b64 v[4:5], 3, v[2:3]
	v_add_nc_u32_e32 v2, s2, v2
	v_add_co_u32 v6, vcc_lo, s8, v4
	v_add_co_ci_u32_e64 v7, null, s9, v5, vcc_lo
	v_add_co_u32 v4, vcc_lo, s10, v4
	v_add_co_ci_u32_e64 v5, null, s11, v5, vcc_lo
	global_load_dwordx2 v[6:7], v[6:7], off
	global_load_dwordx2 v[4:5], v[4:5], off
	s_waitcnt vmcnt(0)
	v_add_f64 v[4:5], v[6:7], -v[4:5]
	v_lshlrev_b64 v[6:7], 3, v[2:3]
	v_add_nc_u32_e32 v2, s2, v2
	v_add_co_u32 v8, vcc_lo, s8, v6
	v_add_co_ci_u32_e64 v9, null, s9, v7, vcc_lo
	v_add_co_u32 v6, vcc_lo, s10, v6
	v_add_co_ci_u32_e64 v7, null, s11, v7, vcc_lo
	global_load_dwordx2 v[8:9], v[8:9], off
	global_load_dwordx2 v[6:7], v[6:7], off
	s_waitcnt vmcnt(0)
	v_add_f64 v[6:7], v[8:9], -v[6:7]
	v_add_f64 v[4:5], v[4:5], v[6:7]
	v_lshlrev_b64 v[6:7], 3, v[2:3]
	v_add_nc_u32_e32 v2, s2, v2
	v_add_co_u32 v8, vcc_lo, s8, v6
	v_add_co_ci_u32_e64 v9, null, s9, v7, vcc_lo
	v_add_co_u32 v6, vcc_lo, s10, v6
	v_add_co_ci_u32_e64 v7, null, s11, v7, vcc_lo
	global_load_dwordx2 v[8:9], v[8:9], off
	global_load_dwordx2 v[6:7], v[6:7], off
	s_waitcnt vmcnt(0)
	v_add_f64 v[6:7], v[8:9], -v[6:7]
	v_add_f64 v[4:5], v[4:5], v[6:7]
	;; [unrolled: 11-line block ×3, first 2 shown]
	v_lshlrev_b64 v[6:7], 3, v[2:3]
	v_add_nc_u32_e32 v2, s2, v2
	v_add_co_u32 v8, vcc_lo, s8, v6
	v_add_co_ci_u32_e64 v9, null, s9, v7, vcc_lo
	v_add_co_u32 v6, vcc_lo, s10, v6
	v_add_co_ci_u32_e64 v7, null, s11, v7, vcc_lo
	global_load_dwordx2 v[8:9], v[8:9], off
	global_load_dwordx2 v[6:7], v[6:7], off
	s_waitcnt vmcnt(0)
	v_add_f64 v[6:7], v[8:9], -v[6:7]
	v_lshlrev_b64 v[8:9], 3, v[2:3]
	v_add_nc_u32_e32 v2, s2, v2
	v_add_co_u32 v10, vcc_lo, s8, v8
	v_add_co_ci_u32_e64 v11, null, s9, v9, vcc_lo
	v_add_co_u32 v8, vcc_lo, s10, v8
	v_add_co_ci_u32_e64 v9, null, s11, v9, vcc_lo
	global_load_dwordx2 v[10:11], v[10:11], off
	global_load_dwordx2 v[8:9], v[8:9], off
	s_waitcnt vmcnt(0)
	v_add_f64 v[8:9], v[10:11], -v[8:9]
	v_add_f64 v[6:7], v[6:7], v[8:9]
	v_lshlrev_b64 v[8:9], 3, v[2:3]
	v_add_nc_u32_e32 v2, s2, v2
	v_add_co_u32 v10, vcc_lo, s8, v8
	v_add_co_ci_u32_e64 v11, null, s9, v9, vcc_lo
	v_add_co_u32 v8, vcc_lo, s10, v8
	v_add_co_ci_u32_e64 v9, null, s11, v9, vcc_lo
	global_load_dwordx2 v[10:11], v[10:11], off
	v_lshlrev_b64 v[1:2], 3, v[2:3]
	global_load_dwordx2 v[8:9], v[8:9], off
	s_waitcnt vmcnt(0)
	v_add_f64 v[8:9], v[10:11], -v[8:9]
	v_add_f64 v[6:7], v[6:7], v[8:9]
	v_add_co_u32 v8, vcc_lo, s8, v1
	v_add_co_ci_u32_e64 v9, null, s9, v2, vcc_lo
	v_add_co_u32 v1, vcc_lo, s10, v1
	v_add_co_ci_u32_e64 v2, null, s11, v2, vcc_lo
	global_load_dwordx2 v[8:9], v[8:9], off
	global_load_dwordx2 v[1:2], v[1:2], off
	s_waitcnt vmcnt(0)
	v_add_f64 v[1:2], v[8:9], -v[1:2]
	v_add_f64 v[6:7], v[6:7], v[1:2]
	v_mov_b32_e32 v1, v3
	v_lshlrev_b64 v[1:2], 3, v[0:1]
	v_add_co_u32 v8, vcc_lo, s8, v1
	v_add_co_ci_u32_e64 v9, null, s9, v2, vcc_lo
	v_add_co_u32 v1, vcc_lo, s10, v1
	v_add_co_ci_u32_e64 v2, null, s11, v2, vcc_lo
	global_load_dwordx2 v[8:9], v[8:9], off
	global_load_dwordx2 v[1:2], v[1:2], off
	s_waitcnt vmcnt(0)
	v_add_f64 v[8:9], v[8:9], -v[1:2]
	v_add_nc_u32_e32 v2, s2, v0
	v_lshlrev_b64 v[0:1], 3, v[2:3]
	v_add_nc_u32_e32 v2, s2, v2
	v_add_co_u32 v10, vcc_lo, s8, v0
	v_add_co_ci_u32_e64 v11, null, s9, v1, vcc_lo
	v_add_co_u32 v12, vcc_lo, s10, v0
	v_add_co_ci_u32_e64 v13, null, s11, v1, vcc_lo
	global_load_dwordx2 v[10:11], v[10:11], off
	global_load_dwordx2 v[12:13], v[12:13], off
	s_waitcnt vmcnt(0)
	v_add_f64 v[10:11], v[10:11], -v[12:13]
	v_add_f64 v[8:9], v[10:11], -v[8:9]
	v_lshlrev_b64 v[10:11], 3, v[2:3]
	v_add_nc_u32_e32 v2, s4, v2
	v_add_co_u32 v12, vcc_lo, s8, v10
	v_add_co_ci_u32_e64 v13, null, s9, v11, vcc_lo
	v_add_co_u32 v10, vcc_lo, s10, v10
	v_add_co_ci_u32_e64 v11, null, s11, v11, vcc_lo
	global_load_dwordx2 v[12:13], v[12:13], off
	global_load_dwordx2 v[10:11], v[10:11], off
	s_waitcnt vmcnt(0)
	v_add_f64 v[10:11], v[12:13], -v[10:11]
	v_add_f64 v[8:9], v[8:9], v[10:11]
	v_add_f64 v[8:9], v[8:9], -v[4:5]
	v_add_f64 v[4:5], v[8:9], -v[4:5]
	v_lshlrev_b64 v[8:9], 3, v[2:3]
	v_add_nc_u32_e32 v2, s2, v2
	v_add_co_u32 v10, vcc_lo, s8, v8
	v_add_co_ci_u32_e64 v11, null, s9, v9, vcc_lo
	v_add_co_u32 v8, vcc_lo, s10, v8
	v_add_co_ci_u32_e64 v9, null, s11, v9, vcc_lo
	global_load_dwordx2 v[10:11], v[10:11], off
	global_load_dwordx2 v[8:9], v[8:9], off
	s_waitcnt vmcnt(0)
	v_add_f64 v[8:9], v[10:11], -v[8:9]
	v_add_f64 v[4:5], v[4:5], -v[8:9]
	v_lshlrev_b64 v[8:9], 3, v[2:3]
	v_add_nc_u32_e32 v2, s5, v2
	v_add_co_u32 v10, vcc_lo, s8, v8
	v_add_co_ci_u32_e64 v11, null, s9, v9, vcc_lo
	v_add_co_u32 v8, vcc_lo, s10, v8
	v_add_co_ci_u32_e64 v9, null, s11, v9, vcc_lo
	global_load_dwordx2 v[10:11], v[10:11], off
	global_load_dwordx2 v[8:9], v[8:9], off
	s_waitcnt vmcnt(0)
	v_add_f64 v[8:9], v[10:11], -v[8:9]
	v_add_f64 v[4:5], v[4:5], -v[8:9]
	;; [unrolled: 1-line block ×3, first 2 shown]
	v_lshlrev_b64 v[6:7], 3, v[2:3]
	v_add_nc_u32_e32 v2, s2, v2
	v_add_co_u32 v8, vcc_lo, s8, v6
	v_add_co_ci_u32_e64 v9, null, s9, v7, vcc_lo
	v_add_co_u32 v6, vcc_lo, s10, v6
	v_add_co_ci_u32_e64 v7, null, s11, v7, vcc_lo
	global_load_dwordx2 v[8:9], v[8:9], off
	global_load_dwordx2 v[6:7], v[6:7], off
	s_waitcnt vmcnt(0)
	v_add_f64 v[6:7], v[8:9], -v[6:7]
	v_add_f64 v[4:5], v[4:5], -v[6:7]
	v_lshlrev_b64 v[6:7], 3, v[2:3]
	v_add_nc_u32_e32 v2, s2, v2
	v_add_co_u32 v8, vcc_lo, s8, v6
	v_add_co_ci_u32_e64 v9, null, s9, v7, vcc_lo
	v_add_co_u32 v6, vcc_lo, s10, v6
	v_add_co_ci_u32_e64 v7, null, s11, v7, vcc_lo
	global_load_dwordx2 v[8:9], v[8:9], off
	global_load_dwordx2 v[6:7], v[6:7], off
	s_waitcnt vmcnt(0)
	v_add_f64 v[6:7], v[8:9], -v[6:7]
	v_add_f64 v[4:5], v[4:5], -v[6:7]
	;; [unrolled: 11-line block ×5, first 2 shown]
	v_lshlrev_b64 v[6:7], 3, v[2:3]
	v_add_nc_u32_e32 v2, s3, v2
	v_add_co_u32 v8, vcc_lo, s8, v6
	v_add_co_ci_u32_e64 v9, null, s9, v7, vcc_lo
	v_add_co_u32 v6, vcc_lo, s10, v6
	v_add_co_ci_u32_e64 v7, null, s11, v7, vcc_lo
	global_load_dwordx2 v[8:9], v[8:9], off
	global_load_dwordx2 v[6:7], v[6:7], off
	s_waitcnt vmcnt(0)
	v_add_f64 v[6:7], v[8:9], -v[6:7]
	v_add_f64 v[4:5], v[4:5], v[6:7]
	v_lshlrev_b64 v[6:7], 3, v[2:3]
	v_add_nc_u32_e32 v2, s2, v2
	v_add_co_u32 v8, vcc_lo, s8, v6
	v_add_co_ci_u32_e64 v9, null, s9, v7, vcc_lo
	v_add_co_u32 v6, vcc_lo, s10, v6
	v_add_co_ci_u32_e64 v7, null, s11, v7, vcc_lo
	global_load_dwordx2 v[8:9], v[8:9], off
	global_load_dwordx2 v[6:7], v[6:7], off
	s_waitcnt vmcnt(0)
	v_add_f64 v[6:7], v[8:9], -v[6:7]
	v_add_f64 v[4:5], v[4:5], v[6:7]
	;; [unrolled: 11-line block ×5, first 2 shown]
	v_lshlrev_b64 v[6:7], 3, v[2:3]
	v_add_nc_u32_e32 v2, s2, v2
	v_add_co_u32 v8, vcc_lo, s8, v6
	v_add_co_ci_u32_e64 v9, null, s9, v7, vcc_lo
	v_add_co_u32 v6, vcc_lo, s10, v6
	v_add_co_ci_u32_e64 v7, null, s11, v7, vcc_lo
	global_load_dwordx2 v[8:9], v[8:9], off
	global_load_dwordx2 v[6:7], v[6:7], off
	s_waitcnt vmcnt(0)
	v_add_f64 v[6:7], v[8:9], -v[6:7]
	v_add_f64 v[4:5], v[4:5], -v[6:7]
	v_lshlrev_b64 v[6:7], 3, v[2:3]
	v_add_nc_u32_e32 v2, s7, v2
	v_add_co_u32 v8, vcc_lo, s8, v6
	v_add_co_ci_u32_e64 v9, null, s9, v7, vcc_lo
	v_add_co_u32 v6, vcc_lo, s10, v6
	v_add_co_ci_u32_e64 v7, null, s11, v7, vcc_lo
	global_load_dwordx2 v[8:9], v[8:9], off
	global_load_dwordx2 v[6:7], v[6:7], off
	s_waitcnt vmcnt(0)
	v_add_f64 v[6:7], v[8:9], -v[6:7]
	v_add_f64 v[4:5], v[4:5], -v[6:7]
	v_lshlrev_b64 v[6:7], 3, v[2:3]
	v_add_nc_u32_e32 v2, s7, v2
	v_add_co_u32 v8, vcc_lo, s8, v6
	v_add_co_ci_u32_e64 v9, null, s9, v7, vcc_lo
	v_add_co_u32 v6, vcc_lo, s10, v6
	v_add_co_ci_u32_e64 v7, null, s11, v7, vcc_lo
	global_load_dwordx2 v[8:9], v[8:9], off
	global_load_dwordx2 v[6:7], v[6:7], off
	s_waitcnt vmcnt(0)
	v_add_f64 v[6:7], v[8:9], -v[6:7]
	v_add_f64 v[4:5], v[4:5], v[6:7]
	v_lshlrev_b64 v[6:7], 3, v[2:3]
	v_add_nc_u32_e32 v2, s7, v2
	v_add_co_u32 v8, vcc_lo, s8, v6
	v_add_co_ci_u32_e64 v9, null, s9, v7, vcc_lo
	v_add_co_u32 v6, vcc_lo, s10, v6
	v_add_co_ci_u32_e64 v7, null, s11, v7, vcc_lo
	global_load_dwordx2 v[8:9], v[8:9], off
	global_load_dwordx2 v[6:7], v[6:7], off
	s_waitcnt vmcnt(0)
	v_add_f64 v[6:7], v[8:9], -v[6:7]
	v_add_f64 v[4:5], v[4:5], v[6:7]
	v_lshlrev_b64 v[6:7], 3, v[2:3]
	v_add_nc_u32_e32 v2, s2, v2
	v_add_co_u32 v8, vcc_lo, s8, v6
	v_add_co_ci_u32_e64 v9, null, s9, v7, vcc_lo
	v_add_co_u32 v6, vcc_lo, s10, v6
	v_add_co_ci_u32_e64 v7, null, s11, v7, vcc_lo
	global_load_dwordx2 v[8:9], v[8:9], off
	global_load_dwordx2 v[6:7], v[6:7], off
	s_waitcnt vmcnt(0)
	v_add_f64 v[6:7], v[8:9], -v[6:7]
	v_add_f64 v[4:5], v[4:5], -v[6:7]
	v_lshlrev_b64 v[6:7], 3, v[2:3]
	v_add_nc_u32_e32 v2, s2, v2
	v_add_co_u32 v8, vcc_lo, s8, v6
	v_add_co_ci_u32_e64 v9, null, s9, v7, vcc_lo
	v_add_co_u32 v6, vcc_lo, s10, v6
	v_add_co_ci_u32_e64 v7, null, s11, v7, vcc_lo
	global_load_dwordx2 v[8:9], v[8:9], off
	global_load_dwordx2 v[6:7], v[6:7], off
	s_waitcnt vmcnt(0)
	v_add_f64 v[6:7], v[8:9], -v[6:7]
	v_add_f64 v[4:5], v[4:5], v[6:7]
	v_lshlrev_b64 v[6:7], 3, v[2:3]
	v_add_nc_u32_e32 v2, s7, v2
	v_add_co_u32 v8, vcc_lo, s8, v6
	v_add_co_ci_u32_e64 v9, null, s9, v7, vcc_lo
	v_add_co_u32 v6, vcc_lo, s10, v6
	v_add_co_ci_u32_e64 v7, null, s11, v7, vcc_lo
	global_load_dwordx2 v[8:9], v[8:9], off
	global_load_dwordx2 v[6:7], v[6:7], off
	s_waitcnt vmcnt(0)
	v_add_f64 v[6:7], v[8:9], -v[6:7]
	v_add_f64 v[4:5], v[4:5], v[6:7]
	;; [unrolled: 11-line block ×3, first 2 shown]
	v_add_f64 v[4:5], v[6:7], v[4:5]
	v_lshlrev_b64 v[6:7], 3, v[2:3]
	v_add_nc_u32_e32 v2, s3, v2
	v_add_co_u32 v8, vcc_lo, s8, v6
	v_add_co_ci_u32_e64 v9, null, s9, v7, vcc_lo
	v_add_co_u32 v6, vcc_lo, s10, v6
	v_add_co_ci_u32_e64 v7, null, s11, v7, vcc_lo
	global_load_dwordx2 v[8:9], v[8:9], off
	global_load_dwordx2 v[6:7], v[6:7], off
	s_waitcnt vmcnt(0)
	v_add_f64 v[6:7], v[8:9], -v[6:7]
	v_add_f64 v[4:5], v[4:5], v[6:7]
	v_lshlrev_b64 v[6:7], 3, v[2:3]
	v_add_nc_u32_e32 v2, s16, v2
	v_add_co_u32 v8, vcc_lo, s8, v6
	v_add_co_ci_u32_e64 v9, null, s9, v7, vcc_lo
	v_add_co_u32 v6, vcc_lo, s10, v6
	v_add_co_ci_u32_e64 v7, null, s11, v7, vcc_lo
	global_load_dwordx2 v[8:9], v[8:9], off
	global_load_dwordx2 v[6:7], v[6:7], off
	s_waitcnt vmcnt(0)
	v_add_f64 v[6:7], v[8:9], -v[6:7]
	;; [unrolled: 11-line block ×3, first 2 shown]
	v_add_f64 v[4:5], v[4:5], -v[6:7]
	v_lshlrev_b64 v[6:7], 3, v[2:3]
	v_add_nc_u32_e32 v2, s2, v2
	v_add_co_u32 v8, vcc_lo, s8, v6
	v_add_co_ci_u32_e64 v9, null, s9, v7, vcc_lo
	v_add_co_u32 v6, vcc_lo, s10, v6
	v_add_co_ci_u32_e64 v7, null, s11, v7, vcc_lo
	global_load_dwordx2 v[8:9], v[8:9], off
	global_load_dwordx2 v[6:7], v[6:7], off
	s_waitcnt vmcnt(0)
	v_add_f64 v[6:7], v[8:9], -v[6:7]
	v_add_f64 v[4:5], v[4:5], v[6:7]
	v_lshlrev_b64 v[6:7], 3, v[2:3]
	v_add_nc_u32_e32 v2, s2, v2
	v_add_co_u32 v8, vcc_lo, s8, v6
	v_add_co_ci_u32_e64 v9, null, s9, v7, vcc_lo
	v_add_co_u32 v6, vcc_lo, s10, v6
	v_add_co_ci_u32_e64 v7, null, s11, v7, vcc_lo
	global_load_dwordx2 v[8:9], v[8:9], off
	global_load_dwordx2 v[6:7], v[6:7], off
	s_waitcnt vmcnt(0)
	v_add_f64 v[6:7], v[8:9], -v[6:7]
	v_add_f64 v[4:5], v[4:5], v[6:7]
	;; [unrolled: 11-line block ×4, first 2 shown]
	v_lshlrev_b64 v[6:7], 3, v[2:3]
	v_add_nc_u32_e32 v2, s2, v2
	v_add_co_u32 v8, vcc_lo, s8, v6
	v_add_co_ci_u32_e64 v9, null, s9, v7, vcc_lo
	v_add_co_u32 v6, vcc_lo, s10, v6
	v_add_co_ci_u32_e64 v7, null, s11, v7, vcc_lo
	global_load_dwordx2 v[8:9], v[8:9], off
	global_load_dwordx2 v[6:7], v[6:7], off
	s_waitcnt vmcnt(0)
	v_add_f64 v[6:7], v[8:9], -v[6:7]
	v_add_f64 v[4:5], v[4:5], -v[6:7]
	v_lshlrev_b64 v[6:7], 3, v[2:3]
	v_add_nc_u32_e32 v2, s6, v2
	v_add_co_u32 v8, vcc_lo, s8, v6
	v_add_co_ci_u32_e64 v9, null, s9, v7, vcc_lo
	v_add_co_u32 v6, vcc_lo, s10, v6
	v_add_co_ci_u32_e64 v7, null, s11, v7, vcc_lo
	global_load_dwordx2 v[8:9], v[8:9], off
	global_load_dwordx2 v[6:7], v[6:7], off
	s_waitcnt vmcnt(0)
	v_add_f64 v[6:7], v[8:9], -v[6:7]
	v_add_f64 v[4:5], v[4:5], -v[6:7]
	v_lshlrev_b64 v[6:7], 3, v[2:3]
	v_add_nc_u32_e32 v2, s2, v2
	v_add_co_u32 v8, vcc_lo, s8, v6
	v_add_co_ci_u32_e64 v9, null, s9, v7, vcc_lo
	v_add_co_u32 v6, vcc_lo, s10, v6
	v_add_co_ci_u32_e64 v7, null, s11, v7, vcc_lo
	global_load_dwordx2 v[8:9], v[8:9], off
	global_load_dwordx2 v[6:7], v[6:7], off
	s_waitcnt vmcnt(0)
	v_add_f64 v[6:7], v[8:9], -v[6:7]
	v_add_f64 v[4:5], v[4:5], v[6:7]
	v_lshlrev_b64 v[6:7], 3, v[2:3]
	v_add_nc_u32_e32 v2, s2, v2
	v_add_co_u32 v8, vcc_lo, s8, v6
	v_add_co_ci_u32_e64 v9, null, s9, v7, vcc_lo
	v_add_co_u32 v6, vcc_lo, s10, v6
	v_add_co_ci_u32_e64 v7, null, s11, v7, vcc_lo
	global_load_dwordx2 v[8:9], v[8:9], off
	global_load_dwordx2 v[6:7], v[6:7], off
	s_waitcnt vmcnt(0)
	v_add_f64 v[6:7], v[8:9], -v[6:7]
	v_add_f64 v[4:5], v[4:5], -v[6:7]
	v_lshlrev_b64 v[6:7], 3, v[2:3]
	v_add_nc_u32_e32 v2, s17, v2
	v_add_co_u32 v8, vcc_lo, s8, v6
	v_add_co_ci_u32_e64 v9, null, s9, v7, vcc_lo
	v_add_co_u32 v6, vcc_lo, s10, v6
	v_add_co_ci_u32_e64 v7, null, s11, v7, vcc_lo
	global_load_dwordx2 v[8:9], v[8:9], off
	global_load_dwordx2 v[6:7], v[6:7], off
	s_waitcnt vmcnt(0)
	v_add_f64 v[6:7], v[8:9], -v[6:7]
	v_add_f64 v[4:5], v[4:5], v[6:7]
	v_lshlrev_b64 v[6:7], 3, v[2:3]
	v_add_nc_u32_e32 v2, s3, v2
	v_add_co_u32 v8, vcc_lo, s8, v6
	v_add_co_ci_u32_e64 v9, null, s9, v7, vcc_lo
	v_add_co_u32 v6, vcc_lo, s10, v6
	v_add_co_ci_u32_e64 v7, null, s11, v7, vcc_lo
	global_load_dwordx2 v[8:9], v[8:9], off
	global_load_dwordx2 v[6:7], v[6:7], off
	s_waitcnt vmcnt(0)
	v_add_f64 v[6:7], v[8:9], -v[6:7]
	v_add_f64 v[4:5], v[4:5], v[6:7]
	;; [unrolled: 11-line block ×5, first 2 shown]
	v_lshlrev_b64 v[6:7], 3, v[2:3]
	v_add_nc_u32_e32 v2, s2, v2
	v_add_co_u32 v8, vcc_lo, s8, v6
	v_add_co_ci_u32_e64 v9, null, s9, v7, vcc_lo
	v_add_co_u32 v6, vcc_lo, s10, v6
	v_add_co_ci_u32_e64 v7, null, s11, v7, vcc_lo
	global_load_dwordx2 v[8:9], v[8:9], off
	global_load_dwordx2 v[6:7], v[6:7], off
	s_waitcnt vmcnt(0)
	v_add_f64 v[6:7], v[8:9], -v[6:7]
	v_add_f64 v[4:5], v[4:5], -v[6:7]
	v_lshlrev_b64 v[6:7], 3, v[2:3]
	v_add_nc_u32_e32 v2, s2, v2
	v_add_co_u32 v8, vcc_lo, s8, v6
	v_add_co_ci_u32_e64 v9, null, s9, v7, vcc_lo
	v_add_co_u32 v6, vcc_lo, s10, v6
	v_add_co_ci_u32_e64 v7, null, s11, v7, vcc_lo
	global_load_dwordx2 v[8:9], v[8:9], off
	global_load_dwordx2 v[6:7], v[6:7], off
	s_waitcnt vmcnt(0)
	v_add_f64 v[6:7], v[8:9], -v[6:7]
	v_add_f64 v[4:5], v[4:5], -v[6:7]
	;; [unrolled: 11-line block ×4, first 2 shown]
	v_lshlrev_b64 v[6:7], 3, v[2:3]
	v_add_nc_u32_e32 v2, s16, v2
	v_add_co_u32 v8, vcc_lo, s8, v6
	v_add_co_ci_u32_e64 v9, null, s9, v7, vcc_lo
	v_add_co_u32 v6, vcc_lo, s10, v6
	v_add_co_ci_u32_e64 v7, null, s11, v7, vcc_lo
	global_load_dwordx2 v[8:9], v[8:9], off
	global_load_dwordx2 v[6:7], v[6:7], off
	s_waitcnt vmcnt(0)
	v_add_f64 v[6:7], v[8:9], -v[6:7]
	v_add_f64 v[4:5], v[4:5], v[6:7]
	v_lshlrev_b64 v[6:7], 3, v[2:3]
	v_add_nc_u32_e32 v2, s2, v2
	v_add_co_u32 v8, vcc_lo, s8, v6
	v_add_co_ci_u32_e64 v9, null, s9, v7, vcc_lo
	v_add_co_u32 v6, vcc_lo, s10, v6
	v_add_co_ci_u32_e64 v7, null, s11, v7, vcc_lo
	global_load_dwordx2 v[8:9], v[8:9], off
	global_load_dwordx2 v[6:7], v[6:7], off
	s_waitcnt vmcnt(0)
	v_add_f64 v[6:7], v[8:9], -v[6:7]
	v_add_f64 v[4:5], v[4:5], -v[6:7]
	v_lshlrev_b64 v[6:7], 3, v[2:3]
	v_add_nc_u32_e32 v2, s4, v2
	v_add_co_u32 v8, vcc_lo, s8, v6
	v_add_co_ci_u32_e64 v9, null, s9, v7, vcc_lo
	v_add_co_u32 v6, vcc_lo, s10, v6
	v_add_co_ci_u32_e64 v7, null, s11, v7, vcc_lo
	global_load_dwordx2 v[8:9], v[8:9], off
	global_load_dwordx2 v[6:7], v[6:7], off
	s_waitcnt vmcnt(0)
	v_add_f64 v[6:7], v[8:9], -v[6:7]
	v_add_f64 v[4:5], v[4:5], v[6:7]
	v_lshlrev_b64 v[6:7], 3, v[2:3]
	v_add_nc_u32_e32 v2, s2, v2
	v_add_co_u32 v8, vcc_lo, s8, v6
	v_add_co_ci_u32_e64 v9, null, s9, v7, vcc_lo
	v_add_co_u32 v6, vcc_lo, s10, v6
	v_add_co_ci_u32_e64 v7, null, s11, v7, vcc_lo
	global_load_dwordx2 v[8:9], v[8:9], off
	global_load_dwordx2 v[6:7], v[6:7], off
	s_waitcnt vmcnt(0)
	v_add_f64 v[6:7], v[8:9], -v[6:7]
	v_add_f64 v[4:5], v[4:5], v[6:7]
	;; [unrolled: 11-line block ×5, first 2 shown]
	v_lshlrev_b64 v[6:7], 3, v[2:3]
	v_add_nc_u32_e32 v2, s2, v2
	v_add_co_u32 v8, vcc_lo, s8, v6
	v_add_co_ci_u32_e64 v9, null, s9, v7, vcc_lo
	v_add_co_u32 v6, vcc_lo, s10, v6
	v_add_co_ci_u32_e64 v7, null, s11, v7, vcc_lo
	global_load_dwordx2 v[8:9], v[8:9], off
	global_load_dwordx2 v[6:7], v[6:7], off
	s_waitcnt vmcnt(0)
	v_add_f64 v[6:7], v[8:9], -v[6:7]
	v_add_f64 v[4:5], v[4:5], -v[6:7]
	v_lshlrev_b64 v[6:7], 3, v[2:3]
	v_add_nc_u32_e32 v2, s2, v2
	v_add_co_u32 v8, vcc_lo, s8, v6
	v_add_co_ci_u32_e64 v9, null, s9, v7, vcc_lo
	v_add_co_u32 v6, vcc_lo, s10, v6
	v_add_co_ci_u32_e64 v7, null, s11, v7, vcc_lo
	global_load_dwordx2 v[8:9], v[8:9], off
	global_load_dwordx2 v[6:7], v[6:7], off
	s_waitcnt vmcnt(0)
	v_add_f64 v[6:7], v[8:9], -v[6:7]
	v_add_f64 v[4:5], v[4:5], -v[6:7]
	;; [unrolled: 11-line block ×6, first 2 shown]
	v_lshlrev_b64 v[6:7], 3, v[2:3]
	v_add_co_u32 v8, vcc_lo, s8, v6
	v_add_co_ci_u32_e64 v9, null, s9, v7, vcc_lo
	v_add_co_u32 v6, vcc_lo, s10, v6
	v_add_co_ci_u32_e64 v7, null, s11, v7, vcc_lo
	global_load_dwordx2 v[8:9], v[8:9], off
	global_load_dwordx2 v[6:7], v[6:7], off
	s_waitcnt vmcnt(0)
	v_add_f64 v[6:7], v[8:9], -v[6:7]
	v_add_f64 v[4:5], v[4:5], v[6:7]
	v_mad_u64_u32 v[6:7], null, s2, 11, v[2:3]
	v_mov_b32_e32 v7, v3
	v_lshlrev_b64 v[7:8], 3, v[6:7]
	v_add_nc_u32_e32 v2, s7, v6
	v_add_co_u32 v9, vcc_lo, s8, v7
	v_add_co_ci_u32_e64 v10, null, s9, v8, vcc_lo
	v_add_co_u32 v7, vcc_lo, s10, v7
	v_add_co_ci_u32_e64 v8, null, s11, v8, vcc_lo
	global_load_dwordx2 v[9:10], v[9:10], off
	global_load_dwordx2 v[7:8], v[7:8], off
	s_waitcnt vmcnt(0)
	v_add_f64 v[7:8], v[9:10], -v[7:8]
	v_add_f64 v[4:5], v[4:5], v[7:8]
	v_lshlrev_b64 v[6:7], 3, v[2:3]
	v_add_nc_u32_e32 v2, s2, v2
	v_add_co_u32 v8, vcc_lo, s8, v6
	v_add_co_ci_u32_e64 v9, null, s9, v7, vcc_lo
	v_add_co_u32 v6, vcc_lo, s10, v6
	v_add_co_ci_u32_e64 v7, null, s11, v7, vcc_lo
	global_load_dwordx2 v[8:9], v[8:9], off
	global_load_dwordx2 v[6:7], v[6:7], off
	s_waitcnt vmcnt(0)
	v_add_f64 v[6:7], v[8:9], -v[6:7]
	v_add_f64 v[4:5], v[4:5], -v[6:7]
	v_lshlrev_b64 v[6:7], 3, v[2:3]
	v_add_nc_u32_e32 v2, s2, v2
	v_add_co_u32 v8, vcc_lo, s8, v6
	v_add_co_ci_u32_e64 v9, null, s9, v7, vcc_lo
	v_add_co_u32 v6, vcc_lo, s10, v6
	v_add_co_ci_u32_e64 v7, null, s11, v7, vcc_lo
	global_load_dwordx2 v[8:9], v[8:9], off
	global_load_dwordx2 v[6:7], v[6:7], off
	s_waitcnt vmcnt(0)
	v_add_f64 v[6:7], v[8:9], -v[6:7]
	v_add_f64 v[4:5], v[4:5], -v[6:7]
	;; [unrolled: 11-line block ×5, first 2 shown]
	v_lshlrev_b64 v[6:7], 3, v[2:3]
	v_add_nc_u32_e32 v2, s7, v2
	v_add_co_u32 v8, vcc_lo, s8, v6
	v_add_co_ci_u32_e64 v9, null, s9, v7, vcc_lo
	v_add_co_u32 v6, vcc_lo, s10, v6
	v_add_co_ci_u32_e64 v7, null, s11, v7, vcc_lo
	global_load_dwordx2 v[8:9], v[8:9], off
	global_load_dwordx2 v[6:7], v[6:7], off
	s_waitcnt vmcnt(0)
	v_add_f64 v[6:7], v[8:9], -v[6:7]
	v_add_f64 v[4:5], v[4:5], v[6:7]
	v_lshlrev_b64 v[6:7], 3, v[2:3]
	v_add_nc_u32_e32 v2, s16, v2
	v_add_co_u32 v8, vcc_lo, s8, v6
	v_add_co_ci_u32_e64 v9, null, s9, v7, vcc_lo
	v_add_co_u32 v6, vcc_lo, s10, v6
	v_add_co_ci_u32_e64 v7, null, s11, v7, vcc_lo
	global_load_dwordx2 v[8:9], v[8:9], off
	global_load_dwordx2 v[6:7], v[6:7], off
	s_waitcnt vmcnt(0)
	v_add_f64 v[6:7], v[8:9], -v[6:7]
	v_add_f64 v[4:5], v[4:5], v[6:7]
	v_lshlrev_b64 v[6:7], 3, v[2:3]
	v_add_nc_u32_e32 v2, s2, v2
	v_add_co_u32 v8, vcc_lo, s8, v6
	v_add_co_ci_u32_e64 v9, null, s9, v7, vcc_lo
	v_add_co_u32 v6, vcc_lo, s10, v6
	v_add_co_ci_u32_e64 v7, null, s11, v7, vcc_lo
	global_load_dwordx2 v[8:9], v[8:9], off
	global_load_dwordx2 v[6:7], v[6:7], off
	s_waitcnt vmcnt(0)
	v_add_f64 v[6:7], v[8:9], -v[6:7]
	v_add_f64 v[4:5], v[4:5], -v[6:7]
	v_lshlrev_b64 v[6:7], 3, v[2:3]
	v_add_nc_u32_e32 v2, s7, v2
	v_add_co_u32 v8, vcc_lo, s8, v6
	v_add_co_ci_u32_e64 v9, null, s9, v7, vcc_lo
	v_add_co_u32 v6, vcc_lo, s10, v6
	v_add_co_ci_u32_e64 v7, null, s11, v7, vcc_lo
	global_load_dwordx2 v[8:9], v[8:9], off
	global_load_dwordx2 v[6:7], v[6:7], off
	s_waitcnt vmcnt(0)
	v_add_f64 v[6:7], v[8:9], -v[6:7]
	v_add_f64 v[4:5], v[4:5], -v[6:7]
	v_lshlrev_b64 v[6:7], 3, v[2:3]
	v_add_nc_u32_e32 v2, s5, v2
	v_add_co_u32 v8, vcc_lo, s8, v6
	v_add_co_ci_u32_e64 v9, null, s9, v7, vcc_lo
	v_add_co_u32 v6, vcc_lo, s10, v6
	v_add_co_ci_u32_e64 v7, null, s11, v7, vcc_lo
	global_load_dwordx2 v[8:9], v[8:9], off
	global_load_dwordx2 v[6:7], v[6:7], off
	s_waitcnt vmcnt(0)
	v_add_f64 v[6:7], v[8:9], -v[6:7]
	v_add_f64 v[4:5], v[4:5], v[6:7]
	v_lshlrev_b64 v[6:7], 3, v[2:3]
	v_add_nc_u32_e32 v2, s6, v2
	v_add_co_u32 v8, vcc_lo, s8, v6
	v_add_co_ci_u32_e64 v9, null, s9, v7, vcc_lo
	v_add_co_u32 v6, vcc_lo, s10, v6
	v_add_co_ci_u32_e64 v7, null, s11, v7, vcc_lo
	global_load_dwordx2 v[8:9], v[8:9], off
	global_load_dwordx2 v[6:7], v[6:7], off
	s_waitcnt vmcnt(0)
	v_add_f64 v[6:7], v[8:9], -v[6:7]
	v_add_f64 v[4:5], v[4:5], -v[6:7]
	v_lshlrev_b64 v[6:7], 3, v[2:3]
	v_add_nc_u32_e32 v2, s2, v2
	v_add_co_u32 v8, vcc_lo, s8, v6
	v_add_co_ci_u32_e64 v9, null, s9, v7, vcc_lo
	v_add_co_u32 v6, vcc_lo, s10, v6
	v_add_co_ci_u32_e64 v7, null, s11, v7, vcc_lo
	global_load_dwordx2 v[8:9], v[8:9], off
	global_load_dwordx2 v[6:7], v[6:7], off
	s_waitcnt vmcnt(0)
	v_add_f64 v[6:7], v[8:9], -v[6:7]
	v_add_f64 v[4:5], v[4:5], -v[6:7]
	;; [unrolled: 11-line block ×6, first 2 shown]
	v_lshlrev_b64 v[6:7], 3, v[2:3]
	v_add_nc_u32_e32 v2, s4, v2
	v_add_co_u32 v8, vcc_lo, s8, v6
	v_add_co_ci_u32_e64 v9, null, s9, v7, vcc_lo
	v_add_co_u32 v6, vcc_lo, s10, v6
	v_add_co_ci_u32_e64 v7, null, s11, v7, vcc_lo
	global_load_dwordx2 v[8:9], v[8:9], off
	global_load_dwordx2 v[6:7], v[6:7], off
	s_waitcnt vmcnt(0)
	v_add_f64 v[6:7], v[8:9], -v[6:7]
	v_add_f64 v[4:5], v[4:5], v[6:7]
	v_lshlrev_b64 v[6:7], 3, v[2:3]
	v_add_nc_u32_e32 v2, s2, v2
	v_add_co_u32 v8, vcc_lo, s8, v6
	v_add_co_ci_u32_e64 v9, null, s9, v7, vcc_lo
	v_add_co_u32 v6, vcc_lo, s10, v6
	v_add_co_ci_u32_e64 v7, null, s11, v7, vcc_lo
	global_load_dwordx2 v[8:9], v[8:9], off
	global_load_dwordx2 v[6:7], v[6:7], off
	s_waitcnt vmcnt(0)
	v_add_f64 v[6:7], v[8:9], -v[6:7]
	v_add_f64 v[4:5], v[4:5], -v[6:7]
	v_lshlrev_b64 v[6:7], 3, v[2:3]
	v_add_co_u32 v2, vcc_lo, s8, v6
	v_add_co_ci_u32_e64 v3, null, s9, v7, vcc_lo
	v_add_co_u32 v6, vcc_lo, s10, v6
	v_add_co_ci_u32_e64 v7, null, s11, v7, vcc_lo
	global_load_dwordx2 v[2:3], v[2:3], off
	v_add_co_u32 v0, vcc_lo, s12, v0
	global_load_dwordx2 v[6:7], v[6:7], off
	v_add_co_ci_u32_e64 v1, null, s13, v1, vcc_lo
	s_waitcnt vmcnt(0)
	v_add_f64 v[2:3], v[2:3], -v[6:7]
	v_add_f64 v[2:3], v[4:5], -v[2:3]
	v_mul_f64 v[2:3], s[14:15], v[2:3]
	s_waitcnt lgkmcnt(0)
	v_mul_f64 v[2:3], s[0:1], v[2:3]
	global_store_dwordx2 v[0:1], v[2:3], off
	s_endpgm
	.section	.rodata,"a",@progbits
	.p2align	6, 0x0
	.amdhsa_kernel _Z13rdwdot_kernelIdEvPKT_S2_PS0_S0_S2_
		.amdhsa_group_segment_fixed_size 0
		.amdhsa_private_segment_fixed_size 0
		.amdhsa_kernarg_size 296
		.amdhsa_user_sgpr_count 6
		.amdhsa_user_sgpr_private_segment_buffer 1
		.amdhsa_user_sgpr_dispatch_ptr 0
		.amdhsa_user_sgpr_queue_ptr 0
		.amdhsa_user_sgpr_kernarg_segment_ptr 1
		.amdhsa_user_sgpr_dispatch_id 0
		.amdhsa_user_sgpr_flat_scratch_init 0
		.amdhsa_user_sgpr_private_segment_size 0
		.amdhsa_wavefront_size32 1
		.amdhsa_uses_dynamic_stack 0
		.amdhsa_system_sgpr_private_segment_wavefront_offset 0
		.amdhsa_system_sgpr_workgroup_id_x 1
		.amdhsa_system_sgpr_workgroup_id_y 0
		.amdhsa_system_sgpr_workgroup_id_z 0
		.amdhsa_system_sgpr_workgroup_info 0
		.amdhsa_system_vgpr_workitem_id 0
		.amdhsa_next_free_vgpr 14
		.amdhsa_next_free_sgpr 18
		.amdhsa_reserve_vcc 1
		.amdhsa_reserve_flat_scratch 0
		.amdhsa_float_round_mode_32 0
		.amdhsa_float_round_mode_16_64 0
		.amdhsa_float_denorm_mode_32 3
		.amdhsa_float_denorm_mode_16_64 3
		.amdhsa_dx10_clamp 1
		.amdhsa_ieee_mode 1
		.amdhsa_fp16_overflow 0
		.amdhsa_workgroup_processor_mode 1
		.amdhsa_memory_ordered 1
		.amdhsa_forward_progress 1
		.amdhsa_shared_vgpr_count 0
		.amdhsa_exception_fp_ieee_invalid_op 0
		.amdhsa_exception_fp_denorm_src 0
		.amdhsa_exception_fp_ieee_div_zero 0
		.amdhsa_exception_fp_ieee_overflow 0
		.amdhsa_exception_fp_ieee_underflow 0
		.amdhsa_exception_fp_ieee_inexact 0
		.amdhsa_exception_int_div_zero 0
	.end_amdhsa_kernel
	.section	.text._Z13rdwdot_kernelIdEvPKT_S2_PS0_S0_S2_,"axG",@progbits,_Z13rdwdot_kernelIdEvPKT_S2_PS0_S0_S2_,comdat
.Lfunc_end46:
	.size	_Z13rdwdot_kernelIdEvPKT_S2_PS0_S0_S2_, .Lfunc_end46-_Z13rdwdot_kernelIdEvPKT_S2_PS0_S0_S2_
                                        ; -- End function
	.set _Z13rdwdot_kernelIdEvPKT_S2_PS0_S0_S2_.num_vgpr, 14
	.set _Z13rdwdot_kernelIdEvPKT_S2_PS0_S0_S2_.num_agpr, 0
	.set _Z13rdwdot_kernelIdEvPKT_S2_PS0_S0_S2_.numbered_sgpr, 18
	.set _Z13rdwdot_kernelIdEvPKT_S2_PS0_S0_S2_.num_named_barrier, 0
	.set _Z13rdwdot_kernelIdEvPKT_S2_PS0_S0_S2_.private_seg_size, 0
	.set _Z13rdwdot_kernelIdEvPKT_S2_PS0_S0_S2_.uses_vcc, 1
	.set _Z13rdwdot_kernelIdEvPKT_S2_PS0_S0_S2_.uses_flat_scratch, 0
	.set _Z13rdwdot_kernelIdEvPKT_S2_PS0_S0_S2_.has_dyn_sized_stack, 0
	.set _Z13rdwdot_kernelIdEvPKT_S2_PS0_S0_S2_.has_recursion, 0
	.set _Z13rdwdot_kernelIdEvPKT_S2_PS0_S0_S2_.has_indirect_call, 0
	.section	.AMDGPU.csdata,"",@progbits
; Kernel info:
; codeLenInByte = 6964
; TotalNumSgprs: 20
; NumVgprs: 14
; ScratchSize: 0
; MemoryBound: 0
; FloatMode: 240
; IeeeMode: 1
; LDSByteSize: 0 bytes/workgroup (compile time only)
; SGPRBlocks: 0
; VGPRBlocks: 1
; NumSGPRsForWavesPerEU: 20
; NumVGPRsForWavesPerEU: 14
; Occupancy: 16
; WaveLimiterHint : 0
; COMPUTE_PGM_RSRC2:SCRATCH_EN: 0
; COMPUTE_PGM_RSRC2:USER_SGPR: 6
; COMPUTE_PGM_RSRC2:TRAP_HANDLER: 0
; COMPUTE_PGM_RSRC2:TGID_X_EN: 1
; COMPUTE_PGM_RSRC2:TGID_Y_EN: 0
; COMPUTE_PGM_RSRC2:TGID_Z_EN: 0
; COMPUTE_PGM_RSRC2:TIDIG_COMP_CNT: 0
	.section	.text._Z14rdwdot2_kernelIdEvPKT_S2_PS0_S0_S2_,"axG",@progbits,_Z14rdwdot2_kernelIdEvPKT_S2_PS0_S0_S2_,comdat
	.protected	_Z14rdwdot2_kernelIdEvPKT_S2_PS0_S0_S2_ ; -- Begin function _Z14rdwdot2_kernelIdEvPKT_S2_PS0_S0_S2_
	.globl	_Z14rdwdot2_kernelIdEvPKT_S2_PS0_S0_S2_
	.p2align	8
	.type	_Z14rdwdot2_kernelIdEvPKT_S2_PS0_S0_S2_,@function
_Z14rdwdot2_kernelIdEvPKT_S2_PS0_S0_S2_: ; @_Z14rdwdot2_kernelIdEvPKT_S2_PS0_S0_S2_
; %bb.0:
	s_clause 0x3
	s_load_dwordx8 s[8:15], s[4:5], 0x0
	s_load_dwordx2 s[0:1], s[4:5], 0x20
	s_load_dword s2, s[4:5], 0x28
	s_load_dword s3, s[4:5], 0x34
	v_mov_b32_e32 v1, 0
	s_waitcnt lgkmcnt(0)
	s_and_b32 s3, s3, 0xffff
	s_mul_i32 s4, s2, s3
	s_mul_i32 s6, s6, s3
	;; [unrolled: 1-line block ×3, first 2 shown]
	s_lshl_b32 s5, s4, 1
	v_add3_u32 v0, s2, s6, v0
	s_mul_i32 s2, s4, 3
	v_lshlrev_b64 v[2:3], 3, v[0:1]
	v_add_co_u32 v4, vcc_lo, s8, v2
	v_add_co_ci_u32_e64 v5, null, s9, v3, vcc_lo
	v_add_co_u32 v2, vcc_lo, s10, v2
	v_add_co_ci_u32_e64 v3, null, s11, v3, vcc_lo
	global_load_dwordx2 v[4:5], v[4:5], off
	global_load_dwordx2 v[2:3], v[2:3], off
	s_waitcnt vmcnt(0)
	v_add_f64 v[2:3], v[4:5], -v[2:3]
	v_mad_u64_u32 v[4:5], null, s4, 25, v[0:1]
	v_mov_b32_e32 v5, v1
	v_lshlrev_b64 v[5:6], 3, v[4:5]
	v_add_co_u32 v7, vcc_lo, s8, v5
	v_add_co_ci_u32_e64 v8, null, s9, v6, vcc_lo
	v_add_co_u32 v5, vcc_lo, s10, v5
	v_add_co_ci_u32_e64 v6, null, s11, v6, vcc_lo
	global_load_dwordx2 v[7:8], v[7:8], off
	global_load_dwordx2 v[5:6], v[5:6], off
	s_waitcnt vmcnt(0)
	v_add_f64 v[5:6], v[7:8], -v[5:6]
	v_add_f64 v[2:3], v[2:3], v[5:6]
	v_mad_u64_u32 v[4:5], null, s4, 19, v[4:5]
	v_mov_b32_e32 v5, v1
	v_lshlrev_b64 v[5:6], 3, v[4:5]
	v_add_nc_u32_e32 v0, s5, v4
	v_add_co_u32 v7, vcc_lo, s8, v5
	v_add_co_ci_u32_e64 v8, null, s9, v6, vcc_lo
	v_add_co_u32 v5, vcc_lo, s10, v5
	v_add_co_ci_u32_e64 v6, null, s11, v6, vcc_lo
	global_load_dwordx2 v[7:8], v[7:8], off
	global_load_dwordx2 v[5:6], v[5:6], off
	s_waitcnt vmcnt(0)
	v_add_f64 v[5:6], v[7:8], -v[5:6]
	v_add_f64 v[2:3], v[2:3], v[5:6]
	v_lshlrev_b64 v[4:5], 3, v[0:1]
	v_add_co_u32 v6, vcc_lo, s8, v4
	v_add_co_ci_u32_e64 v7, null, s9, v5, vcc_lo
	v_add_co_u32 v4, vcc_lo, s10, v4
	v_add_co_ci_u32_e64 v5, null, s11, v5, vcc_lo
	global_load_dwordx2 v[6:7], v[6:7], off
	global_load_dwordx2 v[4:5], v[4:5], off
	s_waitcnt vmcnt(0)
	v_add_f64 v[4:5], v[6:7], -v[4:5]
	v_mad_u64_u32 v[6:7], null, s4, 18, v[0:1]
	v_mov_b32_e32 v7, v1
	v_add_nc_u32_e32 v0, s4, v6
	v_add_f64 v[4:5], v[2:3], v[4:5]
	v_lshlrev_b64 v[2:3], 3, v[6:7]
	v_add_co_u32 v7, vcc_lo, s8, v2
	v_add_co_ci_u32_e64 v8, null, s9, v3, vcc_lo
	v_add_co_u32 v2, vcc_lo, s10, v2
	v_add_co_ci_u32_e64 v3, null, s11, v3, vcc_lo
	global_load_dwordx2 v[7:8], v[7:8], off
	global_load_dwordx2 v[2:3], v[2:3], off
	s_waitcnt vmcnt(0)
	v_add_f64 v[2:3], v[7:8], -v[2:3]
	v_lshlrev_b64 v[6:7], 3, v[0:1]
	v_add_nc_u32_e32 v0, s4, v0
	v_add_co_u32 v8, vcc_lo, s8, v6
	v_add_co_ci_u32_e64 v9, null, s9, v7, vcc_lo
	v_add_co_u32 v6, vcc_lo, s10, v6
	v_add_co_ci_u32_e64 v7, null, s11, v7, vcc_lo
	global_load_dwordx2 v[8:9], v[8:9], off
	global_load_dwordx2 v[6:7], v[6:7], off
	v_add_f64 v[4:5], v[4:5], -v[2:3]
	s_waitcnt vmcnt(0)
	v_add_f64 v[6:7], v[8:9], -v[6:7]
	v_add_f64 v[6:7], v[4:5], -v[6:7]
	v_lshlrev_b64 v[4:5], 3, v[0:1]
	v_add_nc_u32_e32 v0, s4, v0
	v_add_co_u32 v8, vcc_lo, s8, v4
	v_add_co_ci_u32_e64 v9, null, s9, v5, vcc_lo
	v_add_co_u32 v4, vcc_lo, s10, v4
	v_add_co_ci_u32_e64 v5, null, s11, v5, vcc_lo
	global_load_dwordx2 v[8:9], v[8:9], off
	global_load_dwordx2 v[4:5], v[4:5], off
	s_waitcnt vmcnt(0)
	v_add_f64 v[4:5], v[8:9], -v[4:5]
	v_lshlrev_b64 v[8:9], 3, v[0:1]
	v_add_nc_u32_e32 v0, s4, v0
	v_add_co_u32 v10, vcc_lo, s8, v8
	v_add_co_ci_u32_e64 v11, null, s9, v9, vcc_lo
	v_add_co_u32 v8, vcc_lo, s10, v8
	v_add_co_ci_u32_e64 v9, null, s11, v9, vcc_lo
	global_load_dwordx2 v[10:11], v[10:11], off
	global_load_dwordx2 v[8:9], v[8:9], off
	v_add_f64 v[6:7], v[6:7], -v[4:5]
	s_waitcnt vmcnt(0)
	v_add_f64 v[8:9], v[10:11], -v[8:9]
	v_add_f64 v[6:7], v[6:7], -v[8:9]
	v_lshlrev_b64 v[8:9], 3, v[0:1]
	v_add_nc_u32_e32 v0, s2, v0
	v_add_co_u32 v10, vcc_lo, s8, v8
	v_add_co_ci_u32_e64 v11, null, s9, v9, vcc_lo
	v_add_co_u32 v8, vcc_lo, s10, v8
	v_add_co_ci_u32_e64 v9, null, s11, v9, vcc_lo
	global_load_dwordx2 v[10:11], v[10:11], off
	global_load_dwordx2 v[8:9], v[8:9], off
	s_waitcnt vmcnt(0)
	v_add_f64 v[8:9], v[10:11], -v[8:9]
	v_lshlrev_b64 v[10:11], 3, v[0:1]
	v_add_nc_u32_e32 v0, s2, v0
	s_load_dwordx4 s[0:3], s[0:1], 0x98
	v_add_co_u32 v12, vcc_lo, s8, v10
	v_add_co_ci_u32_e64 v13, null, s9, v11, vcc_lo
	v_add_co_u32 v10, vcc_lo, s10, v10
	v_add_co_ci_u32_e64 v11, null, s11, v11, vcc_lo
	global_load_dwordx2 v[12:13], v[12:13], off
	global_load_dwordx2 v[10:11], v[10:11], off
	v_add_f64 v[6:7], v[6:7], -v[8:9]
	s_waitcnt vmcnt(0)
	v_add_f64 v[10:11], v[12:13], -v[10:11]
	v_add_f64 v[12:13], v[6:7], v[10:11]
	v_lshlrev_b64 v[6:7], 3, v[0:1]
	v_add_nc_u32_e32 v0, s4, v0
	v_add_co_u32 v14, vcc_lo, s8, v6
	v_add_co_ci_u32_e64 v15, null, s9, v7, vcc_lo
	v_add_co_u32 v6, vcc_lo, s10, v6
	v_add_co_ci_u32_e64 v7, null, s11, v7, vcc_lo
	global_load_dwordx2 v[14:15], v[14:15], off
	global_load_dwordx2 v[6:7], v[6:7], off
	s_waitcnt vmcnt(0)
	v_add_f64 v[6:7], v[14:15], -v[6:7]
	v_lshlrev_b64 v[14:15], 3, v[0:1]
	v_add_nc_u32_e32 v0, s4, v0
	v_add_co_u32 v16, vcc_lo, s8, v14
	v_add_co_ci_u32_e64 v17, null, s9, v15, vcc_lo
	v_add_co_u32 v14, vcc_lo, s10, v14
	v_add_co_ci_u32_e64 v15, null, s11, v15, vcc_lo
	global_load_dwordx2 v[16:17], v[16:17], off
	global_load_dwordx2 v[14:15], v[14:15], off
	v_add_f64 v[12:13], v[12:13], v[6:7]
	s_waitcnt vmcnt(0)
	v_add_f64 v[14:15], v[16:17], -v[14:15]
	v_lshlrev_b64 v[16:17], 3, v[0:1]
	v_add_nc_u32_e32 v0, s4, v0
	v_add_co_u32 v18, vcc_lo, s8, v16
	v_add_co_ci_u32_e64 v19, null, s9, v17, vcc_lo
	v_add_co_u32 v16, vcc_lo, s10, v16
	v_add_co_ci_u32_e64 v17, null, s11, v17, vcc_lo
	global_load_dwordx2 v[18:19], v[18:19], off
	global_load_dwordx2 v[16:17], v[16:17], off
	v_add_f64 v[12:13], v[12:13], v[14:15]
	s_waitcnt vmcnt(0)
	v_add_f64 v[16:17], v[18:19], -v[16:17]
	v_lshlrev_b64 v[18:19], 3, v[0:1]
	v_lshl_add_u32 v0, s4, 3, v0
	v_add_co_u32 v20, vcc_lo, s8, v18
	v_add_co_ci_u32_e64 v21, null, s9, v19, vcc_lo
	v_add_co_u32 v18, vcc_lo, s10, v18
	v_add_co_ci_u32_e64 v19, null, s11, v19, vcc_lo
	global_load_dwordx2 v[20:21], v[20:21], off
	global_load_dwordx2 v[18:19], v[18:19], off
	v_add_f64 v[12:13], v[12:13], v[16:17]
	s_waitcnt vmcnt(0)
	v_add_f64 v[18:19], v[20:21], -v[18:19]
	v_lshlrev_b64 v[20:21], 3, v[0:1]
	v_add_co_u32 v22, vcc_lo, s8, v20
	v_add_co_ci_u32_e64 v23, null, s9, v21, vcc_lo
	v_add_co_u32 v20, vcc_lo, s10, v20
	v_add_co_ci_u32_e64 v21, null, s11, v21, vcc_lo
	global_load_dwordx2 v[22:23], v[22:23], off
	global_load_dwordx2 v[20:21], v[20:21], off
	v_add_f64 v[12:13], v[12:13], v[18:19]
	s_waitcnt vmcnt(0)
	v_add_f64 v[20:21], v[22:23], -v[20:21]
	v_add_f64 v[12:13], v[12:13], v[20:21]
	v_mad_u64_u32 v[20:21], null, 0xffffff46, s4, v[0:1]
	v_mov_b32_e32 v21, v1
	v_lshlrev_b64 v[22:23], 3, v[20:21]
	v_add_co_u32 v22, vcc_lo, s12, v22
	v_add_co_ci_u32_e64 v23, null, s13, v23, vcc_lo
	v_mul_f64 v[12:13], s[14:15], v[12:13]
	s_waitcnt lgkmcnt(0)
	v_mul_f64 v[12:13], s[0:1], v[12:13]
	global_store_dwordx2 v[22:23], v[12:13], off
	v_mad_u64_u32 v[12:13], null, 0x7d, s4, v[20:21]
	v_mov_b32_e32 v13, v1
	v_lshlrev_b64 v[20:21], 3, v[12:13]
	v_add_co_u32 v22, vcc_lo, s8, v20
	v_add_co_ci_u32_e64 v23, null, s9, v21, vcc_lo
	v_add_co_u32 v20, vcc_lo, s10, v20
	v_add_co_ci_u32_e64 v21, null, s11, v21, vcc_lo
	global_load_dwordx2 v[22:23], v[22:23], off
	global_load_dwordx2 v[20:21], v[20:21], off
	s_waitcnt vmcnt(0)
	v_add_f64 v[20:21], v[22:23], -v[20:21]
	v_add_f64 v[2:3], v[2:3], v[20:21]
	v_add_f64 v[2:3], v[4:5], v[2:3]
	v_mad_u64_u32 v[4:5], null, s4, 45, v[12:13]
	v_mov_b32_e32 v5, v1
	v_add_nc_u32_e32 v0, s4, v4
	v_add_f64 v[2:3], v[8:9], v[2:3]
	v_lshlrev_b64 v[8:9], 3, v[4:5]
	v_lshlrev_b64 v[4:5], 3, v[0:1]
	v_add_nc_u32_e32 v0, s5, v0
	v_add_co_u32 v12, vcc_lo, s8, v8
	v_add_co_ci_u32_e64 v13, null, s9, v9, vcc_lo
	v_add_co_u32 v8, vcc_lo, s10, v8
	v_add_co_ci_u32_e64 v9, null, s11, v9, vcc_lo
	global_load_dwordx2 v[12:13], v[12:13], off
	global_load_dwordx2 v[8:9], v[8:9], off
	s_waitcnt vmcnt(0)
	v_add_f64 v[8:9], v[12:13], -v[8:9]
	v_add_f64 v[2:3], v[2:3], -v[8:9]
	v_add_co_u32 v8, vcc_lo, s8, v4
	v_add_co_ci_u32_e64 v9, null, s9, v5, vcc_lo
	v_add_co_u32 v4, vcc_lo, s10, v4
	v_add_co_ci_u32_e64 v5, null, s11, v5, vcc_lo
	global_load_dwordx2 v[8:9], v[8:9], off
	global_load_dwordx2 v[4:5], v[4:5], off
	s_waitcnt vmcnt(0)
	v_add_f64 v[4:5], v[8:9], -v[4:5]
	v_add_f64 v[2:3], v[2:3], -v[4:5]
	v_lshlrev_b64 v[4:5], 3, v[0:1]
	v_add_nc_u32_e32 v0, s4, v0
	v_add_co_u32 v8, vcc_lo, s8, v4
	v_add_co_ci_u32_e64 v9, null, s9, v5, vcc_lo
	v_add_co_u32 v4, vcc_lo, s10, v4
	v_add_co_ci_u32_e64 v5, null, s11, v5, vcc_lo
	global_load_dwordx2 v[8:9], v[8:9], off
	global_load_dwordx2 v[4:5], v[4:5], off
	v_add_f64 v[2:3], v[2:3], -v[10:11]
	s_waitcnt vmcnt(0)
	v_add_f64 v[4:5], v[8:9], -v[4:5]
	v_add_f64 v[2:3], v[2:3], -v[4:5]
	v_lshlrev_b64 v[4:5], 3, v[0:1]
	v_add_co_u32 v8, vcc_lo, s8, v4
	v_add_co_ci_u32_e64 v9, null, s9, v5, vcc_lo
	v_add_co_u32 v4, vcc_lo, s10, v4
	v_add_co_ci_u32_e64 v5, null, s11, v5, vcc_lo
	global_load_dwordx2 v[8:9], v[8:9], off
	global_load_dwordx2 v[4:5], v[4:5], off
	s_waitcnt vmcnt(0)
	v_add_f64 v[4:5], v[8:9], -v[4:5]
	v_add_f64 v[2:3], v[2:3], -v[4:5]
	v_mad_u64_u32 v[4:5], null, s4, 6, v[0:1]
	v_mov_b32_e32 v5, v1
	v_add_nc_u32_e32 v0, s5, v4
	v_add_f64 v[2:3], v[2:3], -v[6:7]
	v_lshlrev_b64 v[5:6], 3, v[4:5]
	v_add_co_u32 v7, vcc_lo, s8, v5
	v_add_co_ci_u32_e64 v8, null, s9, v6, vcc_lo
	v_add_co_u32 v5, vcc_lo, s10, v5
	v_add_co_ci_u32_e64 v6, null, s11, v6, vcc_lo
	global_load_dwordx2 v[7:8], v[7:8], off
	global_load_dwordx2 v[5:6], v[5:6], off
	v_add_f64 v[2:3], v[2:3], -v[14:15]
	v_add_f64 v[2:3], v[2:3], -v[16:17]
	;; [unrolled: 1-line block ×3, first 2 shown]
	s_waitcnt vmcnt(0)
	v_add_f64 v[5:6], v[7:8], -v[5:6]
	v_add_f64 v[2:3], v[5:6], v[2:3]
	v_lshlrev_b64 v[4:5], 3, v[0:1]
	v_add_nc_u32_e32 v0, s4, v0
	v_add_co_u32 v6, vcc_lo, s8, v4
	v_add_co_ci_u32_e64 v7, null, s9, v5, vcc_lo
	v_add_co_u32 v4, vcc_lo, s10, v4
	v_add_co_ci_u32_e64 v5, null, s11, v5, vcc_lo
	global_load_dwordx2 v[6:7], v[6:7], off
	global_load_dwordx2 v[4:5], v[4:5], off
	s_waitcnt vmcnt(0)
	v_add_f64 v[4:5], v[6:7], -v[4:5]
	v_add_f64 v[2:3], v[4:5], v[2:3]
	v_lshlrev_b64 v[4:5], 3, v[0:1]
	v_add_nc_u32_e32 v0, s5, v0
	v_add_co_u32 v6, vcc_lo, s8, v4
	v_add_co_ci_u32_e64 v7, null, s9, v5, vcc_lo
	v_add_co_u32 v4, vcc_lo, s10, v4
	v_add_co_ci_u32_e64 v5, null, s11, v5, vcc_lo
	global_load_dwordx2 v[6:7], v[6:7], off
	global_load_dwordx2 v[4:5], v[4:5], off
	s_waitcnt vmcnt(0)
	v_add_f64 v[4:5], v[6:7], -v[4:5]
	v_add_f64 v[2:3], v[4:5], v[2:3]
	v_lshlrev_b64 v[4:5], 3, v[0:1]
	v_add_co_u32 v6, vcc_lo, s8, v4
	v_add_co_ci_u32_e64 v7, null, s9, v5, vcc_lo
	v_add_co_u32 v4, vcc_lo, s10, v4
	v_add_co_ci_u32_e64 v5, null, s11, v5, vcc_lo
	global_load_dwordx2 v[6:7], v[6:7], off
	global_load_dwordx2 v[4:5], v[4:5], off
	s_waitcnt vmcnt(0)
	v_add_f64 v[4:5], v[6:7], -v[4:5]
	v_add_f64 v[2:3], v[2:3], v[4:5]
	v_mad_u64_u32 v[4:5], null, 0xffffff48, s4, v[0:1]
	v_mov_b32_e32 v5, v1
	v_lshlrev_b64 v[5:6], 3, v[4:5]
	v_add_nc_u32_e32 v0, s4, v4
	v_add_co_u32 v5, vcc_lo, s12, v5
	v_add_co_ci_u32_e64 v6, null, s13, v6, vcc_lo
	v_mul_f64 v[2:3], s[14:15], v[2:3]
	v_mul_f64 v[2:3], s[2:3], v[2:3]
	global_store_dwordx2 v[5:6], v[2:3], off
	v_lshlrev_b64 v[2:3], 3, v[0:1]
	v_mov_b32_e32 v0, v1
	v_add_co_u32 v2, vcc_lo, s12, v2
	v_add_co_ci_u32_e64 v3, null, s13, v3, vcc_lo
	global_store_dwordx2 v[2:3], v[0:1], off
	s_endpgm
	.section	.rodata,"a",@progbits
	.p2align	6, 0x0
	.amdhsa_kernel _Z14rdwdot2_kernelIdEvPKT_S2_PS0_S0_S2_
		.amdhsa_group_segment_fixed_size 0
		.amdhsa_private_segment_fixed_size 0
		.amdhsa_kernarg_size 296
		.amdhsa_user_sgpr_count 6
		.amdhsa_user_sgpr_private_segment_buffer 1
		.amdhsa_user_sgpr_dispatch_ptr 0
		.amdhsa_user_sgpr_queue_ptr 0
		.amdhsa_user_sgpr_kernarg_segment_ptr 1
		.amdhsa_user_sgpr_dispatch_id 0
		.amdhsa_user_sgpr_flat_scratch_init 0
		.amdhsa_user_sgpr_private_segment_size 0
		.amdhsa_wavefront_size32 1
		.amdhsa_uses_dynamic_stack 0
		.amdhsa_system_sgpr_private_segment_wavefront_offset 0
		.amdhsa_system_sgpr_workgroup_id_x 1
		.amdhsa_system_sgpr_workgroup_id_y 0
		.amdhsa_system_sgpr_workgroup_id_z 0
		.amdhsa_system_sgpr_workgroup_info 0
		.amdhsa_system_vgpr_workitem_id 0
		.amdhsa_next_free_vgpr 24
		.amdhsa_next_free_sgpr 16
		.amdhsa_reserve_vcc 1
		.amdhsa_reserve_flat_scratch 0
		.amdhsa_float_round_mode_32 0
		.amdhsa_float_round_mode_16_64 0
		.amdhsa_float_denorm_mode_32 3
		.amdhsa_float_denorm_mode_16_64 3
		.amdhsa_dx10_clamp 1
		.amdhsa_ieee_mode 1
		.amdhsa_fp16_overflow 0
		.amdhsa_workgroup_processor_mode 1
		.amdhsa_memory_ordered 1
		.amdhsa_forward_progress 1
		.amdhsa_shared_vgpr_count 0
		.amdhsa_exception_fp_ieee_invalid_op 0
		.amdhsa_exception_fp_denorm_src 0
		.amdhsa_exception_fp_ieee_div_zero 0
		.amdhsa_exception_fp_ieee_overflow 0
		.amdhsa_exception_fp_ieee_underflow 0
		.amdhsa_exception_fp_ieee_inexact 0
		.amdhsa_exception_int_div_zero 0
	.end_amdhsa_kernel
	.section	.text._Z14rdwdot2_kernelIdEvPKT_S2_PS0_S0_S2_,"axG",@progbits,_Z14rdwdot2_kernelIdEvPKT_S2_PS0_S0_S2_,comdat
.Lfunc_end47:
	.size	_Z14rdwdot2_kernelIdEvPKT_S2_PS0_S0_S2_, .Lfunc_end47-_Z14rdwdot2_kernelIdEvPKT_S2_PS0_S0_S2_
                                        ; -- End function
	.set _Z14rdwdot2_kernelIdEvPKT_S2_PS0_S0_S2_.num_vgpr, 24
	.set _Z14rdwdot2_kernelIdEvPKT_S2_PS0_S0_S2_.num_agpr, 0
	.set _Z14rdwdot2_kernelIdEvPKT_S2_PS0_S0_S2_.numbered_sgpr, 16
	.set _Z14rdwdot2_kernelIdEvPKT_S2_PS0_S0_S2_.num_named_barrier, 0
	.set _Z14rdwdot2_kernelIdEvPKT_S2_PS0_S0_S2_.private_seg_size, 0
	.set _Z14rdwdot2_kernelIdEvPKT_S2_PS0_S0_S2_.uses_vcc, 1
	.set _Z14rdwdot2_kernelIdEvPKT_S2_PS0_S0_S2_.uses_flat_scratch, 0
	.set _Z14rdwdot2_kernelIdEvPKT_S2_PS0_S0_S2_.has_dyn_sized_stack, 0
	.set _Z14rdwdot2_kernelIdEvPKT_S2_PS0_S0_S2_.has_recursion, 0
	.set _Z14rdwdot2_kernelIdEvPKT_S2_PS0_S0_S2_.has_indirect_call, 0
	.section	.AMDGPU.csdata,"",@progbits
; Kernel info:
; codeLenInByte = 2288
; TotalNumSgprs: 18
; NumVgprs: 24
; ScratchSize: 0
; MemoryBound: 0
; FloatMode: 240
; IeeeMode: 1
; LDSByteSize: 0 bytes/workgroup (compile time only)
; SGPRBlocks: 0
; VGPRBlocks: 2
; NumSGPRsForWavesPerEU: 18
; NumVGPRsForWavesPerEU: 24
; Occupancy: 16
; WaveLimiterHint : 0
; COMPUTE_PGM_RSRC2:SCRATCH_EN: 0
; COMPUTE_PGM_RSRC2:USER_SGPR: 6
; COMPUTE_PGM_RSRC2:TRAP_HANDLER: 0
; COMPUTE_PGM_RSRC2:TGID_X_EN: 1
; COMPUTE_PGM_RSRC2:TGID_Y_EN: 0
; COMPUTE_PGM_RSRC2:TGID_Z_EN: 0
; COMPUTE_PGM_RSRC2:TIDIG_COMP_CNT: 0
	.section	.text._Z14rdwdot3_kernelIdEvPKT_S2_PS0_S0_S2_,"axG",@progbits,_Z14rdwdot3_kernelIdEvPKT_S2_PS0_S0_S2_,comdat
	.protected	_Z14rdwdot3_kernelIdEvPKT_S2_PS0_S0_S2_ ; -- Begin function _Z14rdwdot3_kernelIdEvPKT_S2_PS0_S0_S2_
	.globl	_Z14rdwdot3_kernelIdEvPKT_S2_PS0_S0_S2_
	.p2align	8
	.type	_Z14rdwdot3_kernelIdEvPKT_S2_PS0_S0_S2_,@function
_Z14rdwdot3_kernelIdEvPKT_S2_PS0_S0_S2_: ; @_Z14rdwdot3_kernelIdEvPKT_S2_PS0_S0_S2_
; %bb.0:
	s_clause 0x3
	s_load_dwordx8 s[8:15], s[4:5], 0x0
	s_load_dwordx2 s[20:21], s[4:5], 0x20
	s_load_dword s22, s[4:5], 0x28
	s_load_dword s0, s[4:5], 0x34
	v_mov_b32_e32 v1, 0
	s_waitcnt lgkmcnt(0)
	s_and_b32 s0, s0, 0xffff
	s_mul_i32 s22, s22, s0
	s_mul_i32 s6, s6, s0
	;; [unrolled: 1-line block ×3, first 2 shown]
	s_lshl_b32 s0, s22, 3
	v_add3_u32 v0, s1, s6, v0
	s_mul_i32 s28, s22, 6
	s_lshl_b32 s29, s22, 2
	s_mul_i32 s26, s22, 12
	s_lshl_b32 s23, s22, 1
	v_lshlrev_b64 v[2:3], 3, v[0:1]
	v_add_nc_u32_e32 v0, s0, v0
	s_mul_i32 s27, s22, 3
	s_mul_i32 s25, s22, 39
	;; [unrolled: 1-line block ×3, first 2 shown]
	v_add_co_u32 v4, vcc_lo, s8, v2
	v_add_co_ci_u32_e64 v5, null, s9, v3, vcc_lo
	v_add_co_u32 v2, vcc_lo, s10, v2
	v_add_co_ci_u32_e64 v3, null, s11, v3, vcc_lo
	global_load_dwordx2 v[4:5], v[4:5], off
	global_load_dwordx2 v[2:3], v[2:3], off
	s_waitcnt vmcnt(0)
	v_add_f64 v[2:3], v[4:5], -v[2:3]
	v_lshlrev_b64 v[4:5], 3, v[0:1]
	v_add_co_u32 v6, vcc_lo, s8, v4
	v_add_co_ci_u32_e64 v7, null, s9, v5, vcc_lo
	v_add_co_u32 v4, vcc_lo, s10, v4
	v_add_co_ci_u32_e64 v5, null, s11, v5, vcc_lo
	global_load_dwordx2 v[6:7], v[6:7], off
	global_load_dwordx2 v[4:5], v[4:5], off
	s_waitcnt vmcnt(0)
	v_add_f64 v[4:5], v[6:7], -v[4:5]
	v_add_f64 v[6:7], v[2:3], -v[4:5]
	v_mad_u64_u32 v[2:3], null, 0xffffffa5, s22, v[0:1]
	v_mov_b32_e32 v3, v1
	v_lshlrev_b64 v[3:4], 3, v[2:3]
	v_add_nc_u32_e32 v0, s28, v2
	v_add_co_u32 v8, vcc_lo, s8, v3
	v_add_co_ci_u32_e64 v9, null, s9, v4, vcc_lo
	v_add_co_u32 v3, vcc_lo, s10, v3
	v_add_co_ci_u32_e64 v4, null, s11, v4, vcc_lo
	global_load_dwordx2 v[8:9], v[8:9], off
	global_load_dwordx2 v[3:4], v[3:4], off
	s_waitcnt vmcnt(0)
	v_add_f64 v[3:4], v[8:9], -v[3:4]
	v_lshlrev_b64 v[8:9], 3, v[0:1]
	v_add_nc_u32_e32 v0, s29, v0
	v_add_co_u32 v10, vcc_lo, s8, v8
	v_add_co_ci_u32_e64 v11, null, s9, v9, vcc_lo
	v_add_co_u32 v8, vcc_lo, s10, v8
	v_add_co_ci_u32_e64 v9, null, s11, v9, vcc_lo
	global_load_dwordx2 v[10:11], v[10:11], off
	global_load_dwordx2 v[8:9], v[8:9], off
	s_waitcnt vmcnt(0)
	v_add_f64 v[8:9], v[10:11], -v[8:9]
	v_add_f64 v[2:3], v[3:4], v[8:9]
	v_lshlrev_b64 v[4:5], 3, v[0:1]
	v_add_nc_u32_e32 v0, s26, v0
	v_add_co_u32 v8, vcc_lo, s8, v4
	v_add_co_ci_u32_e64 v9, null, s9, v5, vcc_lo
	v_add_co_u32 v4, vcc_lo, s10, v4
	v_add_co_ci_u32_e64 v5, null, s11, v5, vcc_lo
	global_load_dwordx2 v[8:9], v[8:9], off
	global_load_dwordx2 v[4:5], v[4:5], off
	s_waitcnt vmcnt(0)
	v_add_f64 v[4:5], v[8:9], -v[4:5]
	v_add_f64 v[2:3], v[2:3], v[4:5]
	;; [unrolled: 11-line block ×3, first 2 shown]
	v_lshlrev_b64 v[4:5], 3, v[0:1]
	v_add_nc_u32_e32 v0, s0, v0
	s_mul_i32 s0, s22, 7
	v_add_co_u32 v8, vcc_lo, s8, v4
	v_add_co_ci_u32_e64 v9, null, s9, v5, vcc_lo
	v_add_co_u32 v4, vcc_lo, s10, v4
	v_add_co_ci_u32_e64 v5, null, s11, v5, vcc_lo
	global_load_dwordx2 v[8:9], v[8:9], off
	global_load_dwordx2 v[4:5], v[4:5], off
	s_waitcnt vmcnt(0)
	v_add_f64 v[4:5], v[8:9], -v[4:5]
	v_add_f64 v[2:3], v[2:3], v[4:5]
	v_lshlrev_b64 v[4:5], 3, v[0:1]
	v_add_nc_u32_e32 v0, s0, v0
	v_add_co_u32 v8, vcc_lo, s8, v4
	v_add_co_ci_u32_e64 v9, null, s9, v5, vcc_lo
	v_add_co_u32 v4, vcc_lo, s10, v4
	v_add_co_ci_u32_e64 v5, null, s11, v5, vcc_lo
	global_load_dwordx2 v[8:9], v[8:9], off
	global_load_dwordx2 v[4:5], v[4:5], off
	s_waitcnt vmcnt(0)
	v_add_f64 v[4:5], v[8:9], -v[4:5]
	v_add_f64 v[2:3], v[2:3], v[4:5]
	v_lshlrev_b64 v[4:5], 3, v[0:1]
	v_add_nc_u32_e32 v0, s22, v0
	;; [unrolled: 11-line block ×3, first 2 shown]
	v_add_co_u32 v8, vcc_lo, s8, v4
	v_add_co_ci_u32_e64 v9, null, s9, v5, vcc_lo
	v_add_co_u32 v4, vcc_lo, s10, v4
	v_add_co_ci_u32_e64 v5, null, s11, v5, vcc_lo
	global_load_dwordx2 v[8:9], v[8:9], off
	global_load_dwordx2 v[4:5], v[4:5], off
	s_waitcnt vmcnt(0)
	v_add_f64 v[4:5], v[8:9], -v[4:5]
	v_add_f64 v[2:3], v[2:3], -v[4:5]
	v_lshlrev_b64 v[4:5], 3, v[0:1]
	v_add_nc_u32_e32 v0, s22, v0
	v_add_co_u32 v8, vcc_lo, s8, v4
	v_add_co_ci_u32_e64 v9, null, s9, v5, vcc_lo
	v_add_co_u32 v4, vcc_lo, s10, v4
	v_add_co_ci_u32_e64 v5, null, s11, v5, vcc_lo
	global_load_dwordx2 v[8:9], v[8:9], off
	global_load_dwordx2 v[4:5], v[4:5], off
	s_waitcnt vmcnt(0)
	v_add_f64 v[4:5], v[8:9], -v[4:5]
	v_add_f64 v[2:3], v[2:3], -v[4:5]
	v_lshlrev_b64 v[4:5], 3, v[0:1]
	v_add_nc_u32_e32 v0, s22, v0
	;; [unrolled: 11-line block ×7, first 2 shown]
	v_add_co_u32 v12, vcc_lo, s8, v10
	v_add_co_ci_u32_e64 v13, null, s9, v11, vcc_lo
	v_add_co_u32 v10, vcc_lo, s10, v10
	v_add_co_ci_u32_e64 v11, null, s11, v11, vcc_lo
	global_load_dwordx2 v[12:13], v[12:13], off
	global_load_dwordx2 v[10:11], v[10:11], off
	s_waitcnt vmcnt(0)
	v_add_f64 v[10:11], v[12:13], -v[10:11]
	v_add_f64 v[8:9], v[8:9], v[10:11]
	v_lshlrev_b64 v[10:11], 3, v[0:1]
	v_add_nc_u32_e32 v0, s0, v0
	v_add_co_u32 v12, vcc_lo, s8, v10
	v_add_co_ci_u32_e64 v13, null, s9, v11, vcc_lo
	v_add_co_u32 v10, vcc_lo, s10, v10
	v_add_co_ci_u32_e64 v11, null, s11, v11, vcc_lo
	global_load_dwordx2 v[12:13], v[12:13], off
	global_load_dwordx2 v[10:11], v[10:11], off
	s_waitcnt vmcnt(0)
	v_add_f64 v[10:11], v[12:13], -v[10:11]
	v_add_f64 v[8:9], v[8:9], v[10:11]
	v_lshlrev_b64 v[10:11], 3, v[0:1]
	v_add_nc_u32_e32 v0, s28, v0
	v_add_co_u32 v12, vcc_lo, s8, v10
	v_add_co_ci_u32_e64 v13, null, s9, v11, vcc_lo
	v_add_co_u32 v10, vcc_lo, s10, v10
	v_add_co_ci_u32_e64 v11, null, s11, v11, vcc_lo
	global_load_dwordx2 v[12:13], v[12:13], off
	global_load_dwordx2 v[10:11], v[10:11], off
	s_waitcnt vmcnt(0)
	v_add_f64 v[10:11], v[12:13], -v[10:11]
	v_add_f64 v[8:9], v[8:9], -v[10:11]
	v_lshlrev_b64 v[10:11], 3, v[0:1]
	v_add_nc_u32_e32 v0, s27, v0
	v_add_co_u32 v12, vcc_lo, s8, v10
	v_add_co_ci_u32_e64 v13, null, s9, v11, vcc_lo
	v_add_co_u32 v10, vcc_lo, s10, v10
	v_add_co_ci_u32_e64 v11, null, s11, v11, vcc_lo
	global_load_dwordx2 v[12:13], v[12:13], off
	global_load_dwordx2 v[10:11], v[10:11], off
	s_waitcnt vmcnt(0)
	v_add_f64 v[10:11], v[12:13], -v[10:11]
	v_add_f64 v[8:9], v[8:9], v[10:11]
	v_lshlrev_b64 v[10:11], 3, v[0:1]
	v_add_nc_u32_e32 v0, s22, v0
	v_add_co_u32 v12, vcc_lo, s8, v10
	v_add_co_ci_u32_e64 v13, null, s9, v11, vcc_lo
	v_add_co_u32 v10, vcc_lo, s10, v10
	v_add_co_ci_u32_e64 v11, null, s11, v11, vcc_lo
	global_load_dwordx2 v[12:13], v[12:13], off
	global_load_dwordx2 v[10:11], v[10:11], off
	s_waitcnt vmcnt(0)
	v_add_f64 v[10:11], v[12:13], -v[10:11]
	v_add_f64 v[8:9], v[8:9], v[10:11]
	;; [unrolled: 11-line block ×4, first 2 shown]
	v_lshlrev_b64 v[10:11], 3, v[0:1]
	v_add_co_u32 v12, vcc_lo, s8, v10
	v_add_co_ci_u32_e64 v13, null, s9, v11, vcc_lo
	v_add_co_u32 v10, vcc_lo, s10, v10
	v_add_co_ci_u32_e64 v11, null, s11, v11, vcc_lo
	global_load_dwordx2 v[12:13], v[12:13], off
	global_load_dwordx2 v[10:11], v[10:11], off
	s_waitcnt vmcnt(0)
	v_add_f64 v[10:11], v[12:13], -v[10:11]
	v_add_f64 v[8:9], v[8:9], v[10:11]
	v_mad_u64_u32 v[10:11], null, s22, 14, v[0:1]
	v_mov_b32_e32 v11, v1
	v_lshlrev_b64 v[11:12], 3, v[10:11]
	v_add_nc_u32_e32 v0, s28, v10
	v_add_co_u32 v13, vcc_lo, s8, v11
	v_add_co_ci_u32_e64 v14, null, s9, v12, vcc_lo
	v_add_co_u32 v11, vcc_lo, s10, v11
	v_add_co_ci_u32_e64 v12, null, s11, v12, vcc_lo
	global_load_dwordx2 v[13:14], v[13:14], off
	global_load_dwordx2 v[11:12], v[11:12], off
	s_waitcnt vmcnt(0)
	v_add_f64 v[11:12], v[13:14], -v[11:12]
	v_add_f64 v[11:12], v[8:9], v[11:12]
	v_lshlrev_b64 v[8:9], 3, v[0:1]
	v_add_nc_u32_e32 v0, s26, v0
	v_add_co_u32 v13, vcc_lo, s8, v8
	v_add_co_ci_u32_e64 v14, null, s9, v9, vcc_lo
	v_add_co_u32 v8, vcc_lo, s10, v8
	v_add_co_ci_u32_e64 v9, null, s11, v9, vcc_lo
	global_load_dwordx2 v[13:14], v[13:14], off
	global_load_dwordx2 v[8:9], v[8:9], off
	s_waitcnt vmcnt(0)
	v_add_f64 v[8:9], v[13:14], -v[8:9]
	v_add_f64 v[10:11], v[11:12], v[8:9]
	;; [unrolled: 11-line block ×3, first 2 shown]
	v_lshlrev_b64 v[12:13], 3, v[0:1]
	v_add_co_u32 v14, vcc_lo, s8, v12
	v_add_co_ci_u32_e64 v15, null, s9, v13, vcc_lo
	v_add_co_u32 v12, vcc_lo, s10, v12
	v_add_co_ci_u32_e64 v13, null, s11, v13, vcc_lo
	global_load_dwordx2 v[14:15], v[14:15], off
	global_load_dwordx2 v[12:13], v[12:13], off
	s_waitcnt vmcnt(0)
	v_add_f64 v[12:13], v[14:15], -v[12:13]
	v_add_f64 v[10:11], v[10:11], v[12:13]
	v_mad_u64_u32 v[12:13], null, s22, 11, v[0:1]
	v_mov_b32_e32 v13, v1
	v_lshlrev_b64 v[13:14], 3, v[12:13]
	v_add_co_u32 v15, vcc_lo, s8, v13
	v_add_co_ci_u32_e64 v16, null, s9, v14, vcc_lo
	v_add_co_u32 v13, vcc_lo, s10, v13
	v_add_co_ci_u32_e64 v14, null, s11, v14, vcc_lo
	global_load_dwordx2 v[15:16], v[15:16], off
	global_load_dwordx2 v[13:14], v[13:14], off
	s_waitcnt vmcnt(0)
	v_add_f64 v[13:14], v[15:16], -v[13:14]
	v_add_f64 v[10:11], v[10:11], v[13:14]
	v_mad_u64_u32 v[12:13], null, s22, 13, v[12:13]
	v_mov_b32_e32 v13, v1
	v_lshlrev_b64 v[13:14], 3, v[12:13]
	v_add_nc_u32_e32 v0, s27, v12
	v_add_co_u32 v15, vcc_lo, s8, v13
	v_add_co_ci_u32_e64 v16, null, s9, v14, vcc_lo
	v_add_co_u32 v13, vcc_lo, s10, v13
	v_add_co_ci_u32_e64 v14, null, s11, v14, vcc_lo
	global_load_dwordx2 v[15:16], v[15:16], off
	global_load_dwordx2 v[13:14], v[13:14], off
	s_waitcnt vmcnt(0)
	v_add_f64 v[13:14], v[15:16], -v[13:14]
	v_add_f64 v[10:11], v[10:11], v[13:14]
	v_lshlrev_b64 v[12:13], 3, v[0:1]
	v_add_co_u32 v14, vcc_lo, s8, v12
	v_add_co_ci_u32_e64 v15, null, s9, v13, vcc_lo
	v_add_co_u32 v12, vcc_lo, s10, v12
	v_add_co_ci_u32_e64 v13, null, s11, v13, vcc_lo
	global_load_dwordx2 v[14:15], v[14:15], off
	global_load_dwordx2 v[12:13], v[12:13], off
	s_clause 0x2
	s_load_dwordx8 s[0:7], s[20:21], 0x60
	s_load_dwordx4 s[16:19], s[20:21], 0x80
	s_load_dwordx2 s[20:21], s[20:21], 0x90
	s_waitcnt vmcnt(0)
	v_add_f64 v[12:13], v[14:15], -v[12:13]
	v_add_f64 v[10:11], v[10:11], v[12:13]
	v_mad_u64_u32 v[12:13], null, 0xffffff41, s22, v[0:1]
	v_mov_b32_e32 v13, v1
	v_lshlrev_b64 v[14:15], 3, v[12:13]
	v_add_co_u32 v14, vcc_lo, s12, v14
	v_add_co_ci_u32_e64 v15, null, s13, v15, vcc_lo
	v_mul_f64 v[10:11], s[14:15], v[10:11]
	s_waitcnt lgkmcnt(0)
	v_mul_f64 v[10:11], s[0:1], v[10:11]
	s_mul_i32 s1, s22, 0x4d
	s_mul_i32 s0, s22, 10
	global_store_dwordx2 v[14:15], v[10:11], off
	v_mad_u64_u32 v[10:11], null, s22, 44, v[12:13]
	v_mov_b32_e32 v11, v1
	v_lshlrev_b64 v[11:12], 3, v[10:11]
	v_add_nc_u32_e32 v0, s22, v10
	v_add_co_u32 v13, vcc_lo, s8, v11
	v_add_co_ci_u32_e64 v14, null, s9, v12, vcc_lo
	v_add_co_u32 v11, vcc_lo, s10, v11
	v_add_co_ci_u32_e64 v12, null, s11, v12, vcc_lo
	global_load_dwordx2 v[13:14], v[13:14], off
	global_load_dwordx2 v[11:12], v[11:12], off
	s_waitcnt vmcnt(0)
	v_add_f64 v[11:12], v[13:14], -v[11:12]
	v_lshlrev_b64 v[13:14], 3, v[0:1]
	v_add_co_u32 v15, vcc_lo, s8, v13
	v_add_co_ci_u32_e64 v16, null, s9, v14, vcc_lo
	v_add_co_u32 v13, vcc_lo, s10, v13
	v_add_co_ci_u32_e64 v14, null, s11, v14, vcc_lo
	global_load_dwordx2 v[15:16], v[15:16], off
	global_load_dwordx2 v[13:14], v[13:14], off
	s_waitcnt vmcnt(0)
	v_add_f64 v[13:14], v[15:16], -v[13:14]
	v_add_f64 v[10:11], v[11:12], v[13:14]
	v_mad_u64_u32 v[12:13], null, s22, 53, v[0:1]
	v_mov_b32_e32 v13, v1
	v_lshlrev_b64 v[16:17], 3, v[12:13]
	v_add_nc_u32_e32 v0, s23, v12
	v_add_co_u32 v14, vcc_lo, s8, v16
	v_add_co_ci_u32_e64 v15, null, s9, v17, vcc_lo
	v_add_co_u32 v16, vcc_lo, s10, v16
	v_add_co_ci_u32_e64 v17, null, s11, v17, vcc_lo
	global_load_dwordx2 v[18:19], v[14:15], off
	v_lshlrev_b64 v[12:13], 3, v[0:1]
	v_add_nc_u32_e32 v0, s23, v0
	global_load_dwordx2 v[20:21], v[16:17], off
	s_waitcnt vmcnt(0)
	v_add_f64 v[18:19], v[18:19], -v[20:21]
	v_add_f64 v[10:11], v[10:11], v[18:19]
	v_add_co_u32 v18, vcc_lo, s8, v12
	v_add_co_ci_u32_e64 v19, null, s9, v13, vcc_lo
	v_add_co_u32 v20, vcc_lo, s10, v12
	v_add_co_ci_u32_e64 v21, null, s11, v13, vcc_lo
	global_load_dwordx2 v[22:23], v[18:19], off
	global_load_dwordx2 v[12:13], v[20:21], off
	s_waitcnt vmcnt(0)
	v_add_f64 v[12:13], v[22:23], -v[12:13]
	v_add_f64 v[10:11], v[10:11], v[12:13]
	v_add_f64 v[6:7], v[10:11], -v[6:7]
	v_lshlrev_b64 v[10:11], 3, v[0:1]
	v_add_nc_u32_e32 v0, s22, v0
	v_add_co_u32 v12, vcc_lo, s8, v10
	v_add_co_ci_u32_e64 v13, null, s9, v11, vcc_lo
	v_add_co_u32 v10, vcc_lo, s10, v10
	v_add_co_ci_u32_e64 v11, null, s11, v11, vcc_lo
	global_load_dwordx2 v[12:13], v[12:13], off
	global_load_dwordx2 v[10:11], v[10:11], off
	s_waitcnt vmcnt(0)
	v_add_f64 v[10:11], v[12:13], -v[10:11]
	v_add_f64 v[6:7], v[6:7], v[10:11]
	v_lshlrev_b64 v[10:11], 3, v[0:1]
	v_add_nc_u32_e32 v0, s22, v0
	v_add_co_u32 v22, vcc_lo, s8, v10
	v_add_co_ci_u32_e64 v23, null, s9, v11, vcc_lo
	v_add_co_u32 v24, vcc_lo, s10, v10
	v_add_co_ci_u32_e64 v25, null, s11, v11, vcc_lo
	global_load_dwordx2 v[12:13], v[22:23], off
	global_load_dwordx2 v[10:11], v[24:25], off
	s_waitcnt vmcnt(0)
	v_add_f64 v[10:11], v[12:13], -v[10:11]
	v_add_f64 v[6:7], v[6:7], -v[10:11]
	v_lshlrev_b64 v[10:11], 3, v[0:1]
	v_add_nc_u32_e32 v0, s22, v0
	v_add_co_u32 v12, vcc_lo, s8, v10
	v_add_co_ci_u32_e64 v13, null, s9, v11, vcc_lo
	v_add_co_u32 v10, vcc_lo, s10, v10
	v_add_co_ci_u32_e64 v11, null, s11, v11, vcc_lo
	global_load_dwordx2 v[12:13], v[12:13], off
	global_load_dwordx2 v[10:11], v[10:11], off
	s_waitcnt vmcnt(0)
	v_add_f64 v[10:11], v[12:13], -v[10:11]
	v_lshlrev_b64 v[12:13], 3, v[0:1]
	v_add_nc_u32_e32 v0, s22, v0
	v_add_f64 v[6:7], v[6:7], -v[10:11]
	v_add_co_u32 v10, vcc_lo, s8, v12
	v_add_co_ci_u32_e64 v11, null, s9, v13, vcc_lo
	v_add_co_u32 v12, vcc_lo, s10, v12
	v_add_co_ci_u32_e64 v13, null, s11, v13, vcc_lo
	global_load_dwordx2 v[26:27], v[10:11], off
	global_load_dwordx2 v[28:29], v[12:13], off
	s_waitcnt vmcnt(0)
	v_add_f64 v[26:27], v[26:27], -v[28:29]
	v_add_f64 v[6:7], v[6:7], -v[26:27]
	v_lshlrev_b64 v[26:27], 3, v[0:1]
	v_add_nc_u32_e32 v0, s22, v0
	v_add_co_u32 v28, vcc_lo, s8, v26
	v_add_co_ci_u32_e64 v29, null, s9, v27, vcc_lo
	v_add_co_u32 v26, vcc_lo, s10, v26
	v_add_co_ci_u32_e64 v27, null, s11, v27, vcc_lo
	global_load_dwordx2 v[28:29], v[28:29], off
	global_load_dwordx2 v[26:27], v[26:27], off
	s_waitcnt vmcnt(0)
	v_add_f64 v[26:27], v[28:29], -v[26:27]
	v_add_f64 v[6:7], v[6:7], -v[26:27]
	v_lshlrev_b64 v[26:27], 3, v[0:1]
	v_add_nc_u32_e32 v0, s22, v0
	;; [unrolled: 11-line block ×4, first 2 shown]
	v_add_co_u32 v28, vcc_lo, s8, v26
	v_add_co_ci_u32_e64 v29, null, s9, v27, vcc_lo
	v_add_co_u32 v26, vcc_lo, s10, v26
	v_add_co_ci_u32_e64 v27, null, s11, v27, vcc_lo
	global_load_dwordx2 v[28:29], v[28:29], off
	global_load_dwordx2 v[26:27], v[26:27], off
	s_waitcnt vmcnt(0)
	v_add_f64 v[26:27], v[28:29], -v[26:27]
	v_add_f64 v[6:7], v[6:7], v[26:27]
	v_lshlrev_b64 v[26:27], 3, v[0:1]
	v_add_nc_u32_e32 v0, s22, v0
	v_add_co_u32 v28, vcc_lo, s8, v26
	v_add_co_ci_u32_e64 v29, null, s9, v27, vcc_lo
	v_add_co_u32 v26, vcc_lo, s10, v26
	v_add_co_ci_u32_e64 v27, null, s11, v27, vcc_lo
	global_load_dwordx2 v[28:29], v[28:29], off
	global_load_dwordx2 v[26:27], v[26:27], off
	s_waitcnt vmcnt(0)
	v_add_f64 v[26:27], v[28:29], -v[26:27]
	v_add_f64 v[6:7], v[6:7], v[26:27]
	v_lshlrev_b64 v[26:27], 3, v[0:1]
	v_add_nc_u32_e32 v0, s28, v0
	v_add_co_u32 v28, vcc_lo, s8, v26
	v_add_co_ci_u32_e64 v29, null, s9, v27, vcc_lo
	v_add_co_u32 v26, vcc_lo, s10, v26
	v_add_co_ci_u32_e64 v27, null, s11, v27, vcc_lo
	global_load_dwordx2 v[28:29], v[28:29], off
	global_load_dwordx2 v[26:27], v[26:27], off
	s_waitcnt vmcnt(0)
	v_add_f64 v[26:27], v[28:29], -v[26:27]
	v_add_f64 v[6:7], v[6:7], v[26:27]
	v_lshlrev_b64 v[26:27], 3, v[0:1]
	v_add_co_u32 v28, vcc_lo, s8, v26
	v_add_co_ci_u32_e64 v29, null, s9, v27, vcc_lo
	v_add_co_u32 v26, vcc_lo, s10, v26
	v_add_co_ci_u32_e64 v27, null, s11, v27, vcc_lo
	global_load_dwordx2 v[28:29], v[28:29], off
	global_load_dwordx2 v[26:27], v[26:27], off
	s_waitcnt vmcnt(0)
	v_add_f64 v[26:27], v[28:29], -v[26:27]
	v_add_f64 v[6:7], v[6:7], v[26:27]
	v_mad_u64_u32 v[26:27], null, 0xffffff7e, s22, v[0:1]
	v_mov_b32_e32 v27, v1
	v_lshlrev_b64 v[27:28], 3, v[26:27]
	v_add_nc_u32_e32 v0, s1, v26
	v_add_co_u32 v27, vcc_lo, s12, v27
	v_add_co_ci_u32_e64 v28, null, s13, v28, vcc_lo
	v_mul_f64 v[6:7], s[14:15], v[6:7]
	v_mul_f64 v[6:7], s[2:3], v[6:7]
	global_store_dwordx2 v[27:28], v[6:7], off
	v_lshlrev_b64 v[6:7], 3, v[0:1]
	v_add_nc_u32_e32 v0, s22, v0
	v_add_co_u32 v26, vcc_lo, s8, v6
	v_add_co_ci_u32_e64 v27, null, s9, v7, vcc_lo
	v_add_co_u32 v6, vcc_lo, s10, v6
	v_add_co_ci_u32_e64 v7, null, s11, v7, vcc_lo
	global_load_dwordx2 v[26:27], v[26:27], off
	global_load_dwordx2 v[6:7], v[6:7], off
	s_waitcnt vmcnt(0)
	v_add_f64 v[6:7], v[26:27], -v[6:7]
	v_lshlrev_b64 v[26:27], 3, v[0:1]
	v_add_nc_u32_e32 v0, s27, v0
	v_add_co_u32 v28, vcc_lo, s8, v26
	v_add_co_ci_u32_e64 v29, null, s9, v27, vcc_lo
	v_add_co_u32 v26, vcc_lo, s10, v26
	v_add_co_ci_u32_e64 v27, null, s11, v27, vcc_lo
	global_load_dwordx2 v[28:29], v[28:29], off
	global_load_dwordx2 v[26:27], v[26:27], off
	s_waitcnt vmcnt(0)
	v_add_f64 v[26:27], v[28:29], -v[26:27]
	v_lshlrev_b64 v[28:29], 3, v[0:1]
	v_add_nc_u32_e32 v0, s0, v0
	v_add_f64 v[6:7], v[6:7], v[26:27]
	v_add_co_u32 v26, vcc_lo, s8, v28
	v_add_co_ci_u32_e64 v27, null, s9, v29, vcc_lo
	v_add_co_u32 v28, vcc_lo, s10, v28
	v_add_co_ci_u32_e64 v29, null, s11, v29, vcc_lo
	global_load_dwordx2 v[30:31], v[26:27], off
	global_load_dwordx2 v[32:33], v[28:29], off
	s_waitcnt vmcnt(0)
	v_add_f64 v[30:31], v[30:31], -v[32:33]
	v_add_f64 v[6:7], v[6:7], v[30:31]
	v_lshlrev_b64 v[30:31], 3, v[0:1]
	v_add_co_u32 v32, vcc_lo, s8, v30
	v_add_co_ci_u32_e64 v33, null, s9, v31, vcc_lo
	v_add_co_u32 v30, vcc_lo, s10, v30
	v_add_co_ci_u32_e64 v31, null, s11, v31, vcc_lo
	global_load_dwordx2 v[32:33], v[32:33], off
	global_load_dwordx2 v[30:31], v[30:31], off
	s_waitcnt vmcnt(0)
	v_add_f64 v[30:31], v[32:33], -v[30:31]
	v_add_f64 v[6:7], v[6:7], v[30:31]
	v_mad_u64_u32 v[30:31], null, s22, 27, v[0:1]
	v_mov_b32_e32 v31, v1
	v_lshlrev_b64 v[31:32], 3, v[30:31]
	v_add_nc_u32_e32 v0, s0, v30
	s_mul_i32 s0, s22, 15
	v_add_co_u32 v33, vcc_lo, s8, v31
	v_add_co_ci_u32_e64 v34, null, s9, v32, vcc_lo
	v_add_co_u32 v31, vcc_lo, s10, v31
	v_add_co_ci_u32_e64 v32, null, s11, v32, vcc_lo
	global_load_dwordx2 v[33:34], v[33:34], off
	global_load_dwordx2 v[31:32], v[31:32], off
	s_waitcnt vmcnt(0)
	v_add_f64 v[31:32], v[33:34], -v[31:32]
	v_add_f64 v[6:7], v[6:7], v[31:32]
	v_lshlrev_b64 v[30:31], 3, v[0:1]
	v_add_nc_u32_e32 v0, s22, v0
	v_add_co_u32 v32, vcc_lo, s8, v30
	v_add_co_ci_u32_e64 v33, null, s9, v31, vcc_lo
	v_add_co_u32 v30, vcc_lo, s10, v30
	v_add_co_ci_u32_e64 v31, null, s11, v31, vcc_lo
	global_load_dwordx2 v[32:33], v[32:33], off
	global_load_dwordx2 v[30:31], v[30:31], off
	s_waitcnt vmcnt(0)
	v_add_f64 v[30:31], v[32:33], -v[30:31]
	v_add_f64 v[6:7], v[6:7], v[30:31]
	v_lshlrev_b64 v[30:31], 3, v[0:1]
	v_add_nc_u32_e32 v0, s26, v0
	;; [unrolled: 11-line block ×3, first 2 shown]
	v_add_co_u32 v32, vcc_lo, s8, v30
	v_add_co_ci_u32_e64 v33, null, s9, v31, vcc_lo
	v_add_co_u32 v30, vcc_lo, s10, v30
	v_add_co_ci_u32_e64 v31, null, s11, v31, vcc_lo
	global_load_dwordx2 v[32:33], v[32:33], off
	global_load_dwordx2 v[30:31], v[30:31], off
	s_waitcnt vmcnt(0)
	v_add_f64 v[30:31], v[32:33], -v[30:31]
	v_add_f64 v[6:7], v[6:7], -v[30:31]
	v_lshlrev_b64 v[30:31], 3, v[0:1]
	v_add_nc_u32_e32 v0, s22, v0
	v_add_co_u32 v32, vcc_lo, s8, v30
	v_add_co_ci_u32_e64 v33, null, s9, v31, vcc_lo
	v_add_co_u32 v30, vcc_lo, s10, v30
	v_add_co_ci_u32_e64 v31, null, s11, v31, vcc_lo
	global_load_dwordx2 v[32:33], v[32:33], off
	global_load_dwordx2 v[30:31], v[30:31], off
	s_waitcnt vmcnt(0)
	v_add_f64 v[30:31], v[32:33], -v[30:31]
	v_add_f64 v[6:7], v[6:7], -v[30:31]
	v_lshlrev_b64 v[30:31], 3, v[0:1]
	v_add_nc_u32_e32 v0, s22, v0
	v_add_co_u32 v32, vcc_lo, s8, v30
	v_add_co_ci_u32_e64 v33, null, s9, v31, vcc_lo
	v_add_co_u32 v30, vcc_lo, s10, v30
	v_add_co_ci_u32_e64 v31, null, s11, v31, vcc_lo
	global_load_dwordx2 v[32:33], v[32:33], off
	global_load_dwordx2 v[30:31], v[30:31], off
	s_waitcnt vmcnt(0)
	v_add_f64 v[30:31], v[32:33], -v[30:31]
	v_add_f64 v[6:7], v[6:7], -v[30:31]
	v_lshlrev_b64 v[30:31], 3, v[0:1]
	v_add_nc_u32_e32 v0, s22, v0
	v_add_co_u32 v32, vcc_lo, s8, v30
	v_add_co_ci_u32_e64 v33, null, s9, v31, vcc_lo
	v_add_co_u32 v30, vcc_lo, s10, v30
	v_add_co_ci_u32_e64 v31, null, s11, v31, vcc_lo
	global_load_dwordx2 v[32:33], v[32:33], off
	global_load_dwordx2 v[30:31], v[30:31], off
	s_waitcnt vmcnt(0)
	v_add_f64 v[30:31], v[32:33], -v[30:31]
	v_add_f64 v[6:7], v[6:7], -v[30:31]
	v_lshlrev_b64 v[30:31], 3, v[0:1]
	v_add_nc_u32_e32 v0, s23, v0
	v_add_co_u32 v32, vcc_lo, s8, v30
	v_add_co_ci_u32_e64 v33, null, s9, v31, vcc_lo
	v_add_co_u32 v30, vcc_lo, s10, v30
	v_add_co_ci_u32_e64 v31, null, s11, v31, vcc_lo
	global_load_dwordx2 v[32:33], v[32:33], off
	global_load_dwordx2 v[30:31], v[30:31], off
	s_waitcnt vmcnt(0)
	v_add_f64 v[30:31], v[32:33], -v[30:31]
	v_add_f64 v[6:7], v[6:7], -v[30:31]
	;; [unrolled: 1-line block ×3, first 2 shown]
	v_lshlrev_b64 v[8:9], 3, v[0:1]
	v_add_nc_u32_e32 v0, s22, v0
	v_add_co_u32 v30, vcc_lo, s8, v8
	v_add_co_ci_u32_e64 v31, null, s9, v9, vcc_lo
	v_add_co_u32 v8, vcc_lo, s10, v8
	v_add_co_ci_u32_e64 v9, null, s11, v9, vcc_lo
	global_load_dwordx2 v[30:31], v[30:31], off
	global_load_dwordx2 v[8:9], v[8:9], off
	s_waitcnt vmcnt(0)
	v_add_f64 v[8:9], v[30:31], -v[8:9]
	v_add_f64 v[6:7], v[6:7], -v[8:9]
	v_lshlrev_b64 v[8:9], 3, v[0:1]
	v_add_nc_u32_e32 v0, s22, v0
	v_add_co_u32 v30, vcc_lo, s8, v8
	v_add_co_ci_u32_e64 v31, null, s9, v9, vcc_lo
	v_add_co_u32 v8, vcc_lo, s10, v8
	v_add_co_ci_u32_e64 v9, null, s11, v9, vcc_lo
	global_load_dwordx2 v[30:31], v[30:31], off
	global_load_dwordx2 v[8:9], v[8:9], off
	s_waitcnt vmcnt(0)
	v_add_f64 v[8:9], v[30:31], -v[8:9]
	v_add_f64 v[30:31], v[6:7], -v[8:9]
	;; [unrolled: 11-line block ×9, first 2 shown]
	v_lshlrev_b64 v[32:33], 3, v[0:1]
	v_add_nc_u32_e32 v0, s27, v0
	v_add_co_u32 v34, vcc_lo, s8, v32
	v_add_co_ci_u32_e64 v35, null, s9, v33, vcc_lo
	v_add_co_u32 v32, vcc_lo, s10, v32
	v_add_co_ci_u32_e64 v33, null, s11, v33, vcc_lo
	global_load_dwordx2 v[34:35], v[34:35], off
	global_load_dwordx2 v[32:33], v[32:33], off
	s_waitcnt vmcnt(0)
	v_add_f64 v[32:33], v[34:35], -v[32:33]
	v_add_f64 v[30:31], v[30:31], v[32:33]
	v_lshlrev_b64 v[32:33], 3, v[0:1]
	v_add_nc_u32_e32 v0, s23, v0
	v_add_co_u32 v34, vcc_lo, s8, v32
	v_add_co_ci_u32_e64 v35, null, s9, v33, vcc_lo
	v_add_co_u32 v32, vcc_lo, s10, v32
	v_add_co_ci_u32_e64 v33, null, s11, v33, vcc_lo
	global_load_dwordx2 v[34:35], v[34:35], off
	global_load_dwordx2 v[32:33], v[32:33], off
	s_waitcnt vmcnt(0)
	v_add_f64 v[32:33], v[34:35], -v[32:33]
	v_add_f64 v[30:31], v[30:31], v[32:33]
	;; [unrolled: 11-line block ×3, first 2 shown]
	v_lshlrev_b64 v[32:33], 3, v[0:1]
	v_add_co_u32 v34, vcc_lo, s8, v32
	v_add_co_ci_u32_e64 v35, null, s9, v33, vcc_lo
	v_add_co_u32 v32, vcc_lo, s10, v32
	v_add_co_ci_u32_e64 v33, null, s11, v33, vcc_lo
	global_load_dwordx2 v[34:35], v[34:35], off
	global_load_dwordx2 v[32:33], v[32:33], off
	s_waitcnt vmcnt(0)
	v_add_f64 v[32:33], v[34:35], -v[32:33]
	v_add_f64 v[30:31], v[30:31], v[32:33]
	v_mad_u64_u32 v[32:33], null, 0xffffff50, s22, v[0:1]
	v_mov_b32_e32 v33, v1
	v_lshlrev_b64 v[34:35], 3, v[32:33]
	v_add_co_u32 v34, vcc_lo, s12, v34
	v_add_co_ci_u32_e64 v35, null, s13, v35, vcc_lo
	v_mul_f64 v[30:31], s[14:15], v[30:31]
	v_mul_f64 v[30:31], s[4:5], v[30:31]
	global_store_dwordx2 v[34:35], v[30:31], off
	v_mad_u64_u32 v[30:31], null, 0x4e, s22, v[32:33]
	v_mov_b32_e32 v31, v1
	v_lshlrev_b64 v[31:32], 3, v[30:31]
	v_add_nc_u32_e32 v0, s1, v30
	v_add_co_u32 v33, vcc_lo, s8, v31
	v_add_co_ci_u32_e64 v34, null, s9, v32, vcc_lo
	v_add_co_u32 v31, vcc_lo, s10, v31
	v_add_co_ci_u32_e64 v32, null, s11, v32, vcc_lo
	global_load_dwordx2 v[33:34], v[33:34], off
	global_load_dwordx2 v[31:32], v[31:32], off
	s_waitcnt vmcnt(0)
	v_add_f64 v[31:32], v[33:34], -v[31:32]
	v_lshlrev_b64 v[33:34], 3, v[0:1]
	v_add_nc_u32_e32 v0, s24, v0
	v_add_co_u32 v35, vcc_lo, s8, v33
	v_add_co_ci_u32_e64 v36, null, s9, v34, vcc_lo
	v_add_co_u32 v33, vcc_lo, s10, v33
	v_add_co_ci_u32_e64 v34, null, s11, v34, vcc_lo
	global_load_dwordx2 v[35:36], v[35:36], off
	global_load_dwordx2 v[33:34], v[33:34], off
	s_waitcnt vmcnt(0)
	v_add_f64 v[33:34], v[35:36], -v[33:34]
	v_add_f64 v[30:31], v[31:32], v[33:34]
	v_lshlrev_b64 v[32:33], 3, v[0:1]
	v_add_nc_u32_e32 v0, s27, v0
	v_add_co_u32 v34, vcc_lo, s8, v32
	v_add_co_ci_u32_e64 v35, null, s9, v33, vcc_lo
	v_add_co_u32 v32, vcc_lo, s10, v32
	v_add_co_ci_u32_e64 v33, null, s11, v33, vcc_lo
	global_load_dwordx2 v[34:35], v[34:35], off
	global_load_dwordx2 v[32:33], v[32:33], off
	s_waitcnt vmcnt(0)
	v_add_f64 v[32:33], v[34:35], -v[32:33]
	v_add_f64 v[30:31], v[30:31], v[32:33]
	;; [unrolled: 11-line block ×4, first 2 shown]
	v_lshlrev_b64 v[32:33], 3, v[0:1]
	v_add_nc_u32_e32 v0, s22, v0
	v_add_co_u32 v34, vcc_lo, s8, v32
	v_add_co_ci_u32_e64 v35, null, s9, v33, vcc_lo
	v_add_co_u32 v32, vcc_lo, s10, v32
	v_add_co_ci_u32_e64 v33, null, s11, v33, vcc_lo
	global_load_dwordx2 v[34:35], v[34:35], off
	global_load_dwordx2 v[32:33], v[32:33], off
	s_waitcnt vmcnt(0)
	v_add_f64 v[32:33], v[34:35], -v[32:33]
	v_add_f64 v[30:31], v[30:31], -v[32:33]
	v_lshlrev_b64 v[32:33], 3, v[0:1]
	v_add_nc_u32_e32 v0, s22, v0
	v_add_co_u32 v34, vcc_lo, s8, v32
	v_add_co_ci_u32_e64 v35, null, s9, v33, vcc_lo
	v_add_co_u32 v32, vcc_lo, s10, v32
	v_add_co_ci_u32_e64 v33, null, s11, v33, vcc_lo
	global_load_dwordx2 v[34:35], v[34:35], off
	global_load_dwordx2 v[32:33], v[32:33], off
	s_waitcnt vmcnt(0)
	v_add_f64 v[32:33], v[34:35], -v[32:33]
	v_add_f64 v[30:31], v[30:31], -v[32:33]
	;; [unrolled: 11-line block ×4, first 2 shown]
	v_lshlrev_b64 v[32:33], 3, v[0:1]
	v_add_co_u32 v34, vcc_lo, s8, v32
	v_add_co_ci_u32_e64 v35, null, s9, v33, vcc_lo
	v_add_co_u32 v32, vcc_lo, s10, v32
	v_add_co_ci_u32_e64 v33, null, s11, v33, vcc_lo
	global_load_dwordx2 v[34:35], v[34:35], off
	global_load_dwordx2 v[32:33], v[32:33], off
	s_waitcnt vmcnt(0)
	v_add_f64 v[32:33], v[34:35], -v[32:33]
	v_add_f64 v[30:31], v[30:31], -v[32:33]
	v_mad_u64_u32 v[32:33], null, 0xffffff58, s22, v[0:1]
	v_mov_b32_e32 v33, v1
	v_lshlrev_b64 v[34:35], 3, v[32:33]
	v_add_co_u32 v34, vcc_lo, s12, v34
	v_add_co_ci_u32_e64 v35, null, s13, v35, vcc_lo
	v_mul_f64 v[30:31], s[14:15], v[30:31]
	v_mul_f64 v[30:31], s[6:7], v[30:31]
	global_store_dwordx2 v[34:35], v[30:31], off
	v_mad_u64_u32 v[30:31], null, s22, 23, v[32:33]
	v_mov_b32_e32 v31, v1
	v_lshlrev_b64 v[31:32], 3, v[30:31]
	v_add_co_u32 v33, vcc_lo, s8, v31
	v_add_co_ci_u32_e64 v34, null, s9, v32, vcc_lo
	v_add_co_u32 v31, vcc_lo, s10, v31
	v_add_co_ci_u32_e64 v32, null, s11, v32, vcc_lo
	global_load_dwordx2 v[33:34], v[33:34], off
	global_load_dwordx2 v[31:32], v[31:32], off
	;; [unrolled: 1-line block ×4, first 2 shown]
	s_waitcnt vmcnt(2)
	v_add_f64 v[31:32], v[33:34], -v[31:32]
	s_waitcnt vmcnt(0)
	v_add_f64 v[26:27], v[26:27], -v[28:29]
	v_mad_u64_u32 v[28:29], null, 0x45, s22, v[30:31]
	v_mov_b32_e32 v29, v1
	v_add_f64 v[26:27], v[31:32], -v[26:27]
	v_lshlrev_b64 v[29:30], 3, v[28:29]
	v_add_nc_u32_e32 v0, s22, v28
	v_add_co_u32 v31, vcc_lo, s8, v29
	v_add_co_ci_u32_e64 v32, null, s9, v30, vcc_lo
	v_add_co_u32 v29, vcc_lo, s10, v29
	v_add_co_ci_u32_e64 v30, null, s11, v30, vcc_lo
	global_load_dwordx2 v[31:32], v[31:32], off
	global_load_dwordx2 v[29:30], v[29:30], off
	s_waitcnt vmcnt(0)
	v_add_f64 v[29:30], v[31:32], -v[29:30]
	v_add_f64 v[26:27], v[26:27], -v[29:30]
	v_lshlrev_b64 v[28:29], 3, v[0:1]
	v_add_nc_u32_e32 v0, s22, v0
	v_add_co_u32 v30, vcc_lo, s8, v28
	v_add_co_ci_u32_e64 v31, null, s9, v29, vcc_lo
	v_add_co_u32 v28, vcc_lo, s10, v28
	v_add_co_ci_u32_e64 v29, null, s11, v29, vcc_lo
	global_load_dwordx2 v[30:31], v[30:31], off
	global_load_dwordx2 v[28:29], v[28:29], off
	s_waitcnt vmcnt(0)
	v_add_f64 v[28:29], v[30:31], -v[28:29]
	v_add_f64 v[26:27], v[26:27], -v[28:29]
	v_lshlrev_b64 v[28:29], 3, v[0:1]
	v_add_nc_u32_e32 v0, s23, v0
	v_add_co_u32 v30, vcc_lo, s8, v28
	v_add_co_ci_u32_e64 v31, null, s9, v29, vcc_lo
	v_add_co_u32 v28, vcc_lo, s10, v28
	v_add_co_ci_u32_e64 v29, null, s11, v29, vcc_lo
	global_load_dwordx2 v[30:31], v[30:31], off
	global_load_dwordx2 v[28:29], v[28:29], off
	;; [unrolled: 1-line block ×4, first 2 shown]
	s_waitcnt vmcnt(2)
	v_add_f64 v[28:29], v[30:31], -v[28:29]
	s_waitcnt vmcnt(0)
	v_add_f64 v[14:15], v[14:15], -v[16:17]
	v_lshlrev_b64 v[16:17], 3, v[0:1]
	v_add_nc_u32_e32 v0, s0, v0
	v_add_f64 v[26:27], v[26:27], -v[28:29]
	v_add_f64 v[14:15], v[26:27], -v[14:15]
	v_add_co_u32 v26, vcc_lo, s8, v16
	v_add_co_ci_u32_e64 v27, null, s9, v17, vcc_lo
	v_add_co_u32 v16, vcc_lo, s10, v16
	v_add_co_ci_u32_e64 v17, null, s11, v17, vcc_lo
	global_load_dwordx2 v[26:27], v[26:27], off
	global_load_dwordx2 v[16:17], v[16:17], off
	s_waitcnt vmcnt(0)
	v_add_f64 v[16:17], v[26:27], -v[16:17]
	v_add_f64 v[14:15], v[14:15], -v[16:17]
	global_load_dwordx2 v[16:17], v[18:19], off
	global_load_dwordx2 v[18:19], v[20:21], off
	s_waitcnt vmcnt(0)
	v_add_f64 v[16:17], v[16:17], -v[18:19]
	v_add_f64 v[14:15], v[14:15], -v[16:17]
	;; [unrolled: 1-line block ×3, first 2 shown]
	global_load_dwordx2 v[16:17], v[22:23], off
	global_load_dwordx2 v[18:19], v[24:25], off
	s_waitcnt vmcnt(0)
	v_add_f64 v[16:17], v[16:17], -v[18:19]
	v_add_f64 v[14:15], v[14:15], v[16:17]
	v_lshlrev_b64 v[16:17], 3, v[0:1]
	v_add_nc_u32_e32 v0, s23, v0
	v_add_co_u32 v18, vcc_lo, s8, v16
	v_add_co_ci_u32_e64 v19, null, s9, v17, vcc_lo
	v_add_co_u32 v16, vcc_lo, s10, v16
	v_add_co_ci_u32_e64 v17, null, s11, v17, vcc_lo
	global_load_dwordx2 v[18:19], v[18:19], off
	global_load_dwordx2 v[16:17], v[16:17], off
	s_waitcnt vmcnt(0)
	v_add_f64 v[16:17], v[18:19], -v[16:17]
	v_add_f64 v[18:19], v[14:15], v[16:17]
	v_lshlrev_b64 v[14:15], 3, v[0:1]
	v_add_nc_u32_e32 v0, s23, v0
	v_add_co_u32 v20, vcc_lo, s8, v14
	v_add_co_ci_u32_e64 v21, null, s9, v15, vcc_lo
	v_add_co_u32 v14, vcc_lo, s10, v14
	v_add_co_ci_u32_e64 v15, null, s11, v15, vcc_lo
	global_load_dwordx2 v[20:21], v[20:21], off
	global_load_dwordx2 v[14:15], v[14:15], off
	s_waitcnt vmcnt(0)
	v_add_f64 v[14:15], v[20:21], -v[14:15]
	v_add_f64 v[20:21], v[18:19], v[14:15]
	v_lshlrev_b64 v[18:19], 3, v[0:1]
	v_add_co_u32 v22, vcc_lo, s8, v18
	v_add_co_ci_u32_e64 v23, null, s9, v19, vcc_lo
	v_add_co_u32 v18, vcc_lo, s10, v18
	v_add_co_ci_u32_e64 v19, null, s11, v19, vcc_lo
	global_load_dwordx2 v[22:23], v[22:23], off
	global_load_dwordx2 v[18:19], v[18:19], off
	s_waitcnt vmcnt(0)
	v_add_f64 v[18:19], v[22:23], -v[18:19]
	v_mad_u64_u32 v[22:23], null, 0xffffff8e, s22, v[0:1]
	v_mov_b32_e32 v23, v1
	v_lshlrev_b64 v[23:24], 3, v[22:23]
	v_add_nc_u32_e32 v0, s25, v22
	v_add_co_u32 v23, vcc_lo, s12, v23
	v_add_co_ci_u32_e64 v24, null, s13, v24, vcc_lo
	v_add_f64 v[20:21], v[20:21], v[18:19]
	v_mul_f64 v[20:21], s[14:15], v[20:21]
	v_mul_f64 v[20:21], s[16:17], v[20:21]
	global_store_dwordx2 v[23:24], v[20:21], off
	v_lshlrev_b64 v[20:21], 3, v[0:1]
	v_add_co_u32 v22, vcc_lo, s8, v20
	v_add_co_ci_u32_e64 v23, null, s9, v21, vcc_lo
	v_add_co_u32 v20, vcc_lo, s10, v20
	v_add_co_ci_u32_e64 v21, null, s11, v21, vcc_lo
	global_load_dwordx2 v[22:23], v[22:23], off
	global_load_dwordx2 v[20:21], v[20:21], off
	;; [unrolled: 1-line block ×4, first 2 shown]
	s_waitcnt vmcnt(2)
	v_add_f64 v[20:21], v[22:23], -v[20:21]
	s_waitcnt vmcnt(0)
	v_add_f64 v[2:3], v[2:3], -v[4:5]
	global_load_dwordx2 v[4:5], v[10:11], off
	global_load_dwordx2 v[10:11], v[12:13], off
	v_add_f64 v[2:3], v[20:21], v[2:3]
	s_waitcnt vmcnt(0)
	v_add_f64 v[4:5], v[4:5], -v[10:11]
	v_add_f64 v[2:3], v[2:3], v[4:5]
	v_mad_u64_u32 v[4:5], null, 0x44, s22, v[0:1]
	v_mov_b32_e32 v5, v1
	v_lshlrev_b64 v[10:11], 3, v[4:5]
	v_add_nc_u32_e32 v0, s23, v4
	v_add_co_u32 v12, vcc_lo, s8, v10
	v_add_co_ci_u32_e64 v13, null, s9, v11, vcc_lo
	v_add_co_u32 v10, vcc_lo, s10, v10
	v_add_co_ci_u32_e64 v11, null, s11, v11, vcc_lo
	global_load_dwordx2 v[12:13], v[12:13], off
	v_lshlrev_b64 v[4:5], 3, v[0:1]
	v_add_nc_u32_e32 v0, s23, v0
	global_load_dwordx2 v[10:11], v[10:11], off
	s_waitcnt vmcnt(0)
	v_add_f64 v[10:11], v[12:13], -v[10:11]
	v_add_f64 v[2:3], v[2:3], v[10:11]
	v_add_co_u32 v10, vcc_lo, s8, v4
	v_add_co_ci_u32_e64 v11, null, s9, v5, vcc_lo
	v_add_co_u32 v4, vcc_lo, s10, v4
	v_add_co_ci_u32_e64 v5, null, s11, v5, vcc_lo
	global_load_dwordx2 v[10:11], v[10:11], off
	global_load_dwordx2 v[4:5], v[4:5], off
	s_waitcnt vmcnt(0)
	v_add_f64 v[4:5], v[10:11], -v[4:5]
	v_add_f64 v[2:3], v[2:3], -v[4:5]
	v_lshlrev_b64 v[4:5], 3, v[0:1]
	v_add_nc_u32_e32 v0, s23, v0
	v_add_co_u32 v10, vcc_lo, s8, v4
	v_add_co_ci_u32_e64 v11, null, s9, v5, vcc_lo
	v_add_co_u32 v4, vcc_lo, s10, v4
	v_add_co_ci_u32_e64 v5, null, s11, v5, vcc_lo
	global_load_dwordx2 v[10:11], v[10:11], off
	global_load_dwordx2 v[4:5], v[4:5], off
	v_add_f64 v[2:3], v[2:3], -v[16:17]
	s_waitcnt vmcnt(0)
	v_add_f64 v[4:5], v[10:11], -v[4:5]
	v_add_f64 v[2:3], v[2:3], -v[4:5]
	v_lshlrev_b64 v[4:5], 3, v[0:1]
	v_add_nc_u32_e32 v0, s24, v0
	v_add_co_u32 v10, vcc_lo, s8, v4
	v_add_co_ci_u32_e64 v11, null, s9, v5, vcc_lo
	v_add_co_u32 v4, vcc_lo, s10, v4
	v_add_co_ci_u32_e64 v5, null, s11, v5, vcc_lo
	global_load_dwordx2 v[10:11], v[10:11], off
	global_load_dwordx2 v[4:5], v[4:5], off
	v_add_f64 v[2:3], v[2:3], -v[14:15]
	;; [unrolled: 12-line block ×3, first 2 shown]
	s_waitcnt vmcnt(0)
	v_add_f64 v[4:5], v[10:11], -v[4:5]
	v_add_f64 v[2:3], v[2:3], v[4:5]
	v_lshlrev_b64 v[4:5], 3, v[0:1]
	v_add_nc_u32_e32 v0, s22, v0
	v_add_co_u32 v10, vcc_lo, s8, v4
	v_add_co_ci_u32_e64 v11, null, s9, v5, vcc_lo
	v_add_co_u32 v4, vcc_lo, s10, v4
	v_add_co_ci_u32_e64 v5, null, s11, v5, vcc_lo
	global_load_dwordx2 v[10:11], v[10:11], off
	global_load_dwordx2 v[4:5], v[4:5], off
	s_waitcnt vmcnt(0)
	v_add_f64 v[4:5], v[10:11], -v[4:5]
	v_add_f64 v[2:3], v[2:3], v[4:5]
	v_lshlrev_b64 v[4:5], 3, v[0:1]
	v_add_nc_u32_e32 v0, s22, v0
	v_add_co_u32 v10, vcc_lo, s8, v4
	v_add_co_ci_u32_e64 v11, null, s9, v5, vcc_lo
	v_add_co_u32 v4, vcc_lo, s10, v4
	v_add_co_ci_u32_e64 v5, null, s11, v5, vcc_lo
	global_load_dwordx2 v[10:11], v[10:11], off
	global_load_dwordx2 v[4:5], v[4:5], off
	s_waitcnt vmcnt(0)
	v_add_f64 v[4:5], v[10:11], -v[4:5]
	v_add_f64 v[2:3], v[2:3], v[4:5]
	v_lshlrev_b64 v[4:5], 3, v[0:1]
	v_add_nc_u32_e32 v0, s22, v0
	v_add_co_u32 v10, vcc_lo, s8, v4
	v_add_co_ci_u32_e64 v11, null, s9, v5, vcc_lo
	v_add_co_u32 v4, vcc_lo, s10, v4
	v_add_co_ci_u32_e64 v5, null, s11, v5, vcc_lo
	global_load_dwordx2 v[10:11], v[10:11], off
	global_load_dwordx2 v[4:5], v[4:5], off
	s_waitcnt vmcnt(0)
	v_add_f64 v[4:5], v[10:11], -v[4:5]
	v_add_f64 v[2:3], v[2:3], v[4:5]
	v_lshlrev_b64 v[4:5], 3, v[0:1]
	v_add_co_u32 v10, vcc_lo, s8, v4
	v_add_co_ci_u32_e64 v11, null, s9, v5, vcc_lo
	v_add_co_u32 v4, vcc_lo, s10, v4
	v_add_co_ci_u32_e64 v5, null, s11, v5, vcc_lo
	global_load_dwordx2 v[10:11], v[10:11], off
	global_load_dwordx2 v[4:5], v[4:5], off
	s_waitcnt vmcnt(0)
	v_add_f64 v[4:5], v[10:11], -v[4:5]
	v_add_f64 v[2:3], v[2:3], v[4:5]
	v_mad_u64_u32 v[4:5], null, s22, 40, v[0:1]
	v_mov_b32_e32 v5, v1
	v_lshlrev_b64 v[10:11], 3, v[4:5]
	v_mad_u64_u32 v[4:5], null, 0xffffff51, s22, v[4:5]
	v_mov_b32_e32 v5, v1
	v_add_co_u32 v12, vcc_lo, s8, v10
	v_add_co_ci_u32_e64 v13, null, s9, v11, vcc_lo
	v_add_co_u32 v10, vcc_lo, s10, v10
	v_add_co_ci_u32_e64 v11, null, s11, v11, vcc_lo
	global_load_dwordx2 v[12:13], v[12:13], off
	global_load_dwordx2 v[10:11], v[10:11], off
	s_waitcnt vmcnt(0)
	v_add_f64 v[10:11], v[12:13], -v[10:11]
	v_add_f64 v[2:3], v[2:3], v[10:11]
	v_lshlrev_b64 v[10:11], 3, v[4:5]
	v_add_co_u32 v10, vcc_lo, s12, v10
	v_add_co_ci_u32_e64 v11, null, s13, v11, vcc_lo
	v_mul_f64 v[2:3], s[14:15], v[2:3]
	v_mul_f64 v[2:3], s[18:19], v[2:3]
	global_store_dwordx2 v[10:11], v[2:3], off
	v_mad_u64_u32 v[2:3], null, 0x47, s22, v[4:5]
	v_mov_b32_e32 v3, v1
	v_lshlrev_b64 v[3:4], 3, v[2:3]
	v_add_co_u32 v10, vcc_lo, s8, v3
	v_add_co_ci_u32_e64 v11, null, s9, v4, vcc_lo
	v_add_co_u32 v3, vcc_lo, s10, v3
	v_add_co_ci_u32_e64 v4, null, s11, v4, vcc_lo
	global_load_dwordx2 v[10:11], v[10:11], off
	global_load_dwordx2 v[3:4], v[3:4], off
	s_waitcnt vmcnt(0)
	v_add_f64 v[4:5], v[10:11], -v[3:4]
	v_mad_u64_u32 v[2:3], null, s22, 59, v[2:3]
	v_mov_b32_e32 v3, v1
	v_lshlrev_b64 v[10:11], 3, v[2:3]
	v_add_co_u32 v12, vcc_lo, s8, v10
	v_add_co_ci_u32_e64 v13, null, s9, v11, vcc_lo
	v_add_co_u32 v10, vcc_lo, s10, v10
	v_add_co_ci_u32_e64 v11, null, s11, v11, vcc_lo
	global_load_dwordx2 v[12:13], v[12:13], off
	global_load_dwordx2 v[10:11], v[10:11], off
	s_waitcnt vmcnt(0)
	v_add_f64 v[10:11], v[12:13], -v[10:11]
	v_add_f64 v[3:4], v[4:5], v[10:11]
	global_load_dwordx2 v[5:6], v[6:7], off
	global_load_dwordx2 v[7:8], v[8:9], off
	s_waitcnt vmcnt(0)
	v_add_f64 v[5:6], v[5:6], -v[7:8]
	v_add_f64 v[3:4], v[3:4], v[5:6]
	v_mad_u64_u32 v[5:6], null, s22, 25, v[2:3]
	v_mov_b32_e32 v6, v1
	v_lshlrev_b64 v[6:7], 3, v[5:6]
	v_add_co_u32 v8, vcc_lo, s8, v6
	v_add_co_ci_u32_e64 v9, null, s9, v7, vcc_lo
	v_add_co_u32 v6, vcc_lo, s10, v6
	v_add_co_ci_u32_e64 v7, null, s11, v7, vcc_lo
	global_load_dwordx2 v[8:9], v[8:9], off
	global_load_dwordx2 v[6:7], v[6:7], off
	s_waitcnt vmcnt(0)
	v_add_f64 v[6:7], v[8:9], -v[6:7]
	v_add_f64 v[2:3], v[3:4], v[6:7]
	v_mad_u64_u32 v[4:5], null, 0xffffff66, s22, v[5:6]
	v_mov_b32_e32 v5, v1
	v_lshlrev_b64 v[0:1], 3, v[4:5]
	v_add_co_u32 v0, vcc_lo, s12, v0
	v_add_co_ci_u32_e64 v1, null, s13, v1, vcc_lo
	v_mul_f64 v[2:3], s[14:15], v[2:3]
	v_mul_f64 v[2:3], s[20:21], v[2:3]
	global_store_dwordx2 v[0:1], v[2:3], off
	s_endpgm
	.section	.rodata,"a",@progbits
	.p2align	6, 0x0
	.amdhsa_kernel _Z14rdwdot3_kernelIdEvPKT_S2_PS0_S0_S2_
		.amdhsa_group_segment_fixed_size 0
		.amdhsa_private_segment_fixed_size 0
		.amdhsa_kernarg_size 296
		.amdhsa_user_sgpr_count 6
		.amdhsa_user_sgpr_private_segment_buffer 1
		.amdhsa_user_sgpr_dispatch_ptr 0
		.amdhsa_user_sgpr_queue_ptr 0
		.amdhsa_user_sgpr_kernarg_segment_ptr 1
		.amdhsa_user_sgpr_dispatch_id 0
		.amdhsa_user_sgpr_flat_scratch_init 0
		.amdhsa_user_sgpr_private_segment_size 0
		.amdhsa_wavefront_size32 1
		.amdhsa_uses_dynamic_stack 0
		.amdhsa_system_sgpr_private_segment_wavefront_offset 0
		.amdhsa_system_sgpr_workgroup_id_x 1
		.amdhsa_system_sgpr_workgroup_id_y 0
		.amdhsa_system_sgpr_workgroup_id_z 0
		.amdhsa_system_sgpr_workgroup_info 0
		.amdhsa_system_vgpr_workitem_id 0
		.amdhsa_next_free_vgpr 37
		.amdhsa_next_free_sgpr 30
		.amdhsa_reserve_vcc 1
		.amdhsa_reserve_flat_scratch 0
		.amdhsa_float_round_mode_32 0
		.amdhsa_float_round_mode_16_64 0
		.amdhsa_float_denorm_mode_32 3
		.amdhsa_float_denorm_mode_16_64 3
		.amdhsa_dx10_clamp 1
		.amdhsa_ieee_mode 1
		.amdhsa_fp16_overflow 0
		.amdhsa_workgroup_processor_mode 1
		.amdhsa_memory_ordered 1
		.amdhsa_forward_progress 1
		.amdhsa_shared_vgpr_count 0
		.amdhsa_exception_fp_ieee_invalid_op 0
		.amdhsa_exception_fp_denorm_src 0
		.amdhsa_exception_fp_ieee_div_zero 0
		.amdhsa_exception_fp_ieee_overflow 0
		.amdhsa_exception_fp_ieee_underflow 0
		.amdhsa_exception_fp_ieee_inexact 0
		.amdhsa_exception_int_div_zero 0
	.end_amdhsa_kernel
	.section	.text._Z14rdwdot3_kernelIdEvPKT_S2_PS0_S0_S2_,"axG",@progbits,_Z14rdwdot3_kernelIdEvPKT_S2_PS0_S0_S2_,comdat
.Lfunc_end48:
	.size	_Z14rdwdot3_kernelIdEvPKT_S2_PS0_S0_S2_, .Lfunc_end48-_Z14rdwdot3_kernelIdEvPKT_S2_PS0_S0_S2_
                                        ; -- End function
	.set _Z14rdwdot3_kernelIdEvPKT_S2_PS0_S0_S2_.num_vgpr, 37
	.set _Z14rdwdot3_kernelIdEvPKT_S2_PS0_S0_S2_.num_agpr, 0
	.set _Z14rdwdot3_kernelIdEvPKT_S2_PS0_S0_S2_.numbered_sgpr, 30
	.set _Z14rdwdot3_kernelIdEvPKT_S2_PS0_S0_S2_.num_named_barrier, 0
	.set _Z14rdwdot3_kernelIdEvPKT_S2_PS0_S0_S2_.private_seg_size, 0
	.set _Z14rdwdot3_kernelIdEvPKT_S2_PS0_S0_S2_.uses_vcc, 1
	.set _Z14rdwdot3_kernelIdEvPKT_S2_PS0_S0_S2_.uses_flat_scratch, 0
	.set _Z14rdwdot3_kernelIdEvPKT_S2_PS0_S0_S2_.has_dyn_sized_stack, 0
	.set _Z14rdwdot3_kernelIdEvPKT_S2_PS0_S0_S2_.has_recursion, 0
	.set _Z14rdwdot3_kernelIdEvPKT_S2_PS0_S0_S2_.has_indirect_call, 0
	.section	.AMDGPU.csdata,"",@progbits
; Kernel info:
; codeLenInByte = 9224
; TotalNumSgprs: 32
; NumVgprs: 37
; ScratchSize: 0
; MemoryBound: 0
; FloatMode: 240
; IeeeMode: 1
; LDSByteSize: 0 bytes/workgroup (compile time only)
; SGPRBlocks: 0
; VGPRBlocks: 4
; NumSGPRsForWavesPerEU: 32
; NumVGPRsForWavesPerEU: 37
; Occupancy: 16
; WaveLimiterHint : 0
; COMPUTE_PGM_RSRC2:SCRATCH_EN: 0
; COMPUTE_PGM_RSRC2:USER_SGPR: 6
; COMPUTE_PGM_RSRC2:TRAP_HANDLER: 0
; COMPUTE_PGM_RSRC2:TGID_X_EN: 1
; COMPUTE_PGM_RSRC2:TGID_Y_EN: 0
; COMPUTE_PGM_RSRC2:TGID_Z_EN: 0
; COMPUTE_PGM_RSRC2:TIDIG_COMP_CNT: 0
	.section	.text._Z14rdwdot6_kernelIdEvPKT_S2_PS0_S0_S2_,"axG",@progbits,_Z14rdwdot6_kernelIdEvPKT_S2_PS0_S0_S2_,comdat
	.protected	_Z14rdwdot6_kernelIdEvPKT_S2_PS0_S0_S2_ ; -- Begin function _Z14rdwdot6_kernelIdEvPKT_S2_PS0_S0_S2_
	.globl	_Z14rdwdot6_kernelIdEvPKT_S2_PS0_S0_S2_
	.p2align	8
	.type	_Z14rdwdot6_kernelIdEvPKT_S2_PS0_S0_S2_,@function
_Z14rdwdot6_kernelIdEvPKT_S2_PS0_S0_S2_: ; @_Z14rdwdot6_kernelIdEvPKT_S2_PS0_S0_S2_
; %bb.0:
	s_clause 0x3
	s_load_dwordx8 s[8:15], s[4:5], 0x0
	s_load_dwordx2 s[0:1], s[4:5], 0x20
	s_load_dword s2, s[4:5], 0x28
	s_load_dword s3, s[4:5], 0x34
	v_mov_b32_e32 v1, 0
	s_waitcnt lgkmcnt(0)
	s_and_b32 s3, s3, 0xffff
	s_mul_i32 s4, s2, s3
	s_mul_i32 s6, s6, s3
	;; [unrolled: 1-line block ×4, first 2 shown]
	v_add3_u32 v0, s2, s6, v0
	s_lshl_b32 s2, s4, 1
	s_lshl_b32 s3, s4, 2
	s_mul_i32 s6, s4, 7
	s_lshl_b32 s7, s4, 3
	v_lshlrev_b64 v[2:3], 3, v[0:1]
	v_add_nc_u32_e32 v0, s4, v0
	v_add_co_u32 v4, vcc_lo, s8, v2
	v_add_co_ci_u32_e64 v5, null, s9, v3, vcc_lo
	v_add_co_u32 v2, vcc_lo, s10, v2
	v_add_co_ci_u32_e64 v3, null, s11, v3, vcc_lo
	global_load_dwordx2 v[4:5], v[4:5], off
	global_load_dwordx2 v[2:3], v[2:3], off
	s_waitcnt vmcnt(0)
	v_add_f64 v[2:3], v[4:5], -v[2:3]
	v_lshlrev_b64 v[4:5], 3, v[0:1]
	v_add_nc_u32_e32 v0, s4, v0
	v_lshlrev_b64 v[8:9], 3, v[0:1]
	v_add_co_u32 v6, vcc_lo, s8, v4
	v_add_co_ci_u32_e64 v7, null, s9, v5, vcc_lo
	v_add_co_u32 v4, vcc_lo, s10, v4
	v_add_co_ci_u32_e64 v5, null, s11, v5, vcc_lo
	global_load_dwordx2 v[6:7], v[6:7], off
	v_add_co_u32 v10, vcc_lo, s8, v8
	global_load_dwordx2 v[4:5], v[4:5], off
	v_add_co_ci_u32_e64 v11, null, s9, v9, vcc_lo
	v_add_co_u32 v8, vcc_lo, s10, v8
	v_add_co_ci_u32_e64 v9, null, s11, v9, vcc_lo
	global_load_dwordx2 v[10:11], v[10:11], off
	v_add_nc_u32_e32 v0, s4, v0
	global_load_dwordx2 v[8:9], v[8:9], off
	s_waitcnt vmcnt(2)
	v_add_f64 v[4:5], v[6:7], -v[4:5]
	s_waitcnt vmcnt(0)
	v_add_f64 v[8:9], v[10:11], -v[8:9]
	v_add_f64 v[6:7], -v[2:3], -v[4:5]
	v_add_f64 v[2:3], v[2:3], v[4:5]
	v_add_f64 v[8:9], v[6:7], -v[8:9]
	v_lshlrev_b64 v[6:7], 3, v[0:1]
	v_add_nc_u32_e32 v0, s4, v0
	v_add_co_u32 v10, vcc_lo, s8, v6
	v_add_co_ci_u32_e64 v11, null, s9, v7, vcc_lo
	v_add_co_u32 v6, vcc_lo, s10, v6
	v_add_co_ci_u32_e64 v7, null, s11, v7, vcc_lo
	global_load_dwordx2 v[10:11], v[10:11], off
	global_load_dwordx2 v[6:7], v[6:7], off
	s_waitcnt vmcnt(0)
	v_add_f64 v[6:7], v[10:11], -v[6:7]
	v_add_f64 v[10:11], v[8:9], -v[6:7]
	v_lshlrev_b64 v[8:9], 3, v[0:1]
	v_add_nc_u32_e32 v0, s4, v0
	v_add_f64 v[2:3], v[2:3], v[6:7]
	v_add_co_u32 v12, vcc_lo, s8, v8
	v_add_co_ci_u32_e64 v13, null, s9, v9, vcc_lo
	v_add_co_u32 v8, vcc_lo, s10, v8
	v_add_co_ci_u32_e64 v9, null, s11, v9, vcc_lo
	global_load_dwordx2 v[12:13], v[12:13], off
	global_load_dwordx2 v[8:9], v[8:9], off
	s_waitcnt vmcnt(0)
	v_add_f64 v[8:9], v[12:13], -v[8:9]
	v_lshlrev_b64 v[12:13], 3, v[0:1]
	v_add_nc_u32_e32 v0, s5, v0
	v_add_co_u32 v14, vcc_lo, s8, v12
	v_add_co_ci_u32_e64 v15, null, s9, v13, vcc_lo
	v_add_co_u32 v12, vcc_lo, s10, v12
	v_add_co_ci_u32_e64 v13, null, s11, v13, vcc_lo
	global_load_dwordx2 v[14:15], v[14:15], off
	global_load_dwordx2 v[12:13], v[12:13], off
	v_add_f64 v[10:11], v[10:11], -v[8:9]
	v_add_f64 v[2:3], v[2:3], v[8:9]
	s_waitcnt vmcnt(0)
	v_add_f64 v[12:13], v[14:15], -v[12:13]
	v_add_f64 v[10:11], v[10:11], v[12:13]
	v_lshlrev_b64 v[12:13], 3, v[0:1]
	v_add_nc_u32_e32 v0, s4, v0
	v_add_co_u32 v14, vcc_lo, s8, v12
	v_add_co_ci_u32_e64 v15, null, s9, v13, vcc_lo
	v_add_co_u32 v12, vcc_lo, s10, v12
	v_add_co_ci_u32_e64 v13, null, s11, v13, vcc_lo
	global_load_dwordx2 v[14:15], v[14:15], off
	global_load_dwordx2 v[12:13], v[12:13], off
	s_waitcnt vmcnt(0)
	v_add_f64 v[12:13], v[14:15], -v[12:13]
	v_add_f64 v[12:13], v[10:11], -v[12:13]
	v_lshlrev_b64 v[10:11], 3, v[0:1]
	v_add_nc_u32_e32 v0, s2, v0
	v_add_co_u32 v14, vcc_lo, s8, v10
	v_add_co_ci_u32_e64 v15, null, s9, v11, vcc_lo
	v_add_co_u32 v10, vcc_lo, s10, v10
	v_add_co_ci_u32_e64 v11, null, s11, v11, vcc_lo
	global_load_dwordx2 v[14:15], v[14:15], off
	global_load_dwordx2 v[10:11], v[10:11], off
	s_waitcnt vmcnt(0)
	v_add_f64 v[10:11], v[14:15], -v[10:11]
	v_lshlrev_b64 v[14:15], 3, v[0:1]
	v_add_nc_u32_e32 v0, s4, v0
	v_add_co_u32 v16, vcc_lo, s8, v14
	v_add_co_ci_u32_e64 v17, null, s9, v15, vcc_lo
	v_add_co_u32 v14, vcc_lo, s10, v14
	v_add_co_ci_u32_e64 v15, null, s11, v15, vcc_lo
	global_load_dwordx2 v[16:17], v[16:17], off
	global_load_dwordx2 v[14:15], v[14:15], off
	v_add_f64 v[12:13], v[12:13], v[10:11]
	v_add_f64 v[2:3], v[2:3], -v[10:11]
	s_waitcnt vmcnt(0)
	v_add_f64 v[14:15], v[16:17], -v[14:15]
	v_add_f64 v[12:13], v[12:13], v[14:15]
	v_lshlrev_b64 v[14:15], 3, v[0:1]
	v_add_nc_u32_e32 v0, s2, v0
	v_add_co_u32 v16, vcc_lo, s8, v14
	v_add_co_ci_u32_e64 v17, null, s9, v15, vcc_lo
	v_add_co_u32 v14, vcc_lo, s10, v14
	v_add_co_ci_u32_e64 v15, null, s11, v15, vcc_lo
	global_load_dwordx2 v[16:17], v[16:17], off
	global_load_dwordx2 v[14:15], v[14:15], off
	s_waitcnt vmcnt(0)
	v_add_f64 v[14:15], v[16:17], -v[14:15]
	v_add_f64 v[12:13], v[12:13], v[14:15]
	v_lshlrev_b64 v[14:15], 3, v[0:1]
	v_add_nc_u32_e32 v0, s4, v0
	v_add_co_u32 v16, vcc_lo, s8, v14
	v_add_co_ci_u32_e64 v17, null, s9, v15, vcc_lo
	v_add_co_u32 v14, vcc_lo, s10, v14
	v_add_co_ci_u32_e64 v15, null, s11, v15, vcc_lo
	global_load_dwordx2 v[16:17], v[16:17], off
	global_load_dwordx2 v[14:15], v[14:15], off
	;; [unrolled: 11-line block ×3, first 2 shown]
	s_waitcnt vmcnt(0)
	v_add_f64 v[14:15], v[16:17], -v[14:15]
	v_add_f64 v[12:13], v[12:13], v[14:15]
	v_lshlrev_b64 v[14:15], 3, v[0:1]
	v_add_co_u32 v16, vcc_lo, s8, v14
	v_add_co_ci_u32_e64 v17, null, s9, v15, vcc_lo
	v_add_co_u32 v14, vcc_lo, s10, v14
	v_add_co_ci_u32_e64 v15, null, s11, v15, vcc_lo
	global_load_dwordx2 v[16:17], v[16:17], off
	global_load_dwordx2 v[14:15], v[14:15], off
	s_waitcnt vmcnt(0)
	v_add_f64 v[14:15], v[16:17], -v[14:15]
	v_add_f64 v[12:13], v[12:13], v[14:15]
	v_mad_u64_u32 v[14:15], null, s4, 9, v[0:1]
	v_mov_b32_e32 v15, v1
	v_lshlrev_b64 v[15:16], 3, v[14:15]
	v_add_nc_u32_e32 v0, s5, v14
	v_add_co_u32 v17, vcc_lo, s8, v15
	v_add_co_ci_u32_e64 v18, null, s9, v16, vcc_lo
	v_add_co_u32 v15, vcc_lo, s10, v15
	v_add_co_ci_u32_e64 v16, null, s11, v16, vcc_lo
	global_load_dwordx2 v[17:18], v[17:18], off
	global_load_dwordx2 v[15:16], v[15:16], off
	s_waitcnt vmcnt(0)
	v_add_f64 v[15:16], v[17:18], -v[15:16]
	v_add_f64 v[12:13], v[12:13], -v[15:16]
	v_lshlrev_b64 v[14:15], 3, v[0:1]
	v_add_nc_u32_e32 v0, s3, v0
	v_add_co_u32 v16, vcc_lo, s8, v14
	v_add_co_ci_u32_e64 v17, null, s9, v15, vcc_lo
	v_add_co_u32 v14, vcc_lo, s10, v14
	v_add_co_ci_u32_e64 v15, null, s11, v15, vcc_lo
	global_load_dwordx2 v[16:17], v[16:17], off
	global_load_dwordx2 v[14:15], v[14:15], off
	s_waitcnt vmcnt(0)
	v_add_f64 v[14:15], v[16:17], -v[14:15]
	v_add_f64 v[12:13], v[12:13], v[14:15]
	v_lshlrev_b64 v[14:15], 3, v[0:1]
	v_add_nc_u32_e32 v0, s4, v0
	v_add_co_u32 v16, vcc_lo, s8, v14
	v_add_co_ci_u32_e64 v17, null, s9, v15, vcc_lo
	v_add_co_u32 v14, vcc_lo, s10, v14
	v_add_co_ci_u32_e64 v15, null, s11, v15, vcc_lo
	global_load_dwordx2 v[16:17], v[16:17], off
	global_load_dwordx2 v[14:15], v[14:15], off
	s_waitcnt vmcnt(0)
	v_add_f64 v[14:15], v[16:17], -v[14:15]
	v_add_f64 v[12:13], v[12:13], v[14:15]
	;; [unrolled: 11-line block ×3, first 2 shown]
	v_lshlrev_b64 v[12:13], 3, v[0:1]
	v_add_co_u32 v16, vcc_lo, s8, v12
	v_add_co_ci_u32_e64 v17, null, s9, v13, vcc_lo
	v_add_co_u32 v12, vcc_lo, s10, v12
	v_add_co_ci_u32_e64 v13, null, s11, v13, vcc_lo
	global_load_dwordx2 v[16:17], v[16:17], off
	global_load_dwordx2 v[12:13], v[12:13], off
	s_waitcnt vmcnt(0)
	v_add_f64 v[12:13], v[16:17], -v[12:13]
	v_mad_u64_u32 v[16:17], null, s4, 18, v[0:1]
	v_mov_b32_e32 v17, v1
	v_lshlrev_b64 v[17:18], 3, v[16:17]
	v_add_nc_u32_e32 v0, s6, v16
	v_add_co_u32 v19, vcc_lo, s8, v17
	v_add_co_ci_u32_e64 v20, null, s9, v18, vcc_lo
	v_add_co_u32 v17, vcc_lo, s10, v17
	v_add_co_ci_u32_e64 v18, null, s11, v18, vcc_lo
	global_load_dwordx2 v[19:20], v[19:20], off
	v_add_f64 v[14:15], v[14:15], v[12:13]
	global_load_dwordx2 v[17:18], v[17:18], off
	s_waitcnt vmcnt(0)
	v_add_f64 v[17:18], v[19:20], -v[17:18]
	v_add_f64 v[14:15], v[14:15], v[17:18]
	v_lshlrev_b64 v[16:17], 3, v[0:1]
	v_add_co_u32 v18, vcc_lo, s8, v16
	v_add_co_ci_u32_e64 v19, null, s9, v17, vcc_lo
	v_add_co_u32 v16, vcc_lo, s10, v16
	v_add_co_ci_u32_e64 v17, null, s11, v17, vcc_lo
	global_load_dwordx2 v[18:19], v[18:19], off
	global_load_dwordx2 v[16:17], v[16:17], off
	s_waitcnt vmcnt(0)
	v_add_f64 v[16:17], v[18:19], -v[16:17]
	v_add_f64 v[14:15], v[14:15], v[16:17]
	v_mad_u64_u32 v[16:17], null, s4, 13, v[0:1]
	v_mov_b32_e32 v17, v1
	v_lshlrev_b64 v[17:18], 3, v[16:17]
	v_add_nc_u32_e32 v0, s4, v16
	v_add_co_u32 v19, vcc_lo, s8, v17
	v_add_co_ci_u32_e64 v20, null, s9, v18, vcc_lo
	v_add_co_u32 v17, vcc_lo, s10, v17
	v_add_co_ci_u32_e64 v18, null, s11, v18, vcc_lo
	global_load_dwordx2 v[19:20], v[19:20], off
	global_load_dwordx2 v[17:18], v[17:18], off
	s_waitcnt vmcnt(0)
	v_add_f64 v[17:18], v[19:20], -v[17:18]
	v_add_f64 v[14:15], v[14:15], v[17:18]
	v_lshlrev_b64 v[16:17], 3, v[0:1]
	v_add_nc_u32_e32 v0, s4, v0
	v_add_co_u32 v18, vcc_lo, s8, v16
	v_add_co_ci_u32_e64 v19, null, s9, v17, vcc_lo
	v_add_co_u32 v16, vcc_lo, s10, v16
	v_add_co_ci_u32_e64 v17, null, s11, v17, vcc_lo
	global_load_dwordx2 v[18:19], v[18:19], off
	global_load_dwordx2 v[16:17], v[16:17], off
	s_waitcnt vmcnt(0)
	v_add_f64 v[16:17], v[18:19], -v[16:17]
	v_add_f64 v[14:15], v[14:15], v[16:17]
	v_add_f64 v[14:15], v[16:17], v[14:15]
	v_lshlrev_b64 v[16:17], 3, v[0:1]
	v_add_nc_u32_e32 v0, s4, v0
	v_add_co_u32 v18, vcc_lo, s8, v16
	v_add_co_ci_u32_e64 v19, null, s9, v17, vcc_lo
	v_add_co_u32 v16, vcc_lo, s10, v16
	v_add_co_ci_u32_e64 v17, null, s11, v17, vcc_lo
	global_load_dwordx2 v[18:19], v[18:19], off
	global_load_dwordx2 v[16:17], v[16:17], off
	s_waitcnt vmcnt(0)
	v_add_f64 v[16:17], v[18:19], -v[16:17]
	v_add_f64 v[14:15], v[14:15], v[16:17]
	;; [unrolled: 12-line block ×3, first 2 shown]
	v_lshlrev_b64 v[16:17], 3, v[0:1]
	v_add_nc_u32_e32 v0, s4, v0
	v_add_co_u32 v18, vcc_lo, s8, v16
	v_add_co_ci_u32_e64 v19, null, s9, v17, vcc_lo
	v_add_co_u32 v16, vcc_lo, s10, v16
	v_add_co_ci_u32_e64 v17, null, s11, v17, vcc_lo
	global_load_dwordx2 v[18:19], v[18:19], off
	global_load_dwordx2 v[16:17], v[16:17], off
	s_waitcnt vmcnt(0)
	v_add_f64 v[16:17], v[18:19], -v[16:17]
	v_add_f64 v[14:15], v[14:15], v[16:17]
	v_lshlrev_b64 v[16:17], 3, v[0:1]
	v_add_nc_u32_e32 v0, s3, v0
	v_add_co_u32 v18, vcc_lo, s8, v16
	v_add_co_ci_u32_e64 v19, null, s9, v17, vcc_lo
	v_add_co_u32 v16, vcc_lo, s10, v16
	v_add_co_ci_u32_e64 v17, null, s11, v17, vcc_lo
	global_load_dwordx2 v[18:19], v[18:19], off
	global_load_dwordx2 v[16:17], v[16:17], off
	s_waitcnt vmcnt(0)
	v_add_f64 v[16:17], v[18:19], -v[16:17]
	v_add_f64 v[14:15], v[14:15], v[16:17]
	v_add_f64 v[14:15], v[16:17], v[14:15]
	v_lshlrev_b64 v[16:17], 3, v[0:1]
	v_add_nc_u32_e32 v0, s2, v0
	s_mul_i32 s2, s4, 10
	v_add_co_u32 v18, vcc_lo, s8, v16
	v_add_co_ci_u32_e64 v19, null, s9, v17, vcc_lo
	v_add_co_u32 v16, vcc_lo, s10, v16
	v_add_co_ci_u32_e64 v17, null, s11, v17, vcc_lo
	global_load_dwordx2 v[18:19], v[18:19], off
	global_load_dwordx2 v[16:17], v[16:17], off
	s_waitcnt vmcnt(0)
	v_add_f64 v[16:17], v[18:19], -v[16:17]
	v_add_f64 v[14:15], v[14:15], v[16:17]
	v_lshlrev_b64 v[16:17], 3, v[0:1]
	v_add_nc_u32_e32 v0, s4, v0
	v_add_co_u32 v18, vcc_lo, s8, v16
	v_add_co_ci_u32_e64 v19, null, s9, v17, vcc_lo
	v_add_co_u32 v16, vcc_lo, s10, v16
	v_add_co_ci_u32_e64 v17, null, s11, v17, vcc_lo
	global_load_dwordx2 v[18:19], v[18:19], off
	global_load_dwordx2 v[16:17], v[16:17], off
	s_waitcnt vmcnt(0)
	v_add_f64 v[16:17], v[18:19], -v[16:17]
	v_add_f64 v[14:15], v[14:15], v[16:17]
	v_lshlrev_b64 v[16:17], 3, v[0:1]
	v_add_co_u32 v18, vcc_lo, s8, v16
	v_add_co_ci_u32_e64 v19, null, s9, v17, vcc_lo
	v_add_co_u32 v16, vcc_lo, s10, v16
	v_add_co_ci_u32_e64 v17, null, s11, v17, vcc_lo
	global_load_dwordx2 v[18:19], v[18:19], off
	global_load_dwordx2 v[16:17], v[16:17], off
	s_waitcnt vmcnt(0)
	v_add_f64 v[16:17], v[18:19], -v[16:17]
	v_add_f64 v[14:15], v[14:15], v[16:17]
	v_mad_u64_u32 v[16:17], null, s4, 3, v[0:1]
	v_mov_b32_e32 v17, v1
	v_lshlrev_b64 v[17:18], 3, v[16:17]
	v_add_nc_u32_e32 v0, s5, v16
	v_add_co_u32 v19, vcc_lo, s8, v17
	v_add_co_ci_u32_e64 v20, null, s9, v18, vcc_lo
	v_add_co_u32 v17, vcc_lo, s10, v17
	v_add_co_ci_u32_e64 v18, null, s11, v18, vcc_lo
	global_load_dwordx2 v[19:20], v[19:20], off
	global_load_dwordx2 v[17:18], v[17:18], off
	s_waitcnt vmcnt(0)
	v_add_f64 v[17:18], v[19:20], -v[17:18]
	v_add_f64 v[14:15], v[14:15], v[17:18]
	v_lshlrev_b64 v[16:17], 3, v[0:1]
	v_add_nc_u32_e32 v0, s7, v0
	v_add_co_u32 v18, vcc_lo, s8, v16
	v_add_co_ci_u32_e64 v19, null, s9, v17, vcc_lo
	v_add_co_u32 v16, vcc_lo, s10, v16
	v_add_co_ci_u32_e64 v17, null, s11, v17, vcc_lo
	global_load_dwordx2 v[18:19], v[18:19], off
	global_load_dwordx2 v[16:17], v[16:17], off
	s_waitcnt vmcnt(0)
	v_add_f64 v[16:17], v[18:19], -v[16:17]
	v_add_f64 v[14:15], v[14:15], v[16:17]
	;; [unrolled: 11-line block ×6, first 2 shown]
	v_lshlrev_b64 v[16:17], 3, v[0:1]
	v_add_co_u32 v18, vcc_lo, s8, v16
	v_add_co_ci_u32_e64 v19, null, s9, v17, vcc_lo
	v_add_co_u32 v16, vcc_lo, s10, v16
	v_add_co_ci_u32_e64 v17, null, s11, v17, vcc_lo
	global_load_dwordx2 v[18:19], v[18:19], off
	global_load_dwordx2 v[16:17], v[16:17], off
	s_waitcnt vmcnt(0)
	v_add_f64 v[16:17], v[18:19], -v[16:17]
	v_add_f64 v[14:15], v[14:15], v[16:17]
	v_mad_u64_u32 v[16:17], null, s4, 15, v[0:1]
	v_mov_b32_e32 v17, v1
	v_lshlrev_b64 v[17:18], 3, v[16:17]
	v_add_nc_u32_e32 v0, s2, v16
	s_load_dwordx4 s[0:3], s[0:1], 0x50
	v_add_co_u32 v19, vcc_lo, s8, v17
	v_add_co_ci_u32_e64 v20, null, s9, v18, vcc_lo
	v_add_co_u32 v17, vcc_lo, s10, v17
	v_add_co_ci_u32_e64 v18, null, s11, v18, vcc_lo
	global_load_dwordx2 v[19:20], v[19:20], off
	global_load_dwordx2 v[17:18], v[17:18], off
	s_waitcnt vmcnt(0)
	v_add_f64 v[17:18], v[19:20], -v[17:18]
	v_add_f64 v[14:15], v[14:15], v[17:18]
	v_lshlrev_b64 v[16:17], 3, v[0:1]
	v_add_co_u32 v18, vcc_lo, s8, v16
	v_add_co_ci_u32_e64 v19, null, s9, v17, vcc_lo
	v_add_co_u32 v16, vcc_lo, s10, v16
	v_add_co_ci_u32_e64 v17, null, s11, v17, vcc_lo
	global_load_dwordx2 v[18:19], v[18:19], off
	global_load_dwordx2 v[16:17], v[16:17], off
	s_waitcnt vmcnt(0)
	v_add_f64 v[16:17], v[18:19], -v[16:17]
	v_add_f64 v[14:15], v[14:15], v[16:17]
	v_mad_u64_u32 v[16:17], null, 0xffffff4e, s4, v[0:1]
	v_mov_b32_e32 v17, v1
	v_mad_u64_u32 v[4:5], null, s4, 33, v[16:17]
	v_mov_b32_e32 v5, v1
	v_lshlrev_b64 v[18:19], 3, v[16:17]
	v_lshlrev_b64 v[5:6], 3, v[4:5]
	v_add_co_u32 v18, vcc_lo, s12, v18
	v_add_co_ci_u32_e64 v19, null, s13, v19, vcc_lo
	v_add_nc_u32_e32 v0, s7, v4
	v_add_co_u32 v7, vcc_lo, s8, v5
	v_add_co_ci_u32_e64 v8, null, s9, v6, vcc_lo
	v_add_co_u32 v5, vcc_lo, s10, v5
	v_add_co_ci_u32_e64 v6, null, s11, v6, vcc_lo
	global_load_dwordx2 v[7:8], v[7:8], off
	v_mul_f64 v[14:15], s[14:15], v[14:15]
	global_load_dwordx2 v[5:6], v[5:6], off
	s_waitcnt lgkmcnt(0)
	v_mul_f64 v[14:15], s[0:1], v[14:15]
	global_store_dwordx2 v[18:19], v[14:15], off
	s_waitcnt vmcnt(0)
	v_add_f64 v[5:6], v[7:8], -v[5:6]
	v_add_f64 v[2:3], v[2:3], v[5:6]
	v_lshlrev_b64 v[4:5], 3, v[0:1]
	v_add_co_u32 v6, vcc_lo, s8, v4
	v_add_co_ci_u32_e64 v7, null, s9, v5, vcc_lo
	v_add_co_u32 v4, vcc_lo, s10, v4
	v_add_co_ci_u32_e64 v5, null, s11, v5, vcc_lo
	global_load_dwordx2 v[6:7], v[6:7], off
	global_load_dwordx2 v[4:5], v[4:5], off
	s_waitcnt vmcnt(0)
	v_add_f64 v[4:5], v[6:7], -v[4:5]
	v_add_f64 v[2:3], v[2:3], v[4:5]
	v_mad_u64_u32 v[4:5], null, 0x49, s4, v[0:1]
	v_mov_b32_e32 v5, v1
	v_lshlrev_b64 v[5:6], 3, v[4:5]
	v_add_nc_u32_e32 v0, s5, v4
	v_add_co_u32 v7, vcc_lo, s8, v5
	v_add_co_ci_u32_e64 v8, null, s9, v6, vcc_lo
	v_add_co_u32 v5, vcc_lo, s10, v5
	v_add_co_ci_u32_e64 v6, null, s11, v6, vcc_lo
	global_load_dwordx2 v[7:8], v[7:8], off
	v_add_f64 v[2:3], v[2:3], -v[12:13]
	global_load_dwordx2 v[5:6], v[5:6], off
	s_waitcnt vmcnt(0)
	v_add_f64 v[5:6], v[7:8], -v[5:6]
	v_add_f64 v[2:3], v[2:3], v[5:6]
	v_lshlrev_b64 v[4:5], 3, v[0:1]
	v_add_co_u32 v6, vcc_lo, s8, v4
	v_add_co_ci_u32_e64 v7, null, s9, v5, vcc_lo
	v_add_co_u32 v4, vcc_lo, s10, v4
	v_add_co_ci_u32_e64 v5, null, s11, v5, vcc_lo
	global_load_dwordx2 v[6:7], v[6:7], off
	global_load_dwordx2 v[4:5], v[4:5], off
	s_waitcnt vmcnt(0)
	v_add_f64 v[4:5], v[6:7], -v[4:5]
	v_add_f64 v[2:3], v[2:3], v[4:5]
	v_mad_u64_u32 v[4:5], null, 0xffffff8a, s4, v[0:1]
	v_mov_b32_e32 v5, v1
	v_lshlrev_b64 v[0:1], 3, v[4:5]
	v_add_co_u32 v0, vcc_lo, s12, v0
	v_add_co_ci_u32_e64 v1, null, s13, v1, vcc_lo
	v_mul_f64 v[2:3], s[14:15], v[2:3]
	v_mul_f64 v[2:3], s[2:3], v[2:3]
	global_store_dwordx2 v[0:1], v[2:3], off
	s_endpgm
	.section	.rodata,"a",@progbits
	.p2align	6, 0x0
	.amdhsa_kernel _Z14rdwdot6_kernelIdEvPKT_S2_PS0_S0_S2_
		.amdhsa_group_segment_fixed_size 0
		.amdhsa_private_segment_fixed_size 0
		.amdhsa_kernarg_size 296
		.amdhsa_user_sgpr_count 6
		.amdhsa_user_sgpr_private_segment_buffer 1
		.amdhsa_user_sgpr_dispatch_ptr 0
		.amdhsa_user_sgpr_queue_ptr 0
		.amdhsa_user_sgpr_kernarg_segment_ptr 1
		.amdhsa_user_sgpr_dispatch_id 0
		.amdhsa_user_sgpr_flat_scratch_init 0
		.amdhsa_user_sgpr_private_segment_size 0
		.amdhsa_wavefront_size32 1
		.amdhsa_uses_dynamic_stack 0
		.amdhsa_system_sgpr_private_segment_wavefront_offset 0
		.amdhsa_system_sgpr_workgroup_id_x 1
		.amdhsa_system_sgpr_workgroup_id_y 0
		.amdhsa_system_sgpr_workgroup_id_z 0
		.amdhsa_system_sgpr_workgroup_info 0
		.amdhsa_system_vgpr_workitem_id 0
		.amdhsa_next_free_vgpr 21
		.amdhsa_next_free_sgpr 16
		.amdhsa_reserve_vcc 1
		.amdhsa_reserve_flat_scratch 0
		.amdhsa_float_round_mode_32 0
		.amdhsa_float_round_mode_16_64 0
		.amdhsa_float_denorm_mode_32 3
		.amdhsa_float_denorm_mode_16_64 3
		.amdhsa_dx10_clamp 1
		.amdhsa_ieee_mode 1
		.amdhsa_fp16_overflow 0
		.amdhsa_workgroup_processor_mode 1
		.amdhsa_memory_ordered 1
		.amdhsa_forward_progress 1
		.amdhsa_shared_vgpr_count 0
		.amdhsa_exception_fp_ieee_invalid_op 0
		.amdhsa_exception_fp_denorm_src 0
		.amdhsa_exception_fp_ieee_div_zero 0
		.amdhsa_exception_fp_ieee_overflow 0
		.amdhsa_exception_fp_ieee_underflow 0
		.amdhsa_exception_fp_ieee_inexact 0
		.amdhsa_exception_int_div_zero 0
	.end_amdhsa_kernel
	.section	.text._Z14rdwdot6_kernelIdEvPKT_S2_PS0_S0_S2_,"axG",@progbits,_Z14rdwdot6_kernelIdEvPKT_S2_PS0_S0_S2_,comdat
.Lfunc_end49:
	.size	_Z14rdwdot6_kernelIdEvPKT_S2_PS0_S0_S2_, .Lfunc_end49-_Z14rdwdot6_kernelIdEvPKT_S2_PS0_S0_S2_
                                        ; -- End function
	.set _Z14rdwdot6_kernelIdEvPKT_S2_PS0_S0_S2_.num_vgpr, 21
	.set _Z14rdwdot6_kernelIdEvPKT_S2_PS0_S0_S2_.num_agpr, 0
	.set _Z14rdwdot6_kernelIdEvPKT_S2_PS0_S0_S2_.numbered_sgpr, 16
	.set _Z14rdwdot6_kernelIdEvPKT_S2_PS0_S0_S2_.num_named_barrier, 0
	.set _Z14rdwdot6_kernelIdEvPKT_S2_PS0_S0_S2_.private_seg_size, 0
	.set _Z14rdwdot6_kernelIdEvPKT_S2_PS0_S0_S2_.uses_vcc, 1
	.set _Z14rdwdot6_kernelIdEvPKT_S2_PS0_S0_S2_.uses_flat_scratch, 0
	.set _Z14rdwdot6_kernelIdEvPKT_S2_PS0_S0_S2_.has_dyn_sized_stack, 0
	.set _Z14rdwdot6_kernelIdEvPKT_S2_PS0_S0_S2_.has_recursion, 0
	.set _Z14rdwdot6_kernelIdEvPKT_S2_PS0_S0_S2_.has_indirect_call, 0
	.section	.AMDGPU.csdata,"",@progbits
; Kernel info:
; codeLenInByte = 3712
; TotalNumSgprs: 18
; NumVgprs: 21
; ScratchSize: 0
; MemoryBound: 0
; FloatMode: 240
; IeeeMode: 1
; LDSByteSize: 0 bytes/workgroup (compile time only)
; SGPRBlocks: 0
; VGPRBlocks: 2
; NumSGPRsForWavesPerEU: 18
; NumVGPRsForWavesPerEU: 21
; Occupancy: 16
; WaveLimiterHint : 0
; COMPUTE_PGM_RSRC2:SCRATCH_EN: 0
; COMPUTE_PGM_RSRC2:USER_SGPR: 6
; COMPUTE_PGM_RSRC2:TRAP_HANDLER: 0
; COMPUTE_PGM_RSRC2:TGID_X_EN: 1
; COMPUTE_PGM_RSRC2:TGID_Y_EN: 0
; COMPUTE_PGM_RSRC2:TGID_Z_EN: 0
; COMPUTE_PGM_RSRC2:TIDIG_COMP_CNT: 0
	.section	.text._Z14rdwdot7_kernelIdEvPKT_S2_PS0_S0_S2_,"axG",@progbits,_Z14rdwdot7_kernelIdEvPKT_S2_PS0_S0_S2_,comdat
	.protected	_Z14rdwdot7_kernelIdEvPKT_S2_PS0_S0_S2_ ; -- Begin function _Z14rdwdot7_kernelIdEvPKT_S2_PS0_S0_S2_
	.globl	_Z14rdwdot7_kernelIdEvPKT_S2_PS0_S0_S2_
	.p2align	8
	.type	_Z14rdwdot7_kernelIdEvPKT_S2_PS0_S0_S2_,@function
_Z14rdwdot7_kernelIdEvPKT_S2_PS0_S0_S2_: ; @_Z14rdwdot7_kernelIdEvPKT_S2_PS0_S0_S2_
; %bb.0:
	s_clause 0x3
	s_load_dwordx8 s[8:15], s[4:5], 0x0
	s_load_dwordx2 s[0:1], s[4:5], 0x20
	s_load_dword s2, s[4:5], 0x28
	s_load_dword s3, s[4:5], 0x34
	v_mov_b32_e32 v1, 0
	s_waitcnt lgkmcnt(0)
	s_and_b32 s3, s3, 0xffff
	s_mul_i32 s4, s2, s3
	s_mul_i32 s6, s6, s3
	;; [unrolled: 1-line block ×3, first 2 shown]
	s_lshl_b32 s3, s4, 1
	v_add3_u32 v0, s2, s6, v0
	s_mul_i32 s2, s4, 5
	s_mul_i32 s5, s4, 7
	s_lshl_b32 s6, s4, 3
	v_lshlrev_b64 v[2:3], 3, v[0:1]
	v_add_nc_u32_e32 v0, s4, v0
	v_add_co_u32 v4, vcc_lo, s8, v2
	v_add_co_ci_u32_e64 v5, null, s9, v3, vcc_lo
	v_add_co_u32 v2, vcc_lo, s10, v2
	v_add_co_ci_u32_e64 v3, null, s11, v3, vcc_lo
	global_load_dwordx2 v[4:5], v[4:5], off
	global_load_dwordx2 v[2:3], v[2:3], off
	s_waitcnt vmcnt(0)
	v_add_f64 v[2:3], v[4:5], -v[2:3]
	v_lshlrev_b64 v[4:5], 3, v[0:1]
	v_add_co_u32 v6, vcc_lo, s8, v4
	v_add_co_ci_u32_e64 v7, null, s9, v5, vcc_lo
	v_add_co_u32 v4, vcc_lo, s10, v4
	v_add_co_ci_u32_e64 v5, null, s11, v5, vcc_lo
	global_load_dwordx2 v[6:7], v[6:7], off
	global_load_dwordx2 v[4:5], v[4:5], off
	s_waitcnt vmcnt(0)
	v_add_f64 v[4:5], v[6:7], -v[4:5]
	v_add_f64 v[2:3], v[2:3], v[4:5]
	v_mad_u64_u32 v[4:5], null, s4, 15, v[0:1]
	v_mov_b32_e32 v5, v1
	v_lshlrev_b64 v[5:6], 3, v[4:5]
	v_add_co_u32 v7, vcc_lo, s8, v5
	v_add_co_ci_u32_e64 v8, null, s9, v6, vcc_lo
	v_add_co_u32 v5, vcc_lo, s10, v5
	v_add_co_ci_u32_e64 v6, null, s11, v6, vcc_lo
	global_load_dwordx2 v[7:8], v[7:8], off
	global_load_dwordx2 v[5:6], v[5:6], off
	s_waitcnt vmcnt(0)
	v_add_f64 v[5:6], v[7:8], -v[5:6]
	v_add_f64 v[5:6], v[2:3], v[5:6]
	v_mad_u64_u32 v[7:8], null, s4, 14, v[4:5]
	v_mov_b32_e32 v8, v1
	v_lshlrev_b64 v[2:3], 3, v[7:8]
	v_add_nc_u32_e32 v0, s4, v7
	v_add_co_u32 v8, vcc_lo, s8, v2
	v_add_co_ci_u32_e64 v9, null, s9, v3, vcc_lo
	v_add_co_u32 v2, vcc_lo, s10, v2
	v_add_co_ci_u32_e64 v3, null, s11, v3, vcc_lo
	global_load_dwordx2 v[8:9], v[8:9], off
	global_load_dwordx2 v[2:3], v[2:3], off
	s_waitcnt vmcnt(0)
	v_add_f64 v[2:3], v[8:9], -v[2:3]
	v_add_f64 v[4:5], v[5:6], -v[2:3]
	v_lshlrev_b64 v[6:7], 3, v[0:1]
	v_add_nc_u32_e32 v0, s4, v0
	v_add_co_u32 v8, vcc_lo, s8, v6
	v_add_co_ci_u32_e64 v9, null, s9, v7, vcc_lo
	v_add_co_u32 v6, vcc_lo, s10, v6
	v_add_co_ci_u32_e64 v7, null, s11, v7, vcc_lo
	global_load_dwordx2 v[8:9], v[8:9], off
	global_load_dwordx2 v[6:7], v[6:7], off
	s_waitcnt vmcnt(0)
	v_add_f64 v[6:7], v[8:9], -v[6:7]
	v_add_f64 v[4:5], v[4:5], -v[6:7]
	;; [unrolled: 11-line block ×6, first 2 shown]
	v_lshlrev_b64 v[4:5], 3, v[0:1]
	v_add_nc_u32_e32 v0, s4, v0
	v_add_co_u32 v8, vcc_lo, s8, v4
	v_add_co_ci_u32_e64 v9, null, s9, v5, vcc_lo
	v_add_co_u32 v4, vcc_lo, s10, v4
	v_add_co_ci_u32_e64 v5, null, s11, v5, vcc_lo
	global_load_dwordx2 v[8:9], v[8:9], off
	global_load_dwordx2 v[4:5], v[4:5], off
	s_waitcnt vmcnt(0)
	v_add_f64 v[4:5], v[8:9], -v[4:5]
	v_lshlrev_b64 v[8:9], 3, v[0:1]
	v_add_nc_u32_e32 v0, s4, v0
	v_add_co_u32 v10, vcc_lo, s8, v8
	v_add_co_ci_u32_e64 v11, null, s9, v9, vcc_lo
	v_add_co_u32 v8, vcc_lo, s10, v8
	v_add_co_ci_u32_e64 v9, null, s11, v9, vcc_lo
	global_load_dwordx2 v[10:11], v[10:11], off
	global_load_dwordx2 v[8:9], v[8:9], off
	v_add_f64 v[6:7], v[6:7], -v[4:5]
	v_add_f64 v[2:3], v[2:3], v[4:5]
	s_waitcnt vmcnt(0)
	v_add_f64 v[8:9], v[10:11], -v[8:9]
	v_add_f64 v[8:9], v[6:7], -v[8:9]
	v_lshlrev_b64 v[6:7], 3, v[0:1]
	v_add_nc_u32_e32 v0, s4, v0
	v_add_co_u32 v10, vcc_lo, s8, v6
	v_add_co_ci_u32_e64 v11, null, s9, v7, vcc_lo
	v_add_co_u32 v6, vcc_lo, s10, v6
	v_add_co_ci_u32_e64 v7, null, s11, v7, vcc_lo
	global_load_dwordx2 v[10:11], v[10:11], off
	global_load_dwordx2 v[6:7], v[6:7], off
	s_waitcnt vmcnt(0)
	v_add_f64 v[6:7], v[10:11], -v[6:7]
	v_lshlrev_b64 v[10:11], 3, v[0:1]
	v_add_nc_u32_e32 v0, s4, v0
	v_add_co_u32 v12, vcc_lo, s8, v10
	v_add_co_ci_u32_e64 v13, null, s9, v11, vcc_lo
	v_add_co_u32 v10, vcc_lo, s10, v10
	v_add_co_ci_u32_e64 v11, null, s11, v11, vcc_lo
	global_load_dwordx2 v[12:13], v[12:13], off
	global_load_dwordx2 v[10:11], v[10:11], off
	v_add_f64 v[8:9], v[8:9], -v[6:7]
	v_add_f64 v[2:3], v[2:3], v[6:7]
	s_waitcnt vmcnt(0)
	v_add_f64 v[10:11], v[12:13], -v[10:11]
	v_add_f64 v[10:11], v[8:9], -v[10:11]
	;; [unrolled: 23-line block ×4, first 2 shown]
	v_lshlrev_b64 v[14:15], 3, v[0:1]
	v_add_nc_u32_e32 v0, s4, v0
	v_add_co_u32 v16, vcc_lo, s8, v14
	v_add_co_ci_u32_e64 v17, null, s9, v15, vcc_lo
	v_add_co_u32 v14, vcc_lo, s10, v14
	v_add_co_ci_u32_e64 v15, null, s11, v15, vcc_lo
	global_load_dwordx2 v[16:17], v[16:17], off
	global_load_dwordx2 v[14:15], v[14:15], off
	s_waitcnt vmcnt(0)
	v_add_f64 v[14:15], v[16:17], -v[14:15]
	v_add_f64 v[12:13], v[12:13], -v[14:15]
	v_lshlrev_b64 v[14:15], 3, v[0:1]
	v_add_nc_u32_e32 v0, s4, v0
	v_add_co_u32 v16, vcc_lo, s8, v14
	v_add_co_ci_u32_e64 v17, null, s9, v15, vcc_lo
	v_add_co_u32 v14, vcc_lo, s10, v14
	v_add_co_ci_u32_e64 v15, null, s11, v15, vcc_lo
	global_load_dwordx2 v[16:17], v[16:17], off
	global_load_dwordx2 v[14:15], v[14:15], off
	s_waitcnt vmcnt(0)
	v_add_f64 v[14:15], v[16:17], -v[14:15]
	v_add_f64 v[12:13], v[12:13], -v[14:15]
	v_add_f64 v[12:13], v[12:13], -v[14:15]
	v_lshlrev_b64 v[14:15], 3, v[0:1]
	v_add_nc_u32_e32 v0, s4, v0
	v_add_co_u32 v16, vcc_lo, s8, v14
	v_add_co_ci_u32_e64 v17, null, s9, v15, vcc_lo
	v_add_co_u32 v14, vcc_lo, s10, v14
	v_add_co_ci_u32_e64 v15, null, s11, v15, vcc_lo
	global_load_dwordx2 v[16:17], v[16:17], off
	global_load_dwordx2 v[14:15], v[14:15], off
	s_waitcnt vmcnt(0)
	v_add_f64 v[14:15], v[16:17], -v[14:15]
	v_add_f64 v[12:13], v[12:13], -v[14:15]
	v_add_f64 v[12:13], v[12:13], -v[14:15]
	v_lshlrev_b64 v[14:15], 3, v[0:1]
	v_add_nc_u32_e32 v0, s3, v0
	v_add_co_u32 v16, vcc_lo, s8, v14
	v_add_co_ci_u32_e64 v17, null, s9, v15, vcc_lo
	v_add_co_u32 v14, vcc_lo, s10, v14
	v_add_co_ci_u32_e64 v15, null, s11, v15, vcc_lo
	global_load_dwordx2 v[16:17], v[16:17], off
	global_load_dwordx2 v[14:15], v[14:15], off
	s_waitcnt vmcnt(0)
	v_add_f64 v[14:15], v[16:17], -v[14:15]
	v_add_f64 v[12:13], v[12:13], -v[14:15]
	v_lshlrev_b64 v[14:15], 3, v[0:1]
	v_add_nc_u32_e32 v0, s2, v0
	v_add_co_u32 v16, vcc_lo, s8, v14
	v_add_co_ci_u32_e64 v17, null, s9, v15, vcc_lo
	v_add_co_u32 v14, vcc_lo, s10, v14
	v_add_co_ci_u32_e64 v15, null, s11, v15, vcc_lo
	global_load_dwordx2 v[16:17], v[16:17], off
	global_load_dwordx2 v[14:15], v[14:15], off
	s_waitcnt vmcnt(0)
	v_add_f64 v[14:15], v[16:17], -v[14:15]
	v_add_f64 v[14:15], v[12:13], v[14:15]
	v_lshlrev_b64 v[12:13], 3, v[0:1]
	v_add_nc_u32_e32 v0, s4, v0
	v_add_co_u32 v16, vcc_lo, s8, v12
	v_add_co_ci_u32_e64 v17, null, s9, v13, vcc_lo
	v_add_co_u32 v12, vcc_lo, s10, v12
	v_add_co_ci_u32_e64 v13, null, s11, v13, vcc_lo
	global_load_dwordx2 v[16:17], v[16:17], off
	global_load_dwordx2 v[12:13], v[12:13], off
	s_waitcnt vmcnt(0)
	v_add_f64 v[12:13], v[16:17], -v[12:13]
	v_add_f64 v[16:17], v[14:15], v[12:13]
	v_lshlrev_b64 v[14:15], 3, v[0:1]
	v_add_nc_u32_e32 v0, s4, v0
	v_add_f64 v[2:3], v[2:3], -v[12:13]
	v_add_co_u32 v18, vcc_lo, s8, v14
	v_add_co_ci_u32_e64 v19, null, s9, v15, vcc_lo
	v_add_co_u32 v14, vcc_lo, s10, v14
	v_add_co_ci_u32_e64 v15, null, s11, v15, vcc_lo
	global_load_dwordx2 v[18:19], v[18:19], off
	global_load_dwordx2 v[14:15], v[14:15], off
	s_waitcnt vmcnt(0)
	v_add_f64 v[14:15], v[18:19], -v[14:15]
	v_lshlrev_b64 v[18:19], 3, v[0:1]
	v_add_nc_u32_e32 v0, s3, v0
	v_add_co_u32 v20, vcc_lo, s8, v18
	v_add_co_ci_u32_e64 v21, null, s9, v19, vcc_lo
	v_add_co_u32 v18, vcc_lo, s10, v18
	v_add_co_ci_u32_e64 v19, null, s11, v19, vcc_lo
	global_load_dwordx2 v[20:21], v[20:21], off
	global_load_dwordx2 v[18:19], v[18:19], off
	v_add_f64 v[16:17], v[16:17], v[14:15]
	v_add_f64 v[2:3], v[2:3], -v[14:15]
	s_waitcnt vmcnt(0)
	v_add_f64 v[18:19], v[20:21], -v[18:19]
	v_add_f64 v[20:21], v[16:17], v[18:19]
	v_lshlrev_b64 v[16:17], 3, v[0:1]
	v_add_nc_u32_e32 v0, s4, v0
	v_add_f64 v[2:3], v[2:3], -v[18:19]
	v_add_co_u32 v22, vcc_lo, s8, v16
	v_add_co_ci_u32_e64 v23, null, s9, v17, vcc_lo
	v_add_co_u32 v16, vcc_lo, s10, v16
	v_add_co_ci_u32_e64 v17, null, s11, v17, vcc_lo
	global_load_dwordx2 v[22:23], v[22:23], off
	global_load_dwordx2 v[16:17], v[16:17], off
	s_waitcnt vmcnt(0)
	v_add_f64 v[16:17], v[22:23], -v[16:17]
	v_add_f64 v[20:21], v[20:21], v[16:17]
	v_add_f64 v[22:23], v[16:17], v[20:21]
	v_lshlrev_b64 v[20:21], 3, v[0:1]
	v_add_co_u32 v24, vcc_lo, s8, v20
	v_add_co_ci_u32_e64 v25, null, s9, v21, vcc_lo
	v_add_co_u32 v20, vcc_lo, s10, v20
	v_add_co_ci_u32_e64 v21, null, s11, v21, vcc_lo
	global_load_dwordx2 v[24:25], v[24:25], off
	global_load_dwordx2 v[20:21], v[20:21], off
	s_waitcnt vmcnt(0)
	v_add_f64 v[20:21], v[24:25], -v[20:21]
	v_mad_u64_u32 v[24:25], null, s4, 12, v[0:1]
	v_mov_b32_e32 v25, v1
	v_lshlrev_b64 v[25:26], 3, v[24:25]
	v_add_nc_u32_e32 v0, s3, v24
	v_add_co_u32 v27, vcc_lo, s8, v25
	v_add_co_ci_u32_e64 v28, null, s9, v26, vcc_lo
	v_add_co_u32 v25, vcc_lo, s10, v25
	v_add_co_ci_u32_e64 v26, null, s11, v26, vcc_lo
	global_load_dwordx2 v[27:28], v[27:28], off
	v_add_f64 v[22:23], v[22:23], v[20:21]
	global_load_dwordx2 v[25:26], v[25:26], off
	v_add_f64 v[22:23], v[20:21], v[22:23]
	s_waitcnt vmcnt(0)
	v_add_f64 v[25:26], v[27:28], -v[25:26]
	v_add_f64 v[22:23], v[22:23], v[25:26]
	v_lshlrev_b64 v[24:25], 3, v[0:1]
	v_add_nc_u32_e32 v0, s5, v0
	v_add_co_u32 v26, vcc_lo, s8, v24
	v_add_co_ci_u32_e64 v27, null, s9, v25, vcc_lo
	v_add_co_u32 v24, vcc_lo, s10, v24
	v_add_co_ci_u32_e64 v25, null, s11, v25, vcc_lo
	global_load_dwordx2 v[26:27], v[26:27], off
	global_load_dwordx2 v[24:25], v[24:25], off
	s_waitcnt vmcnt(0)
	v_add_f64 v[24:25], v[26:27], -v[24:25]
	v_add_f64 v[22:23], v[22:23], -v[24:25]
	v_lshlrev_b64 v[24:25], 3, v[0:1]
	v_add_nc_u32_e32 v0, s6, v0
	v_add_co_u32 v26, vcc_lo, s8, v24
	v_add_co_ci_u32_e64 v27, null, s9, v25, vcc_lo
	v_add_co_u32 v24, vcc_lo, s10, v24
	v_add_co_ci_u32_e64 v25, null, s11, v25, vcc_lo
	global_load_dwordx2 v[26:27], v[26:27], off
	global_load_dwordx2 v[24:25], v[24:25], off
	s_waitcnt vmcnt(0)
	v_add_f64 v[24:25], v[26:27], -v[24:25]
	v_add_f64 v[22:23], v[22:23], v[24:25]
	v_lshlrev_b64 v[24:25], 3, v[0:1]
	v_add_nc_u32_e32 v0, s6, v0
	s_mul_i32 s6, s4, 6
	v_add_co_u32 v26, vcc_lo, s8, v24
	v_add_co_ci_u32_e64 v27, null, s9, v25, vcc_lo
	v_add_co_u32 v24, vcc_lo, s10, v24
	v_add_co_ci_u32_e64 v25, null, s11, v25, vcc_lo
	global_load_dwordx2 v[26:27], v[26:27], off
	global_load_dwordx2 v[24:25], v[24:25], off
	s_waitcnt vmcnt(0)
	v_add_f64 v[24:25], v[26:27], -v[24:25]
	v_add_f64 v[24:25], v[22:23], v[24:25]
	v_lshlrev_b64 v[22:23], 3, v[0:1]
	v_add_nc_u32_e32 v0, s4, v0
	v_add_co_u32 v26, vcc_lo, s8, v22
	v_add_co_ci_u32_e64 v27, null, s9, v23, vcc_lo
	v_add_co_u32 v22, vcc_lo, s10, v22
	v_add_co_ci_u32_e64 v23, null, s11, v23, vcc_lo
	global_load_dwordx2 v[26:27], v[26:27], off
	global_load_dwordx2 v[22:23], v[22:23], off
	s_waitcnt vmcnt(0)
	v_add_f64 v[22:23], v[26:27], -v[22:23]
	v_lshlrev_b64 v[26:27], 3, v[0:1]
	v_add_nc_u32_e32 v0, s4, v0
	v_add_co_u32 v28, vcc_lo, s8, v26
	v_add_co_ci_u32_e64 v29, null, s9, v27, vcc_lo
	v_add_co_u32 v26, vcc_lo, s10, v26
	v_add_co_ci_u32_e64 v27, null, s11, v27, vcc_lo
	global_load_dwordx2 v[28:29], v[28:29], off
	global_load_dwordx2 v[26:27], v[26:27], off
	v_add_f64 v[24:25], v[24:25], -v[22:23]
	s_waitcnt vmcnt(0)
	v_add_f64 v[26:27], v[28:29], -v[26:27]
	v_add_f64 v[24:25], v[24:25], -v[26:27]
	v_lshlrev_b64 v[26:27], 3, v[0:1]
	v_add_nc_u32_e32 v0, s4, v0
	v_add_co_u32 v28, vcc_lo, s8, v26
	v_add_co_ci_u32_e64 v29, null, s9, v27, vcc_lo
	v_add_co_u32 v26, vcc_lo, s10, v26
	v_add_co_ci_u32_e64 v27, null, s11, v27, vcc_lo
	global_load_dwordx2 v[28:29], v[28:29], off
	global_load_dwordx2 v[26:27], v[26:27], off
	s_waitcnt vmcnt(0)
	v_add_f64 v[26:27], v[28:29], -v[26:27]
	v_add_f64 v[24:25], v[24:25], -v[26:27]
	v_lshlrev_b64 v[26:27], 3, v[0:1]
	v_add_nc_u32_e32 v0, s3, v0
	v_add_co_u32 v28, vcc_lo, s8, v26
	v_add_co_ci_u32_e64 v29, null, s9, v27, vcc_lo
	v_add_co_u32 v26, vcc_lo, s10, v26
	v_add_co_ci_u32_e64 v27, null, s11, v27, vcc_lo
	global_load_dwordx2 v[28:29], v[28:29], off
	global_load_dwordx2 v[26:27], v[26:27], off
	s_waitcnt vmcnt(0)
	v_add_f64 v[26:27], v[28:29], -v[26:27]
	v_add_f64 v[24:25], v[24:25], v[26:27]
	v_lshlrev_b64 v[26:27], 3, v[0:1]
	v_add_co_u32 v28, vcc_lo, s8, v26
	v_add_co_ci_u32_e64 v29, null, s9, v27, vcc_lo
	v_add_co_u32 v26, vcc_lo, s10, v26
	v_add_co_ci_u32_e64 v27, null, s11, v27, vcc_lo
	global_load_dwordx2 v[28:29], v[28:29], off
	global_load_dwordx2 v[26:27], v[26:27], off
	s_waitcnt vmcnt(0)
	v_add_f64 v[26:27], v[28:29], -v[26:27]
	v_add_f64 v[24:25], v[24:25], v[26:27]
	v_mad_u64_u32 v[26:27], null, s4, 10, v[0:1]
	v_mov_b32_e32 v27, v1
	v_lshlrev_b64 v[27:28], 3, v[26:27]
	v_add_co_u32 v29, vcc_lo, s8, v27
	v_add_co_ci_u32_e64 v30, null, s9, v28, vcc_lo
	v_add_co_u32 v27, vcc_lo, s10, v27
	v_add_co_ci_u32_e64 v28, null, s11, v28, vcc_lo
	global_load_dwordx2 v[29:30], v[29:30], off
	global_load_dwordx2 v[27:28], v[27:28], off
	s_waitcnt vmcnt(0)
	v_add_f64 v[27:28], v[29:30], -v[27:28]
	v_add_f64 v[27:28], v[24:25], v[27:28]
	v_mad_u64_u32 v[29:30], null, s4, 9, v[26:27]
	v_mov_b32_e32 v30, v1
	v_lshlrev_b64 v[24:25], 3, v[29:30]
	v_add_nc_u32_e32 v0, s4, v29
	v_add_co_u32 v30, vcc_lo, s8, v24
	v_add_co_ci_u32_e64 v31, null, s9, v25, vcc_lo
	v_add_co_u32 v24, vcc_lo, s10, v24
	v_add_co_ci_u32_e64 v25, null, s11, v25, vcc_lo
	global_load_dwordx2 v[30:31], v[30:31], off
	global_load_dwordx2 v[24:25], v[24:25], off
	s_waitcnt vmcnt(0)
	v_add_f64 v[24:25], v[30:31], -v[24:25]
	v_add_f64 v[26:27], v[27:28], -v[24:25]
	v_lshlrev_b64 v[28:29], 3, v[0:1]
	v_add_co_u32 v30, vcc_lo, s8, v28
	v_add_co_ci_u32_e64 v31, null, s9, v29, vcc_lo
	v_add_co_u32 v28, vcc_lo, s10, v28
	v_add_co_ci_u32_e64 v29, null, s11, v29, vcc_lo
	global_load_dwordx2 v[30:31], v[30:31], off
	global_load_dwordx2 v[28:29], v[28:29], off
	s_waitcnt vmcnt(0)
	v_add_f64 v[28:29], v[30:31], -v[28:29]
	v_add_f64 v[26:27], v[26:27], -v[28:29]
	v_mad_u64_u32 v[28:29], null, s4, 3, v[0:1]
	v_mov_b32_e32 v29, v1
	v_lshlrev_b64 v[29:30], 3, v[28:29]
	v_add_nc_u32_e32 v0, s2, v28
	v_add_co_u32 v31, vcc_lo, s8, v29
	v_add_co_ci_u32_e64 v32, null, s9, v30, vcc_lo
	v_add_co_u32 v29, vcc_lo, s10, v29
	v_add_co_ci_u32_e64 v30, null, s11, v30, vcc_lo
	global_load_dwordx2 v[31:32], v[31:32], off
	global_load_dwordx2 v[29:30], v[29:30], off
	s_waitcnt vmcnt(0)
	v_add_f64 v[29:30], v[31:32], -v[29:30]
	v_add_f64 v[26:27], v[26:27], v[29:30]
	v_lshlrev_b64 v[28:29], 3, v[0:1]
	v_add_nc_u32_e32 v0, s6, v0
	v_add_co_u32 v30, vcc_lo, s8, v28
	v_add_co_ci_u32_e64 v31, null, s9, v29, vcc_lo
	v_add_co_u32 v28, vcc_lo, s10, v28
	v_add_co_ci_u32_e64 v29, null, s11, v29, vcc_lo
	global_load_dwordx2 v[30:31], v[30:31], off
	global_load_dwordx2 v[28:29], v[28:29], off
	s_waitcnt vmcnt(0)
	v_add_f64 v[28:29], v[30:31], -v[28:29]
	v_add_f64 v[26:27], v[26:27], v[28:29]
	;; [unrolled: 11-line block ×3, first 2 shown]
	v_lshlrev_b64 v[28:29], 3, v[0:1]
	v_add_nc_u32_e32 v0, s5, v0
	v_add_co_u32 v30, vcc_lo, s8, v28
	v_add_co_ci_u32_e64 v31, null, s9, v29, vcc_lo
	v_add_co_u32 v28, vcc_lo, s10, v28
	v_add_co_ci_u32_e64 v29, null, s11, v29, vcc_lo
	global_load_dwordx2 v[30:31], v[30:31], off
	global_load_dwordx2 v[28:29], v[28:29], off
	s_waitcnt vmcnt(0)
	v_add_f64 v[30:31], v[30:31], -v[28:29]
	v_lshlrev_b64 v[28:29], 3, v[0:1]
	v_add_nc_u32_e32 v0, s3, v0
	v_add_co_u32 v32, vcc_lo, s8, v28
	v_add_co_ci_u32_e64 v33, null, s9, v29, vcc_lo
	v_add_co_u32 v28, vcc_lo, s10, v28
	v_add_co_ci_u32_e64 v29, null, s11, v29, vcc_lo
	global_load_dwordx2 v[32:33], v[32:33], off
	global_load_dwordx2 v[28:29], v[28:29], off
	v_add_f64 v[26:27], v[26:27], -v[30:31]
	s_waitcnt vmcnt(0)
	v_add_f64 v[28:29], v[32:33], -v[28:29]
	v_add_f64 v[26:27], v[26:27], v[28:29]
	v_lshlrev_b64 v[28:29], 3, v[0:1]
	v_add_nc_u32_e32 v0, s2, v0
	s_load_dwordx4 s[0:3], s[0:1], 0x40
	v_add_co_u32 v32, vcc_lo, s8, v28
	v_add_co_ci_u32_e64 v33, null, s9, v29, vcc_lo
	v_add_co_u32 v28, vcc_lo, s10, v28
	v_add_co_ci_u32_e64 v29, null, s11, v29, vcc_lo
	global_load_dwordx2 v[32:33], v[32:33], off
	global_load_dwordx2 v[28:29], v[28:29], off
	s_waitcnt vmcnt(0)
	v_add_f64 v[28:29], v[32:33], -v[28:29]
	v_add_f64 v[28:29], v[26:27], v[28:29]
	v_lshlrev_b64 v[26:27], 3, v[0:1]
	v_add_nc_u32_e32 v0, s4, v0
	v_add_co_u32 v32, vcc_lo, s8, v26
	v_add_co_ci_u32_e64 v33, null, s9, v27, vcc_lo
	v_add_co_u32 v26, vcc_lo, s10, v26
	v_add_co_ci_u32_e64 v27, null, s11, v27, vcc_lo
	global_load_dwordx2 v[32:33], v[32:33], off
	global_load_dwordx2 v[26:27], v[26:27], off
	s_waitcnt vmcnt(0)
	v_add_f64 v[26:27], v[32:33], -v[26:27]
	v_lshlrev_b64 v[32:33], 3, v[0:1]
	v_add_nc_u32_e32 v0, s6, v0
	v_add_co_u32 v34, vcc_lo, s8, v32
	v_add_co_ci_u32_e64 v35, null, s9, v33, vcc_lo
	v_add_co_u32 v32, vcc_lo, s10, v32
	v_add_co_ci_u32_e64 v33, null, s11, v33, vcc_lo
	global_load_dwordx2 v[34:35], v[34:35], off
	global_load_dwordx2 v[32:33], v[32:33], off
	v_add_f64 v[28:29], v[28:29], -v[26:27]
	s_waitcnt vmcnt(0)
	v_add_f64 v[32:33], v[34:35], -v[32:33]
	v_add_f64 v[32:33], v[28:29], v[32:33]
	v_lshlrev_b64 v[28:29], 3, v[0:1]
	v_add_nc_u32_e32 v0, s4, v0
	v_add_co_u32 v34, vcc_lo, s8, v28
	v_add_co_ci_u32_e64 v35, null, s9, v29, vcc_lo
	v_add_co_u32 v28, vcc_lo, s10, v28
	v_add_co_ci_u32_e64 v29, null, s11, v29, vcc_lo
	global_load_dwordx2 v[34:35], v[34:35], off
	global_load_dwordx2 v[28:29], v[28:29], off
	s_waitcnt vmcnt(0)
	v_add_f64 v[28:29], v[34:35], -v[28:29]
	v_lshlrev_b64 v[34:35], 3, v[0:1]
	v_add_co_u32 v36, vcc_lo, s8, v34
	v_add_co_ci_u32_e64 v37, null, s9, v35, vcc_lo
	v_add_co_u32 v34, vcc_lo, s10, v34
	v_add_co_ci_u32_e64 v35, null, s11, v35, vcc_lo
	global_load_dwordx2 v[36:37], v[36:37], off
	global_load_dwordx2 v[34:35], v[34:35], off
	v_add_f64 v[32:33], v[32:33], -v[28:29]
	s_waitcnt vmcnt(0)
	v_add_f64 v[34:35], v[36:37], -v[34:35]
	v_add_f64 v[32:33], v[32:33], v[34:35]
	v_mad_u64_u32 v[34:35], null, 0xffffff3b, s4, v[0:1]
	v_mov_b32_e32 v35, v1
	v_mad_u64_u32 v[4:5], null, 0x60, s4, v[34:35]
	v_mov_b32_e32 v5, v1
	v_lshlrev_b64 v[36:37], 3, v[34:35]
	v_lshlrev_b64 v[5:6], 3, v[4:5]
	v_add_co_u32 v36, vcc_lo, s12, v36
	v_add_co_ci_u32_e64 v37, null, s13, v37, vcc_lo
	v_mul_f64 v[32:33], s[14:15], v[32:33]
	v_add_co_u32 v7, vcc_lo, s8, v5
	v_add_co_ci_u32_e64 v8, null, s9, v6, vcc_lo
	v_add_co_u32 v5, vcc_lo, s10, v5
	v_add_co_ci_u32_e64 v6, null, s11, v6, vcc_lo
	global_load_dwordx2 v[7:8], v[7:8], off
	global_load_dwordx2 v[5:6], v[5:6], off
	s_waitcnt lgkmcnt(0)
	v_mul_f64 v[32:33], s[0:1], v[32:33]
	global_store_dwordx2 v[36:37], v[32:33], off
	s_waitcnt vmcnt(0)
	v_add_f64 v[5:6], v[7:8], -v[5:6]
	v_add_f64 v[2:3], v[2:3], -v[5:6]
	v_mad_u64_u32 v[4:5], null, s4, 61, v[4:5]
	v_mov_b32_e32 v5, v1
	v_lshlrev_b64 v[5:6], 3, v[4:5]
	v_add_co_u32 v7, vcc_lo, s8, v5
	v_add_co_ci_u32_e64 v8, null, s9, v6, vcc_lo
	v_add_co_u32 v5, vcc_lo, s10, v5
	v_add_co_ci_u32_e64 v6, null, s11, v6, vcc_lo
	global_load_dwordx2 v[7:8], v[7:8], off
	v_add_f64 v[2:3], v[2:3], -v[16:17]
	global_load_dwordx2 v[5:6], v[5:6], off
	v_add_f64 v[2:3], v[2:3], -v[20:21]
	v_add_f64 v[2:3], v[22:23], v[2:3]
	s_waitcnt vmcnt(0)
	v_add_f64 v[5:6], v[7:8], -v[5:6]
	v_add_f64 v[2:3], v[5:6], v[2:3]
	v_mad_u64_u32 v[4:5], null, s4, 20, v[4:5]
	v_mov_b32_e32 v5, v1
	v_lshlrev_b64 v[5:6], 3, v[4:5]
	v_add_co_u32 v7, vcc_lo, s8, v5
	v_add_co_ci_u32_e64 v8, null, s9, v6, vcc_lo
	v_add_co_u32 v5, vcc_lo, s10, v5
	v_add_co_ci_u32_e64 v6, null, s11, v6, vcc_lo
	global_load_dwordx2 v[7:8], v[7:8], off
	v_add_f64 v[2:3], v[24:25], v[2:3]
	global_load_dwordx2 v[5:6], v[5:6], off
	v_add_f64 v[2:3], v[30:31], v[2:3]
	s_waitcnt vmcnt(0)
	v_add_f64 v[5:6], v[7:8], -v[5:6]
	v_add_f64 v[2:3], v[5:6], v[2:3]
	v_mad_u64_u32 v[4:5], null, 0xffffff50, s4, v[4:5]
	v_mov_b32_e32 v5, v1
	v_lshlrev_b64 v[0:1], 3, v[4:5]
	v_add_co_u32 v0, vcc_lo, s12, v0
	v_add_co_ci_u32_e64 v1, null, s13, v1, vcc_lo
	v_add_f64 v[2:3], v[26:27], v[2:3]
	v_add_f64 v[2:3], v[28:29], v[2:3]
	v_mul_f64 v[2:3], s[14:15], v[2:3]
	v_mul_f64 v[2:3], s[2:3], v[2:3]
	global_store_dwordx2 v[0:1], v[2:3], off
	s_endpgm
	.section	.rodata,"a",@progbits
	.p2align	6, 0x0
	.amdhsa_kernel _Z14rdwdot7_kernelIdEvPKT_S2_PS0_S0_S2_
		.amdhsa_group_segment_fixed_size 0
		.amdhsa_private_segment_fixed_size 0
		.amdhsa_kernarg_size 296
		.amdhsa_user_sgpr_count 6
		.amdhsa_user_sgpr_private_segment_buffer 1
		.amdhsa_user_sgpr_dispatch_ptr 0
		.amdhsa_user_sgpr_queue_ptr 0
		.amdhsa_user_sgpr_kernarg_segment_ptr 1
		.amdhsa_user_sgpr_dispatch_id 0
		.amdhsa_user_sgpr_flat_scratch_init 0
		.amdhsa_user_sgpr_private_segment_size 0
		.amdhsa_wavefront_size32 1
		.amdhsa_uses_dynamic_stack 0
		.amdhsa_system_sgpr_private_segment_wavefront_offset 0
		.amdhsa_system_sgpr_workgroup_id_x 1
		.amdhsa_system_sgpr_workgroup_id_y 0
		.amdhsa_system_sgpr_workgroup_id_z 0
		.amdhsa_system_sgpr_workgroup_info 0
		.amdhsa_system_vgpr_workitem_id 0
		.amdhsa_next_free_vgpr 38
		.amdhsa_next_free_sgpr 16
		.amdhsa_reserve_vcc 1
		.amdhsa_reserve_flat_scratch 0
		.amdhsa_float_round_mode_32 0
		.amdhsa_float_round_mode_16_64 0
		.amdhsa_float_denorm_mode_32 3
		.amdhsa_float_denorm_mode_16_64 3
		.amdhsa_dx10_clamp 1
		.amdhsa_ieee_mode 1
		.amdhsa_fp16_overflow 0
		.amdhsa_workgroup_processor_mode 1
		.amdhsa_memory_ordered 1
		.amdhsa_forward_progress 1
		.amdhsa_shared_vgpr_count 0
		.amdhsa_exception_fp_ieee_invalid_op 0
		.amdhsa_exception_fp_denorm_src 0
		.amdhsa_exception_fp_ieee_div_zero 0
		.amdhsa_exception_fp_ieee_overflow 0
		.amdhsa_exception_fp_ieee_underflow 0
		.amdhsa_exception_fp_ieee_inexact 0
		.amdhsa_exception_int_div_zero 0
	.end_amdhsa_kernel
	.section	.text._Z14rdwdot7_kernelIdEvPKT_S2_PS0_S0_S2_,"axG",@progbits,_Z14rdwdot7_kernelIdEvPKT_S2_PS0_S0_S2_,comdat
.Lfunc_end50:
	.size	_Z14rdwdot7_kernelIdEvPKT_S2_PS0_S0_S2_, .Lfunc_end50-_Z14rdwdot7_kernelIdEvPKT_S2_PS0_S0_S2_
                                        ; -- End function
	.set _Z14rdwdot7_kernelIdEvPKT_S2_PS0_S0_S2_.num_vgpr, 38
	.set _Z14rdwdot7_kernelIdEvPKT_S2_PS0_S0_S2_.num_agpr, 0
	.set _Z14rdwdot7_kernelIdEvPKT_S2_PS0_S0_S2_.numbered_sgpr, 16
	.set _Z14rdwdot7_kernelIdEvPKT_S2_PS0_S0_S2_.num_named_barrier, 0
	.set _Z14rdwdot7_kernelIdEvPKT_S2_PS0_S0_S2_.private_seg_size, 0
	.set _Z14rdwdot7_kernelIdEvPKT_S2_PS0_S0_S2_.uses_vcc, 1
	.set _Z14rdwdot7_kernelIdEvPKT_S2_PS0_S0_S2_.uses_flat_scratch, 0
	.set _Z14rdwdot7_kernelIdEvPKT_S2_PS0_S0_S2_.has_dyn_sized_stack, 0
	.set _Z14rdwdot7_kernelIdEvPKT_S2_PS0_S0_S2_.has_recursion, 0
	.set _Z14rdwdot7_kernelIdEvPKT_S2_PS0_S0_S2_.has_indirect_call, 0
	.section	.AMDGPU.csdata,"",@progbits
; Kernel info:
; codeLenInByte = 4604
; TotalNumSgprs: 18
; NumVgprs: 38
; ScratchSize: 0
; MemoryBound: 0
; FloatMode: 240
; IeeeMode: 1
; LDSByteSize: 0 bytes/workgroup (compile time only)
; SGPRBlocks: 0
; VGPRBlocks: 4
; NumSGPRsForWavesPerEU: 18
; NumVGPRsForWavesPerEU: 38
; Occupancy: 16
; WaveLimiterHint : 0
; COMPUTE_PGM_RSRC2:SCRATCH_EN: 0
; COMPUTE_PGM_RSRC2:USER_SGPR: 6
; COMPUTE_PGM_RSRC2:TRAP_HANDLER: 0
; COMPUTE_PGM_RSRC2:TGID_X_EN: 1
; COMPUTE_PGM_RSRC2:TGID_Y_EN: 0
; COMPUTE_PGM_RSRC2:TGID_Z_EN: 0
; COMPUTE_PGM_RSRC2:TIDIG_COMP_CNT: 0
	.section	.text._Z14rdwdot8_kernelIdEvPKT_S2_PS0_S0_S2_,"axG",@progbits,_Z14rdwdot8_kernelIdEvPKT_S2_PS0_S0_S2_,comdat
	.protected	_Z14rdwdot8_kernelIdEvPKT_S2_PS0_S0_S2_ ; -- Begin function _Z14rdwdot8_kernelIdEvPKT_S2_PS0_S0_S2_
	.globl	_Z14rdwdot8_kernelIdEvPKT_S2_PS0_S0_S2_
	.p2align	8
	.type	_Z14rdwdot8_kernelIdEvPKT_S2_PS0_S0_S2_,@function
_Z14rdwdot8_kernelIdEvPKT_S2_PS0_S0_S2_: ; @_Z14rdwdot8_kernelIdEvPKT_S2_PS0_S0_S2_
; %bb.0:
	s_clause 0x3
	s_load_dwordx8 s[8:15], s[4:5], 0x0
	s_load_dwordx2 s[0:1], s[4:5], 0x20
	s_load_dword s2, s[4:5], 0x28
	s_load_dword s3, s[4:5], 0x34
	v_mov_b32_e32 v1, 0
	s_waitcnt lgkmcnt(0)
	s_and_b32 s3, s3, 0xffff
	s_mul_i32 s4, s2, s3
	s_mul_i32 s6, s6, s3
	;; [unrolled: 1-line block ×4, first 2 shown]
	v_add3_u32 v0, s2, s6, v0
	s_mul_i32 s5, s4, 3
	v_lshlrev_b64 v[2:3], 3, v[0:1]
	v_add_nc_u32_e32 v0, s4, v0
	v_add_co_u32 v4, vcc_lo, s8, v2
	v_add_co_ci_u32_e64 v5, null, s9, v3, vcc_lo
	v_add_co_u32 v2, vcc_lo, s10, v2
	v_add_co_ci_u32_e64 v3, null, s11, v3, vcc_lo
	global_load_dwordx2 v[4:5], v[4:5], off
	global_load_dwordx2 v[2:3], v[2:3], off
	s_waitcnt vmcnt(0)
	v_add_f64 v[2:3], v[4:5], -v[2:3]
	v_lshlrev_b64 v[4:5], 3, v[0:1]
	v_add_nc_u32_e32 v0, s4, v0
	v_add_co_u32 v6, vcc_lo, s8, v4
	v_add_co_ci_u32_e64 v7, null, s9, v5, vcc_lo
	v_add_co_u32 v4, vcc_lo, s10, v4
	v_add_co_ci_u32_e64 v5, null, s11, v5, vcc_lo
	global_load_dwordx2 v[6:7], v[6:7], off
	global_load_dwordx2 v[4:5], v[4:5], off
	s_waitcnt vmcnt(0)
	v_add_f64 v[4:5], v[6:7], -v[4:5]
	v_add_f64 v[2:3], v[2:3], v[4:5]
	v_lshlrev_b64 v[4:5], 3, v[0:1]
	v_add_nc_u32_e32 v0, s4, v0
	v_add_co_u32 v6, vcc_lo, s8, v4
	v_add_co_ci_u32_e64 v7, null, s9, v5, vcc_lo
	v_add_co_u32 v4, vcc_lo, s10, v4
	v_add_co_ci_u32_e64 v5, null, s11, v5, vcc_lo
	global_load_dwordx2 v[6:7], v[6:7], off
	global_load_dwordx2 v[4:5], v[4:5], off
	s_waitcnt vmcnt(0)
	v_add_f64 v[4:5], v[6:7], -v[4:5]
	v_add_f64 v[2:3], v[2:3], v[4:5]
	;; [unrolled: 11-line block ×3, first 2 shown]
	v_lshlrev_b64 v[2:3], 3, v[0:1]
	v_add_nc_u32_e32 v0, s4, v0
	v_add_co_u32 v4, vcc_lo, s8, v2
	v_add_co_ci_u32_e64 v5, null, s9, v3, vcc_lo
	v_add_co_u32 v2, vcc_lo, s10, v2
	v_add_co_ci_u32_e64 v3, null, s11, v3, vcc_lo
	global_load_dwordx2 v[4:5], v[4:5], off
	global_load_dwordx2 v[2:3], v[2:3], off
	s_waitcnt vmcnt(0)
	v_add_f64 v[2:3], v[4:5], -v[2:3]
	v_lshlrev_b64 v[4:5], 3, v[0:1]
	v_lshl_add_u32 v0, s4, 2, v0
	v_add_co_u32 v8, vcc_lo, s8, v4
	v_add_co_ci_u32_e64 v9, null, s9, v5, vcc_lo
	v_add_co_u32 v4, vcc_lo, s10, v4
	v_add_co_ci_u32_e64 v5, null, s11, v5, vcc_lo
	global_load_dwordx2 v[8:9], v[8:9], off
	global_load_dwordx2 v[4:5], v[4:5], off
	s_waitcnt vmcnt(0)
	v_add_f64 v[4:5], v[8:9], -v[4:5]
	v_add_f64 v[4:5], v[2:3], v[4:5]
	v_lshlrev_b64 v[2:3], 3, v[0:1]
	v_add_nc_u32_e32 v0, s4, v0
	v_add_co_u32 v8, vcc_lo, s8, v2
	v_add_co_ci_u32_e64 v9, null, s9, v3, vcc_lo
	v_add_co_u32 v2, vcc_lo, s10, v2
	v_add_co_ci_u32_e64 v3, null, s11, v3, vcc_lo
	global_load_dwordx2 v[8:9], v[8:9], off
	global_load_dwordx2 v[2:3], v[2:3], off
	s_waitcnt vmcnt(0)
	v_add_f64 v[2:3], v[8:9], -v[2:3]
	v_lshlrev_b64 v[8:9], 3, v[0:1]
	v_add_co_u32 v10, vcc_lo, s8, v8
	v_add_co_ci_u32_e64 v11, null, s9, v9, vcc_lo
	v_add_co_u32 v8, vcc_lo, s10, v8
	v_add_co_ci_u32_e64 v9, null, s11, v9, vcc_lo
	global_load_dwordx2 v[10:11], v[10:11], off
	global_load_dwordx2 v[8:9], v[8:9], off
	s_waitcnt vmcnt(0)
	v_add_f64 v[8:9], v[10:11], -v[8:9]
	v_add_f64 v[2:3], v[2:3], v[8:9]
	v_mad_u64_u32 v[8:9], null, s4, -11, v[0:1]
	v_mov_b32_e32 v9, v1
	v_lshlrev_b64 v[9:10], 3, v[8:9]
	v_add_nc_u32_e32 v0, s4, v8
	v_add_co_u32 v11, vcc_lo, s8, v9
	v_add_co_ci_u32_e64 v12, null, s9, v10, vcc_lo
	v_add_co_u32 v9, vcc_lo, s10, v9
	v_add_co_ci_u32_e64 v10, null, s11, v10, vcc_lo
	global_load_dwordx2 v[11:12], v[11:12], off
	global_load_dwordx2 v[9:10], v[9:10], off
	s_waitcnt vmcnt(0)
	v_add_f64 v[9:10], v[11:12], -v[9:10]
	v_add_f64 v[6:7], v[6:7], -v[9:10]
	v_lshlrev_b64 v[8:9], 3, v[0:1]
	v_add_nc_u32_e32 v0, s4, v0
	v_add_co_u32 v10, vcc_lo, s8, v8
	v_add_co_ci_u32_e64 v11, null, s9, v9, vcc_lo
	v_add_co_u32 v8, vcc_lo, s10, v8
	v_add_co_ci_u32_e64 v9, null, s11, v9, vcc_lo
	global_load_dwordx2 v[10:11], v[10:11], off
	global_load_dwordx2 v[8:9], v[8:9], off
	s_waitcnt vmcnt(0)
	v_add_f64 v[8:9], v[10:11], -v[8:9]
	v_add_f64 v[6:7], v[6:7], -v[8:9]
	;; [unrolled: 11-line block ×5, first 2 shown]
	v_lshlrev_b64 v[8:9], 3, v[0:1]
	v_lshl_add_u32 v0, s4, 1, v0
	v_add_co_u32 v10, vcc_lo, s8, v8
	v_add_co_ci_u32_e64 v11, null, s9, v9, vcc_lo
	v_add_co_u32 v8, vcc_lo, s10, v8
	v_add_co_ci_u32_e64 v9, null, s11, v9, vcc_lo
	global_load_dwordx2 v[10:11], v[10:11], off
	global_load_dwordx2 v[8:9], v[8:9], off
	v_add_f64 v[6:7], v[6:7], -v[4:5]
	v_add_f64 v[6:7], v[6:7], -v[4:5]
	s_waitcnt vmcnt(0)
	v_add_f64 v[8:9], v[10:11], -v[8:9]
	v_add_f64 v[10:11], v[8:9], v[6:7]
	v_lshlrev_b64 v[6:7], 3, v[0:1]
	v_add_nc_u32_e32 v0, s3, v0
	s_lshl_b32 s3, s4, 3
	v_add_co_u32 v12, vcc_lo, s8, v6
	v_add_co_ci_u32_e64 v13, null, s9, v7, vcc_lo
	v_add_co_u32 v6, vcc_lo, s10, v6
	v_add_co_ci_u32_e64 v7, null, s11, v7, vcc_lo
	global_load_dwordx2 v[12:13], v[12:13], off
	global_load_dwordx2 v[6:7], v[6:7], off
	s_waitcnt vmcnt(0)
	v_add_f64 v[6:7], v[12:13], -v[6:7]
	v_lshlrev_b64 v[12:13], 3, v[0:1]
	v_add_co_u32 v14, vcc_lo, s8, v12
	v_add_co_ci_u32_e64 v15, null, s9, v13, vcc_lo
	v_add_co_u32 v12, vcc_lo, s10, v12
	v_add_co_ci_u32_e64 v13, null, s11, v13, vcc_lo
	global_load_dwordx2 v[14:15], v[14:15], off
	global_load_dwordx2 v[12:13], v[12:13], off
	v_add_f64 v[10:11], v[10:11], v[6:7]
	v_add_f64 v[10:11], v[2:3], v[10:11]
	s_waitcnt vmcnt(0)
	v_add_f64 v[12:13], v[14:15], -v[12:13]
	v_add_f64 v[10:11], v[10:11], -v[12:13]
	v_mad_u64_u32 v[12:13], null, s4, 14, v[0:1]
	v_mov_b32_e32 v13, v1
	v_lshlrev_b64 v[13:14], 3, v[12:13]
	v_add_nc_u32_e32 v0, s3, v12
	v_add_co_u32 v15, vcc_lo, s8, v13
	v_add_co_ci_u32_e64 v16, null, s9, v14, vcc_lo
	v_add_co_u32 v13, vcc_lo, s10, v13
	v_add_co_ci_u32_e64 v14, null, s11, v14, vcc_lo
	global_load_dwordx2 v[15:16], v[15:16], off
	global_load_dwordx2 v[13:14], v[13:14], off
	s_waitcnt vmcnt(0)
	v_add_f64 v[13:14], v[15:16], -v[13:14]
	v_add_f64 v[10:11], v[10:11], v[13:14]
	v_lshlrev_b64 v[12:13], 3, v[0:1]
	v_add_co_u32 v14, vcc_lo, s8, v12
	v_add_co_ci_u32_e64 v15, null, s9, v13, vcc_lo
	v_add_co_u32 v12, vcc_lo, s10, v12
	v_add_co_ci_u32_e64 v13, null, s11, v13, vcc_lo
	global_load_dwordx2 v[14:15], v[14:15], off
	global_load_dwordx2 v[12:13], v[12:13], off
	s_waitcnt vmcnt(0)
	v_add_f64 v[12:13], v[14:15], -v[12:13]
	v_add_f64 v[10:11], v[10:11], -v[12:13]
	v_mad_u64_u32 v[12:13], null, s4, 20, v[0:1]
	v_mov_b32_e32 v13, v1
	v_lshlrev_b64 v[13:14], 3, v[12:13]
	v_add_nc_u32_e32 v0, s4, v12
	v_add_co_u32 v15, vcc_lo, s8, v13
	v_add_co_ci_u32_e64 v16, null, s9, v14, vcc_lo
	v_add_co_u32 v13, vcc_lo, s10, v13
	v_add_co_ci_u32_e64 v14, null, s11, v14, vcc_lo
	global_load_dwordx2 v[15:16], v[15:16], off
	global_load_dwordx2 v[13:14], v[13:14], off
	s_waitcnt vmcnt(0)
	v_add_f64 v[13:14], v[15:16], -v[13:14]
	v_add_f64 v[13:14], v[10:11], v[13:14]
	v_lshlrev_b64 v[10:11], 3, v[0:1]
	v_add_nc_u32_e32 v0, s3, v0
	v_add_co_u32 v15, vcc_lo, s8, v10
	v_add_co_ci_u32_e64 v16, null, s9, v11, vcc_lo
	v_add_co_u32 v10, vcc_lo, s10, v10
	v_add_co_ci_u32_e64 v11, null, s11, v11, vcc_lo
	global_load_dwordx2 v[15:16], v[15:16], off
	global_load_dwordx2 v[10:11], v[10:11], off
	s_waitcnt vmcnt(0)
	v_add_f64 v[10:11], v[15:16], -v[10:11]
	v_add_f64 v[12:13], v[13:14], -v[10:11]
	v_lshlrev_b64 v[14:15], 3, v[0:1]
	v_add_nc_u32_e32 v0, s4, v0
	v_add_co_u32 v16, vcc_lo, s8, v14
	v_add_co_ci_u32_e64 v17, null, s9, v15, vcc_lo
	v_add_co_u32 v14, vcc_lo, s10, v14
	v_add_co_ci_u32_e64 v15, null, s11, v15, vcc_lo
	global_load_dwordx2 v[16:17], v[16:17], off
	global_load_dwordx2 v[14:15], v[14:15], off
	s_waitcnt vmcnt(0)
	v_add_f64 v[14:15], v[16:17], -v[14:15]
	v_add_f64 v[12:13], v[12:13], -v[14:15]
	;; [unrolled: 11-line block ×3, first 2 shown]
	v_lshlrev_b64 v[12:13], 3, v[0:1]
	v_add_co_u32 v16, vcc_lo, s8, v12
	v_add_co_ci_u32_e64 v17, null, s9, v13, vcc_lo
	v_add_co_u32 v12, vcc_lo, s10, v12
	v_add_co_ci_u32_e64 v13, null, s11, v13, vcc_lo
	global_load_dwordx2 v[16:17], v[16:17], off
	global_load_dwordx2 v[12:13], v[12:13], off
	s_waitcnt vmcnt(0)
	v_add_f64 v[12:13], v[16:17], -v[12:13]
	v_mad_u64_u32 v[16:17], null, s4, 15, v[0:1]
	v_mov_b32_e32 v17, v1
	v_lshlrev_b64 v[17:18], 3, v[16:17]
	v_add_co_u32 v19, vcc_lo, s8, v17
	v_add_co_ci_u32_e64 v20, null, s9, v18, vcc_lo
	v_add_co_u32 v17, vcc_lo, s10, v17
	v_add_co_ci_u32_e64 v18, null, s11, v18, vcc_lo
	global_load_dwordx2 v[19:20], v[19:20], off
	v_add_f64 v[14:15], v[14:15], v[12:13]
	global_load_dwordx2 v[17:18], v[17:18], off
	s_waitcnt vmcnt(0)
	v_add_f64 v[17:18], v[19:20], -v[17:18]
	v_add_f64 v[14:15], v[14:15], v[17:18]
	v_mad_u64_u32 v[16:17], null, s4, 37, v[16:17]
	v_mov_b32_e32 v17, v1
	v_lshlrev_b64 v[17:18], 3, v[16:17]
	v_add_nc_u32_e32 v0, s5, v16
	s_mul_i32 s5, s4, 9
	v_add_co_u32 v19, vcc_lo, s8, v17
	v_add_co_ci_u32_e64 v20, null, s9, v18, vcc_lo
	v_add_co_u32 v17, vcc_lo, s10, v17
	v_add_co_ci_u32_e64 v18, null, s11, v18, vcc_lo
	global_load_dwordx2 v[19:20], v[19:20], off
	global_load_dwordx2 v[17:18], v[17:18], off
	s_waitcnt vmcnt(0)
	v_add_f64 v[17:18], v[19:20], -v[17:18]
	v_add_f64 v[14:15], v[14:15], v[17:18]
	v_lshlrev_b64 v[16:17], 3, v[0:1]
	v_add_nc_u32_e32 v0, s4, v0
	v_add_co_u32 v18, vcc_lo, s8, v16
	v_add_co_ci_u32_e64 v19, null, s9, v17, vcc_lo
	v_add_co_u32 v16, vcc_lo, s10, v16
	v_add_co_ci_u32_e64 v17, null, s11, v17, vcc_lo
	global_load_dwordx2 v[18:19], v[18:19], off
	global_load_dwordx2 v[16:17], v[16:17], off
	s_waitcnt vmcnt(0)
	v_add_f64 v[16:17], v[18:19], -v[16:17]
	v_add_f64 v[16:17], v[14:15], -v[16:17]
	v_lshlrev_b64 v[14:15], 3, v[0:1]
	v_add_nc_u32_e32 v0, s2, v0
	v_add_co_u32 v18, vcc_lo, s8, v14
	v_add_co_ci_u32_e64 v19, null, s9, v15, vcc_lo
	v_add_co_u32 v14, vcc_lo, s10, v14
	v_add_co_ci_u32_e64 v15, null, s11, v15, vcc_lo
	global_load_dwordx2 v[18:19], v[18:19], off
	global_load_dwordx2 v[14:15], v[14:15], off
	s_waitcnt vmcnt(0)
	v_add_f64 v[14:15], v[18:19], -v[14:15]
	v_lshlrev_b64 v[18:19], 3, v[0:1]
	v_add_nc_u32_e32 v0, s5, v0
	v_add_co_u32 v20, vcc_lo, s8, v18
	v_add_co_ci_u32_e64 v21, null, s9, v19, vcc_lo
	v_add_co_u32 v18, vcc_lo, s10, v18
	v_add_co_ci_u32_e64 v19, null, s11, v19, vcc_lo
	global_load_dwordx2 v[20:21], v[20:21], off
	global_load_dwordx2 v[18:19], v[18:19], off
	v_add_f64 v[16:17], v[16:17], v[14:15]
	s_waitcnt vmcnt(0)
	v_add_f64 v[18:19], v[20:21], -v[18:19]
	v_add_f64 v[16:17], v[16:17], v[18:19]
	v_lshlrev_b64 v[18:19], 3, v[0:1]
	v_add_nc_u32_e32 v0, s4, v0
	v_add_co_u32 v20, vcc_lo, s8, v18
	v_add_co_ci_u32_e64 v21, null, s9, v19, vcc_lo
	v_add_co_u32 v18, vcc_lo, s10, v18
	v_add_co_ci_u32_e64 v19, null, s11, v19, vcc_lo
	global_load_dwordx2 v[20:21], v[20:21], off
	global_load_dwordx2 v[18:19], v[18:19], off
	s_waitcnt vmcnt(0)
	v_add_f64 v[18:19], v[20:21], -v[18:19]
	v_add_f64 v[16:17], v[16:17], v[18:19]
	v_lshlrev_b64 v[18:19], 3, v[0:1]
	v_add_nc_u32_e32 v0, s2, v0
	s_load_dwordx4 s[0:3], s[0:1], 0x30
	v_add_co_u32 v20, vcc_lo, s8, v18
	v_add_co_ci_u32_e64 v21, null, s9, v19, vcc_lo
	v_add_co_u32 v18, vcc_lo, s10, v18
	v_add_co_ci_u32_e64 v19, null, s11, v19, vcc_lo
	global_load_dwordx2 v[20:21], v[20:21], off
	global_load_dwordx2 v[18:19], v[18:19], off
	s_waitcnt vmcnt(0)
	v_add_f64 v[18:19], v[20:21], -v[18:19]
	v_add_f64 v[16:17], v[16:17], -v[18:19]
	v_lshlrev_b64 v[18:19], 3, v[0:1]
	v_add_nc_u32_e32 v0, s4, v0
	v_add_co_u32 v20, vcc_lo, s8, v18
	v_add_co_ci_u32_e64 v21, null, s9, v19, vcc_lo
	v_add_co_u32 v18, vcc_lo, s10, v18
	v_add_co_ci_u32_e64 v19, null, s11, v19, vcc_lo
	global_load_dwordx2 v[20:21], v[20:21], off
	global_load_dwordx2 v[18:19], v[18:19], off
	s_waitcnt vmcnt(0)
	v_add_f64 v[18:19], v[20:21], -v[18:19]
	v_add_f64 v[16:17], v[16:17], v[18:19]
	v_lshlrev_b64 v[18:19], 3, v[0:1]
	v_add_nc_u32_e32 v0, s4, v0
	v_add_co_u32 v20, vcc_lo, s8, v18
	v_add_co_ci_u32_e64 v21, null, s9, v19, vcc_lo
	v_add_co_u32 v18, vcc_lo, s10, v18
	v_add_co_ci_u32_e64 v19, null, s11, v19, vcc_lo
	global_load_dwordx2 v[20:21], v[20:21], off
	global_load_dwordx2 v[18:19], v[18:19], off
	s_waitcnt vmcnt(0)
	v_add_f64 v[18:19], v[20:21], -v[18:19]
	v_add_f64 v[18:19], v[16:17], -v[18:19]
	v_lshlrev_b64 v[16:17], 3, v[0:1]
	v_add_nc_u32_e32 v0, s4, v0
	v_add_co_u32 v20, vcc_lo, s8, v16
	v_add_co_ci_u32_e64 v21, null, s9, v17, vcc_lo
	v_add_co_u32 v16, vcc_lo, s10, v16
	v_add_co_ci_u32_e64 v17, null, s11, v17, vcc_lo
	global_load_dwordx2 v[20:21], v[20:21], off
	global_load_dwordx2 v[16:17], v[16:17], off
	s_waitcnt vmcnt(0)
	v_add_f64 v[16:17], v[20:21], -v[16:17]
	v_lshlrev_b64 v[20:21], 3, v[0:1]
	v_add_nc_u32_e32 v0, s4, v0
	v_add_co_u32 v22, vcc_lo, s8, v20
	v_add_co_ci_u32_e64 v23, null, s9, v21, vcc_lo
	v_add_co_u32 v20, vcc_lo, s10, v20
	v_add_co_ci_u32_e64 v21, null, s11, v21, vcc_lo
	global_load_dwordx2 v[22:23], v[22:23], off
	global_load_dwordx2 v[20:21], v[20:21], off
	v_add_f64 v[18:19], v[18:19], -v[16:17]
	s_waitcnt vmcnt(0)
	v_add_f64 v[20:21], v[22:23], -v[20:21]
	v_add_f64 v[20:21], v[18:19], -v[20:21]
	v_lshlrev_b64 v[18:19], 3, v[0:1]
	v_add_nc_u32_e32 v0, s5, v0
	v_add_co_u32 v22, vcc_lo, s8, v18
	v_add_co_ci_u32_e64 v23, null, s9, v19, vcc_lo
	v_add_co_u32 v18, vcc_lo, s10, v18
	v_add_co_ci_u32_e64 v19, null, s11, v19, vcc_lo
	global_load_dwordx2 v[22:23], v[22:23], off
	global_load_dwordx2 v[18:19], v[18:19], off
	s_waitcnt vmcnt(0)
	v_add_f64 v[18:19], v[22:23], -v[18:19]
	v_lshlrev_b64 v[22:23], 3, v[0:1]
	v_add_nc_u32_e32 v0, s4, v0
	v_add_co_u32 v24, vcc_lo, s8, v22
	v_add_co_ci_u32_e64 v25, null, s9, v23, vcc_lo
	v_add_co_u32 v22, vcc_lo, s10, v22
	v_add_co_ci_u32_e64 v23, null, s11, v23, vcc_lo
	global_load_dwordx2 v[24:25], v[24:25], off
	global_load_dwordx2 v[22:23], v[22:23], off
	v_add_f64 v[20:21], v[20:21], v[18:19]
	s_waitcnt vmcnt(0)
	v_add_f64 v[22:23], v[24:25], -v[22:23]
	v_add_f64 v[20:21], v[20:21], -v[22:23]
	v_lshlrev_b64 v[22:23], 3, v[0:1]
	v_add_nc_u32_e32 v0, s5, v0
	v_add_co_u32 v24, vcc_lo, s8, v22
	v_add_co_ci_u32_e64 v25, null, s9, v23, vcc_lo
	v_add_co_u32 v22, vcc_lo, s10, v22
	v_add_co_ci_u32_e64 v23, null, s11, v23, vcc_lo
	global_load_dwordx2 v[24:25], v[24:25], off
	global_load_dwordx2 v[22:23], v[22:23], off
	s_waitcnt vmcnt(0)
	v_add_f64 v[22:23], v[24:25], -v[22:23]
	v_add_f64 v[22:23], v[20:21], -v[22:23]
	v_lshlrev_b64 v[20:21], 3, v[0:1]
	v_add_co_u32 v24, vcc_lo, s8, v20
	v_add_co_ci_u32_e64 v25, null, s9, v21, vcc_lo
	v_add_co_u32 v20, vcc_lo, s10, v20
	v_add_co_ci_u32_e64 v21, null, s11, v21, vcc_lo
	global_load_dwordx2 v[24:25], v[24:25], off
	global_load_dwordx2 v[20:21], v[20:21], off
	s_waitcnt vmcnt(0)
	v_add_f64 v[20:21], v[24:25], -v[20:21]
	v_mad_u64_u32 v[24:25], null, s4, 6, v[0:1]
	v_mov_b32_e32 v25, v1
	v_lshlrev_b64 v[25:26], 3, v[24:25]
	v_add_nc_u32_e32 v0, s4, v24
	v_add_co_u32 v27, vcc_lo, s8, v25
	v_add_co_ci_u32_e64 v28, null, s9, v26, vcc_lo
	v_add_co_u32 v25, vcc_lo, s10, v25
	v_add_co_ci_u32_e64 v26, null, s11, v26, vcc_lo
	global_load_dwordx2 v[27:28], v[27:28], off
	v_add_f64 v[22:23], v[22:23], -v[20:21]
	global_load_dwordx2 v[25:26], v[25:26], off
	s_waitcnt vmcnt(0)
	v_add_f64 v[25:26], v[27:28], -v[25:26]
	v_add_f64 v[22:23], v[22:23], v[25:26]
	v_lshlrev_b64 v[24:25], 3, v[0:1]
	v_add_co_u32 v26, vcc_lo, s8, v24
	v_add_co_ci_u32_e64 v27, null, s9, v25, vcc_lo
	v_add_co_u32 v24, vcc_lo, s10, v24
	v_add_co_ci_u32_e64 v25, null, s11, v25, vcc_lo
	global_load_dwordx2 v[26:27], v[26:27], off
	global_load_dwordx2 v[24:25], v[24:25], off
	s_waitcnt vmcnt(0)
	v_add_f64 v[24:25], v[26:27], -v[24:25]
	v_add_f64 v[22:23], v[22:23], -v[24:25]
	v_mad_u64_u32 v[24:25], null, 0xffffff3b, s4, v[0:1]
	v_mov_b32_e32 v25, v1
	v_lshlrev_b64 v[25:26], 3, v[24:25]
	v_add_nc_u32_e32 v0, s5, v24
	v_add_co_u32 v25, vcc_lo, s12, v25
	v_add_co_ci_u32_e64 v26, null, s13, v26, vcc_lo
	v_mul_f64 v[22:23], s[14:15], v[22:23]
	s_waitcnt lgkmcnt(0)
	v_mul_f64 v[22:23], s[0:1], v[22:23]
	global_store_dwordx2 v[25:26], v[22:23], off
	v_lshlrev_b64 v[22:23], 3, v[0:1]
	v_add_nc_u32_e32 v0, s5, v0
	v_add_co_u32 v24, vcc_lo, s8, v22
	v_add_co_ci_u32_e64 v25, null, s9, v23, vcc_lo
	v_add_co_u32 v22, vcc_lo, s10, v22
	v_add_co_ci_u32_e64 v23, null, s11, v23, vcc_lo
	global_load_dwordx2 v[24:25], v[24:25], off
	global_load_dwordx2 v[22:23], v[22:23], off
	s_waitcnt vmcnt(0)
	v_add_f64 v[22:23], v[24:25], -v[22:23]
	v_add_f64 v[4:5], v[4:5], v[22:23]
	v_add_f64 v[4:5], v[4:5], -v[8:9]
	v_lshlrev_b64 v[8:9], 3, v[0:1]
	v_add_co_u32 v22, vcc_lo, s8, v8
	v_add_co_ci_u32_e64 v23, null, s9, v9, vcc_lo
	v_add_co_u32 v8, vcc_lo, s10, v8
	v_add_co_ci_u32_e64 v9, null, s11, v9, vcc_lo
	global_load_dwordx2 v[22:23], v[22:23], off
	global_load_dwordx2 v[8:9], v[8:9], off
	s_waitcnt vmcnt(0)
	v_add_f64 v[8:9], v[22:23], -v[8:9]
	v_add_f64 v[4:5], v[4:5], -v[8:9]
	;; [unrolled: 1-line block ×4, first 2 shown]
	v_mad_u64_u32 v[4:5], null, 0xffffffef, s4, v[0:1]
	v_mov_b32_e32 v5, v1
	v_lshlrev_b64 v[0:1], 3, v[4:5]
	v_add_co_u32 v0, vcc_lo, s12, v0
	v_add_co_ci_u32_e64 v1, null, s13, v1, vcc_lo
	v_add_f64 v[2:3], v[10:11], v[2:3]
	v_add_f64 v[2:3], v[2:3], -v[12:13]
	v_add_f64 v[2:3], v[2:3], -v[14:15]
	v_add_f64 v[2:3], v[16:17], v[2:3]
	v_add_f64 v[2:3], v[2:3], -v[18:19]
	v_add_f64 v[2:3], v[20:21], v[2:3]
	v_mul_f64 v[2:3], s[14:15], v[2:3]
	v_mul_f64 v[2:3], s[2:3], v[2:3]
	global_store_dwordx2 v[0:1], v[2:3], off
	s_endpgm
	.section	.rodata,"a",@progbits
	.p2align	6, 0x0
	.amdhsa_kernel _Z14rdwdot8_kernelIdEvPKT_S2_PS0_S0_S2_
		.amdhsa_group_segment_fixed_size 0
		.amdhsa_private_segment_fixed_size 0
		.amdhsa_kernarg_size 296
		.amdhsa_user_sgpr_count 6
		.amdhsa_user_sgpr_private_segment_buffer 1
		.amdhsa_user_sgpr_dispatch_ptr 0
		.amdhsa_user_sgpr_queue_ptr 0
		.amdhsa_user_sgpr_kernarg_segment_ptr 1
		.amdhsa_user_sgpr_dispatch_id 0
		.amdhsa_user_sgpr_flat_scratch_init 0
		.amdhsa_user_sgpr_private_segment_size 0
		.amdhsa_wavefront_size32 1
		.amdhsa_uses_dynamic_stack 0
		.amdhsa_system_sgpr_private_segment_wavefront_offset 0
		.amdhsa_system_sgpr_workgroup_id_x 1
		.amdhsa_system_sgpr_workgroup_id_y 0
		.amdhsa_system_sgpr_workgroup_id_z 0
		.amdhsa_system_sgpr_workgroup_info 0
		.amdhsa_system_vgpr_workitem_id 0
		.amdhsa_next_free_vgpr 29
		.amdhsa_next_free_sgpr 16
		.amdhsa_reserve_vcc 1
		.amdhsa_reserve_flat_scratch 0
		.amdhsa_float_round_mode_32 0
		.amdhsa_float_round_mode_16_64 0
		.amdhsa_float_denorm_mode_32 3
		.amdhsa_float_denorm_mode_16_64 3
		.amdhsa_dx10_clamp 1
		.amdhsa_ieee_mode 1
		.amdhsa_fp16_overflow 0
		.amdhsa_workgroup_processor_mode 1
		.amdhsa_memory_ordered 1
		.amdhsa_forward_progress 1
		.amdhsa_shared_vgpr_count 0
		.amdhsa_exception_fp_ieee_invalid_op 0
		.amdhsa_exception_fp_denorm_src 0
		.amdhsa_exception_fp_ieee_div_zero 0
		.amdhsa_exception_fp_ieee_overflow 0
		.amdhsa_exception_fp_ieee_underflow 0
		.amdhsa_exception_fp_ieee_inexact 0
		.amdhsa_exception_int_div_zero 0
	.end_amdhsa_kernel
	.section	.text._Z14rdwdot8_kernelIdEvPKT_S2_PS0_S0_S2_,"axG",@progbits,_Z14rdwdot8_kernelIdEvPKT_S2_PS0_S0_S2_,comdat
.Lfunc_end51:
	.size	_Z14rdwdot8_kernelIdEvPKT_S2_PS0_S0_S2_, .Lfunc_end51-_Z14rdwdot8_kernelIdEvPKT_S2_PS0_S0_S2_
                                        ; -- End function
	.set _Z14rdwdot8_kernelIdEvPKT_S2_PS0_S0_S2_.num_vgpr, 29
	.set _Z14rdwdot8_kernelIdEvPKT_S2_PS0_S0_S2_.num_agpr, 0
	.set _Z14rdwdot8_kernelIdEvPKT_S2_PS0_S0_S2_.numbered_sgpr, 16
	.set _Z14rdwdot8_kernelIdEvPKT_S2_PS0_S0_S2_.num_named_barrier, 0
	.set _Z14rdwdot8_kernelIdEvPKT_S2_PS0_S0_S2_.private_seg_size, 0
	.set _Z14rdwdot8_kernelIdEvPKT_S2_PS0_S0_S2_.uses_vcc, 1
	.set _Z14rdwdot8_kernelIdEvPKT_S2_PS0_S0_S2_.uses_flat_scratch, 0
	.set _Z14rdwdot8_kernelIdEvPKT_S2_PS0_S0_S2_.has_dyn_sized_stack, 0
	.set _Z14rdwdot8_kernelIdEvPKT_S2_PS0_S0_S2_.has_recursion, 0
	.set _Z14rdwdot8_kernelIdEvPKT_S2_PS0_S0_S2_.has_indirect_call, 0
	.section	.AMDGPU.csdata,"",@progbits
; Kernel info:
; codeLenInByte = 3716
; TotalNumSgprs: 18
; NumVgprs: 29
; ScratchSize: 0
; MemoryBound: 0
; FloatMode: 240
; IeeeMode: 1
; LDSByteSize: 0 bytes/workgroup (compile time only)
; SGPRBlocks: 0
; VGPRBlocks: 3
; NumSGPRsForWavesPerEU: 18
; NumVGPRsForWavesPerEU: 29
; Occupancy: 16
; WaveLimiterHint : 0
; COMPUTE_PGM_RSRC2:SCRATCH_EN: 0
; COMPUTE_PGM_RSRC2:USER_SGPR: 6
; COMPUTE_PGM_RSRC2:TRAP_HANDLER: 0
; COMPUTE_PGM_RSRC2:TGID_X_EN: 1
; COMPUTE_PGM_RSRC2:TGID_Y_EN: 0
; COMPUTE_PGM_RSRC2:TGID_Z_EN: 0
; COMPUTE_PGM_RSRC2:TIDIG_COMP_CNT: 0
	.section	.text._Z14rdwdot9_kernelIdEvPKT_S2_PS0_S0_S2_,"axG",@progbits,_Z14rdwdot9_kernelIdEvPKT_S2_PS0_S0_S2_,comdat
	.protected	_Z14rdwdot9_kernelIdEvPKT_S2_PS0_S0_S2_ ; -- Begin function _Z14rdwdot9_kernelIdEvPKT_S2_PS0_S0_S2_
	.globl	_Z14rdwdot9_kernelIdEvPKT_S2_PS0_S0_S2_
	.p2align	8
	.type	_Z14rdwdot9_kernelIdEvPKT_S2_PS0_S0_S2_,@function
_Z14rdwdot9_kernelIdEvPKT_S2_PS0_S0_S2_: ; @_Z14rdwdot9_kernelIdEvPKT_S2_PS0_S0_S2_
; %bb.0:
	s_clause 0x3
	s_load_dwordx8 s[8:15], s[4:5], 0x0
	s_load_dwordx2 s[0:1], s[4:5], 0x20
	s_load_dword s2, s[4:5], 0x28
	s_load_dword s3, s[4:5], 0x34
	s_waitcnt lgkmcnt(0)
	s_load_dwordx2 s[0:1], s[0:1], 0x20
	s_and_b32 s3, s3, 0xffff
	v_mad_u64_u32 v[4:5], null, s6, s3, v[0:1]
	s_mul_i32 s2, s2, s3
	s_mul_i32 s7, s2, 5
	;; [unrolled: 1-line block ×4, first 2 shown]
	s_lshl_b32 s6, s2, 2
	v_mad_u64_u32 v[0:1], null, s2, 26, v[4:5]
	v_mov_b32_e32 v1, 0
	s_lshl_b32 s4, s2, 1
	s_lshl_b32 s16, s2, 3
	v_lshlrev_b64 v[2:3], 3, v[0:1]
	v_add_nc_u32_e32 v0, s2, v0
	v_add_co_u32 v5, vcc_lo, s8, v2
	v_add_co_ci_u32_e64 v6, null, s9, v3, vcc_lo
	v_add_co_u32 v2, vcc_lo, s10, v2
	v_add_co_ci_u32_e64 v3, null, s11, v3, vcc_lo
	global_load_dwordx2 v[5:6], v[5:6], off
	global_load_dwordx2 v[2:3], v[2:3], off
	s_waitcnt vmcnt(0)
	v_add_f64 v[2:3], v[5:6], -v[2:3]
	v_lshlrev_b64 v[5:6], 3, v[0:1]
	v_add_nc_u32_e32 v0, s2, v4
	v_add_co_u32 v7, vcc_lo, s8, v5
	v_add_co_ci_u32_e64 v8, null, s9, v6, vcc_lo
	v_add_co_u32 v5, vcc_lo, s10, v5
	v_add_co_ci_u32_e64 v6, null, s11, v6, vcc_lo
	global_load_dwordx2 v[7:8], v[7:8], off
	global_load_dwordx2 v[5:6], v[5:6], off
	s_waitcnt vmcnt(0)
	v_add_f64 v[5:6], v[7:8], -v[5:6]
	v_add_f64 v[2:3], v[2:3], v[5:6]
	v_mov_b32_e32 v5, v1
	v_lshlrev_b64 v[5:6], 3, v[4:5]
	v_add_co_u32 v7, vcc_lo, s8, v5
	v_add_co_ci_u32_e64 v8, null, s9, v6, vcc_lo
	v_add_co_u32 v5, vcc_lo, s10, v5
	v_add_co_ci_u32_e64 v6, null, s11, v6, vcc_lo
	global_load_dwordx2 v[7:8], v[7:8], off
	global_load_dwordx2 v[5:6], v[5:6], off
	s_waitcnt vmcnt(0)
	v_add_f64 v[5:6], v[7:8], -v[5:6]
	v_lshlrev_b64 v[7:8], 3, v[0:1]
	v_add_nc_u32_e32 v0, s2, v0
	v_add_co_u32 v9, vcc_lo, s8, v7
	v_add_co_ci_u32_e64 v10, null, s9, v8, vcc_lo
	v_add_co_u32 v7, vcc_lo, s10, v7
	v_add_co_ci_u32_e64 v8, null, s11, v8, vcc_lo
	global_load_dwordx2 v[9:10], v[9:10], off
	global_load_dwordx2 v[7:8], v[7:8], off
	s_waitcnt vmcnt(0)
	v_add_f64 v[7:8], v[9:10], -v[7:8]
	v_add_f64 v[4:5], v[5:6], v[7:8]
	v_lshlrev_b64 v[6:7], 3, v[0:1]
	v_add_nc_u32_e32 v0, s2, v0
	v_add_co_u32 v8, vcc_lo, s8, v6
	v_add_co_ci_u32_e64 v9, null, s9, v7, vcc_lo
	v_add_co_u32 v6, vcc_lo, s10, v6
	v_add_co_ci_u32_e64 v7, null, s11, v7, vcc_lo
	global_load_dwordx2 v[8:9], v[8:9], off
	global_load_dwordx2 v[6:7], v[6:7], off
	s_waitcnt vmcnt(0)
	v_add_f64 v[6:7], v[8:9], -v[6:7]
	v_add_f64 v[4:5], v[4:5], -v[6:7]
	v_lshlrev_b64 v[6:7], 3, v[0:1]
	v_add_nc_u32_e32 v0, s7, v0
	v_add_co_u32 v8, vcc_lo, s8, v6
	v_add_co_ci_u32_e64 v9, null, s9, v7, vcc_lo
	v_add_co_u32 v6, vcc_lo, s10, v6
	v_add_co_ci_u32_e64 v7, null, s11, v7, vcc_lo
	global_load_dwordx2 v[8:9], v[8:9], off
	global_load_dwordx2 v[6:7], v[6:7], off
	s_waitcnt vmcnt(0)
	v_add_f64 v[6:7], v[8:9], -v[6:7]
	v_add_f64 v[4:5], v[4:5], -v[6:7]
	;; [unrolled: 1-line block ×3, first 2 shown]
	v_lshlrev_b64 v[6:7], 3, v[0:1]
	v_add_nc_u32_e32 v0, s2, v0
	v_add_co_u32 v8, vcc_lo, s8, v6
	v_add_co_ci_u32_e64 v9, null, s9, v7, vcc_lo
	v_add_co_u32 v6, vcc_lo, s10, v6
	v_add_co_ci_u32_e64 v7, null, s11, v7, vcc_lo
	global_load_dwordx2 v[8:9], v[8:9], off
	global_load_dwordx2 v[6:7], v[6:7], off
	s_waitcnt vmcnt(0)
	v_add_f64 v[6:7], v[8:9], -v[6:7]
	v_add_f64 v[4:5], v[4:5], -v[6:7]
	v_lshlrev_b64 v[6:7], 3, v[0:1]
	v_add_nc_u32_e32 v0, s3, v0
	v_add_co_u32 v8, vcc_lo, s8, v6
	v_add_co_ci_u32_e64 v9, null, s9, v7, vcc_lo
	v_add_co_u32 v6, vcc_lo, s10, v6
	v_add_co_ci_u32_e64 v7, null, s11, v7, vcc_lo
	global_load_dwordx2 v[8:9], v[8:9], off
	global_load_dwordx2 v[6:7], v[6:7], off
	s_waitcnt vmcnt(0)
	v_add_f64 v[6:7], v[8:9], -v[6:7]
	v_add_f64 v[4:5], v[4:5], v[6:7]
	v_lshlrev_b64 v[6:7], 3, v[0:1]
	v_add_nc_u32_e32 v0, s5, v0
	v_add_co_u32 v8, vcc_lo, s8, v6
	v_add_co_ci_u32_e64 v9, null, s9, v7, vcc_lo
	v_add_co_u32 v6, vcc_lo, s10, v6
	v_add_co_ci_u32_e64 v7, null, s11, v7, vcc_lo
	global_load_dwordx2 v[8:9], v[8:9], off
	global_load_dwordx2 v[6:7], v[6:7], off
	s_waitcnt vmcnt(0)
	v_add_f64 v[6:7], v[8:9], -v[6:7]
	v_add_f64 v[4:5], v[4:5], -v[6:7]
	;; [unrolled: 1-line block ×3, first 2 shown]
	v_lshlrev_b64 v[6:7], 3, v[0:1]
	v_add_nc_u32_e32 v0, s2, v0
	v_add_co_u32 v8, vcc_lo, s8, v6
	v_add_co_ci_u32_e64 v9, null, s9, v7, vcc_lo
	v_add_co_u32 v6, vcc_lo, s10, v6
	v_add_co_ci_u32_e64 v7, null, s11, v7, vcc_lo
	global_load_dwordx2 v[8:9], v[8:9], off
	global_load_dwordx2 v[6:7], v[6:7], off
	s_waitcnt vmcnt(0)
	v_add_f64 v[6:7], v[8:9], -v[6:7]
	v_add_f64 v[4:5], v[4:5], v[6:7]
	v_add_f64 v[4:5], v[6:7], v[4:5]
	v_lshlrev_b64 v[6:7], 3, v[0:1]
	v_add_nc_u32_e32 v0, s2, v0
	v_add_co_u32 v8, vcc_lo, s8, v6
	v_add_co_ci_u32_e64 v9, null, s9, v7, vcc_lo
	v_add_co_u32 v6, vcc_lo, s10, v6
	v_add_co_ci_u32_e64 v7, null, s11, v7, vcc_lo
	global_load_dwordx2 v[8:9], v[8:9], off
	global_load_dwordx2 v[6:7], v[6:7], off
	s_waitcnt vmcnt(0)
	v_add_f64 v[6:7], v[8:9], -v[6:7]
	v_add_f64 v[4:5], v[4:5], v[6:7]
	v_lshlrev_b64 v[6:7], 3, v[0:1]
	v_add_nc_u32_e32 v0, s6, v0
	v_add_co_u32 v8, vcc_lo, s8, v6
	v_add_co_ci_u32_e64 v9, null, s9, v7, vcc_lo
	v_add_co_u32 v6, vcc_lo, s10, v6
	v_add_co_ci_u32_e64 v7, null, s11, v7, vcc_lo
	global_load_dwordx2 v[8:9], v[8:9], off
	global_load_dwordx2 v[6:7], v[6:7], off
	s_waitcnt vmcnt(0)
	v_add_f64 v[6:7], v[8:9], -v[6:7]
	v_add_f64 v[4:5], v[4:5], -v[6:7]
	v_lshlrev_b64 v[6:7], 3, v[0:1]
	v_add_nc_u32_e32 v0, s2, v0
	v_add_co_u32 v8, vcc_lo, s8, v6
	v_add_co_ci_u32_e64 v9, null, s9, v7, vcc_lo
	v_add_co_u32 v6, vcc_lo, s10, v6
	v_add_co_ci_u32_e64 v7, null, s11, v7, vcc_lo
	global_load_dwordx2 v[8:9], v[8:9], off
	global_load_dwordx2 v[6:7], v[6:7], off
	s_waitcnt vmcnt(0)
	v_add_f64 v[6:7], v[8:9], -v[6:7]
	v_add_f64 v[4:5], v[4:5], v[6:7]
	v_lshlrev_b64 v[6:7], 3, v[0:1]
	v_add_nc_u32_e32 v0, s6, v0
	v_add_co_u32 v8, vcc_lo, s8, v6
	v_add_co_ci_u32_e64 v9, null, s9, v7, vcc_lo
	v_add_co_u32 v6, vcc_lo, s10, v6
	v_add_co_ci_u32_e64 v7, null, s11, v7, vcc_lo
	global_load_dwordx2 v[8:9], v[8:9], off
	global_load_dwordx2 v[6:7], v[6:7], off
	s_waitcnt vmcnt(0)
	v_add_f64 v[6:7], v[8:9], -v[6:7]
	v_add_f64 v[4:5], v[4:5], v[6:7]
	v_add_f64 v[2:3], v[4:5], -v[2:3]
	v_lshlrev_b64 v[4:5], 3, v[0:1]
	v_add_nc_u32_e32 v0, s5, v0
	v_add_co_u32 v6, vcc_lo, s8, v4
	v_add_co_ci_u32_e64 v7, null, s9, v5, vcc_lo
	v_add_co_u32 v4, vcc_lo, s10, v4
	v_add_co_ci_u32_e64 v5, null, s11, v5, vcc_lo
	global_load_dwordx2 v[6:7], v[6:7], off
	global_load_dwordx2 v[4:5], v[4:5], off
	s_waitcnt vmcnt(0)
	v_add_f64 v[4:5], v[6:7], -v[4:5]
	v_add_f64 v[2:3], v[2:3], -v[4:5]
	v_lshlrev_b64 v[4:5], 3, v[0:1]
	v_add_nc_u32_e32 v0, s4, v0
	v_add_co_u32 v6, vcc_lo, s8, v4
	v_add_co_ci_u32_e64 v7, null, s9, v5, vcc_lo
	v_add_co_u32 v4, vcc_lo, s10, v4
	v_add_co_ci_u32_e64 v5, null, s11, v5, vcc_lo
	global_load_dwordx2 v[6:7], v[6:7], off
	global_load_dwordx2 v[4:5], v[4:5], off
	s_waitcnt vmcnt(0)
	v_add_f64 v[4:5], v[6:7], -v[4:5]
	v_add_f64 v[2:3], v[2:3], v[4:5]
	v_lshlrev_b64 v[4:5], 3, v[0:1]
	v_add_nc_u32_e32 v0, s16, v0
	v_add_co_u32 v6, vcc_lo, s8, v4
	v_add_co_ci_u32_e64 v7, null, s9, v5, vcc_lo
	v_add_co_u32 v4, vcc_lo, s10, v4
	v_add_co_ci_u32_e64 v5, null, s11, v5, vcc_lo
	global_load_dwordx2 v[6:7], v[6:7], off
	global_load_dwordx2 v[4:5], v[4:5], off
	s_waitcnt vmcnt(0)
	v_add_f64 v[4:5], v[6:7], -v[4:5]
	v_add_f64 v[2:3], v[2:3], -v[4:5]
	v_lshlrev_b64 v[4:5], 3, v[0:1]
	v_add_nc_u32_e32 v0, s4, v0
	v_add_co_u32 v6, vcc_lo, s8, v4
	v_add_co_ci_u32_e64 v7, null, s9, v5, vcc_lo
	v_add_co_u32 v4, vcc_lo, s10, v4
	v_add_co_ci_u32_e64 v5, null, s11, v5, vcc_lo
	global_load_dwordx2 v[6:7], v[6:7], off
	global_load_dwordx2 v[4:5], v[4:5], off
	s_waitcnt vmcnt(0)
	v_add_f64 v[4:5], v[6:7], -v[4:5]
	v_add_f64 v[2:3], v[2:3], v[4:5]
	;; [unrolled: 22-line block ×3, first 2 shown]
	v_lshlrev_b64 v[4:5], 3, v[0:1]
	v_add_nc_u32_e32 v0, s2, v0
	v_add_co_u32 v6, vcc_lo, s8, v4
	v_add_co_ci_u32_e64 v7, null, s9, v5, vcc_lo
	v_add_co_u32 v4, vcc_lo, s10, v4
	v_add_co_ci_u32_e64 v5, null, s11, v5, vcc_lo
	global_load_dwordx2 v[6:7], v[6:7], off
	global_load_dwordx2 v[4:5], v[4:5], off
	s_waitcnt vmcnt(0)
	v_add_f64 v[4:5], v[6:7], -v[4:5]
	v_add_f64 v[2:3], v[2:3], -v[4:5]
	v_lshlrev_b64 v[4:5], 3, v[0:1]
	v_add_nc_u32_e32 v0, s2, v0
	v_add_co_u32 v6, vcc_lo, s8, v4
	v_add_co_ci_u32_e64 v7, null, s9, v5, vcc_lo
	v_add_co_u32 v4, vcc_lo, s10, v4
	v_add_co_ci_u32_e64 v5, null, s11, v5, vcc_lo
	global_load_dwordx2 v[6:7], v[6:7], off
	global_load_dwordx2 v[4:5], v[4:5], off
	s_waitcnt vmcnt(0)
	v_add_f64 v[4:5], v[6:7], -v[4:5]
	v_add_f64 v[2:3], v[2:3], -v[4:5]
	v_lshlrev_b64 v[4:5], 3, v[0:1]
	v_add_nc_u32_e32 v0, s16, v0
	v_add_co_u32 v6, vcc_lo, s8, v4
	v_add_co_ci_u32_e64 v7, null, s9, v5, vcc_lo
	v_add_co_u32 v4, vcc_lo, s10, v4
	v_add_co_ci_u32_e64 v5, null, s11, v5, vcc_lo
	global_load_dwordx2 v[6:7], v[6:7], off
	global_load_dwordx2 v[4:5], v[4:5], off
	s_waitcnt vmcnt(0)
	v_add_f64 v[4:5], v[6:7], -v[4:5]
	v_add_f64 v[2:3], v[2:3], v[4:5]
	v_lshlrev_b64 v[4:5], 3, v[0:1]
	v_add_nc_u32_e32 v0, s4, v0
	v_add_co_u32 v6, vcc_lo, s8, v4
	v_add_co_ci_u32_e64 v7, null, s9, v5, vcc_lo
	v_add_co_u32 v4, vcc_lo, s10, v4
	v_add_co_ci_u32_e64 v5, null, s11, v5, vcc_lo
	global_load_dwordx2 v[6:7], v[6:7], off
	global_load_dwordx2 v[4:5], v[4:5], off
	s_waitcnt vmcnt(0)
	v_add_f64 v[4:5], v[6:7], -v[4:5]
	v_add_f64 v[2:3], v[2:3], -v[4:5]
	v_lshlrev_b64 v[4:5], 3, v[0:1]
	v_add_nc_u32_e32 v0, s16, v0
	v_add_co_u32 v6, vcc_lo, s8, v4
	v_add_co_ci_u32_e64 v7, null, s9, v5, vcc_lo
	v_add_co_u32 v4, vcc_lo, s10, v4
	v_add_co_ci_u32_e64 v5, null, s11, v5, vcc_lo
	global_load_dwordx2 v[6:7], v[6:7], off
	global_load_dwordx2 v[4:5], v[4:5], off
	s_waitcnt vmcnt(0)
	v_add_f64 v[4:5], v[6:7], -v[4:5]
	v_add_f64 v[2:3], v[2:3], v[4:5]
	v_lshlrev_b64 v[4:5], 3, v[0:1]
	v_add_nc_u32_e32 v0, s2, v0
	v_add_co_u32 v6, vcc_lo, s8, v4
	v_add_co_ci_u32_e64 v7, null, s9, v5, vcc_lo
	v_add_co_u32 v4, vcc_lo, s10, v4
	v_add_co_ci_u32_e64 v5, null, s11, v5, vcc_lo
	global_load_dwordx2 v[6:7], v[6:7], off
	global_load_dwordx2 v[4:5], v[4:5], off
	s_waitcnt vmcnt(0)
	v_add_f64 v[4:5], v[6:7], -v[4:5]
	v_add_f64 v[2:3], v[2:3], v[4:5]
	v_lshlrev_b64 v[4:5], 3, v[0:1]
	v_add_nc_u32_e32 v0, s3, v0
	v_add_co_u32 v6, vcc_lo, s8, v4
	v_add_co_ci_u32_e64 v7, null, s9, v5, vcc_lo
	v_add_co_u32 v4, vcc_lo, s10, v4
	v_add_co_ci_u32_e64 v5, null, s11, v5, vcc_lo
	global_load_dwordx2 v[6:7], v[6:7], off
	global_load_dwordx2 v[4:5], v[4:5], off
	s_waitcnt vmcnt(0)
	v_add_f64 v[4:5], v[6:7], -v[4:5]
	v_add_f64 v[2:3], v[2:3], -v[4:5]
	v_lshlrev_b64 v[4:5], 3, v[0:1]
	v_add_nc_u32_e32 v0, s2, v0
	v_add_co_u32 v6, vcc_lo, s8, v4
	v_add_co_ci_u32_e64 v7, null, s9, v5, vcc_lo
	v_add_co_u32 v4, vcc_lo, s10, v4
	v_add_co_ci_u32_e64 v5, null, s11, v5, vcc_lo
	global_load_dwordx2 v[6:7], v[6:7], off
	global_load_dwordx2 v[4:5], v[4:5], off
	s_waitcnt vmcnt(0)
	v_add_f64 v[4:5], v[6:7], -v[4:5]
	v_add_f64 v[2:3], v[2:3], -v[4:5]
	;; [unrolled: 11-line block ×3, first 2 shown]
	v_lshlrev_b64 v[4:5], 3, v[0:1]
	v_add_nc_u32_e32 v0, s4, v0
	v_add_co_u32 v6, vcc_lo, s8, v4
	v_add_co_ci_u32_e64 v7, null, s9, v5, vcc_lo
	v_add_co_u32 v4, vcc_lo, s10, v4
	v_add_co_ci_u32_e64 v5, null, s11, v5, vcc_lo
	global_load_dwordx2 v[6:7], v[6:7], off
	global_load_dwordx2 v[4:5], v[4:5], off
	s_waitcnt vmcnt(0)
	v_add_f64 v[4:5], v[6:7], -v[4:5]
	v_add_f64 v[2:3], v[2:3], v[4:5]
	v_lshlrev_b64 v[4:5], 3, v[0:1]
	v_add_co_u32 v6, vcc_lo, s8, v4
	v_add_co_ci_u32_e64 v7, null, s9, v5, vcc_lo
	v_add_co_u32 v4, vcc_lo, s10, v4
	v_add_co_ci_u32_e64 v5, null, s11, v5, vcc_lo
	global_load_dwordx2 v[6:7], v[6:7], off
	global_load_dwordx2 v[4:5], v[4:5], off
	s_waitcnt vmcnt(0)
	v_add_f64 v[4:5], v[6:7], -v[4:5]
	v_add_f64 v[2:3], v[2:3], v[4:5]
	v_mad_u64_u32 v[4:5], null, s2, 12, v[0:1]
	v_mov_b32_e32 v5, v1
	v_lshlrev_b64 v[5:6], 3, v[4:5]
	v_add_nc_u32_e32 v0, s4, v4
	v_add_co_u32 v7, vcc_lo, s8, v5
	v_add_co_ci_u32_e64 v8, null, s9, v6, vcc_lo
	v_add_co_u32 v5, vcc_lo, s10, v5
	v_add_co_ci_u32_e64 v6, null, s11, v6, vcc_lo
	global_load_dwordx2 v[7:8], v[7:8], off
	global_load_dwordx2 v[5:6], v[5:6], off
	s_waitcnt vmcnt(0)
	v_add_f64 v[5:6], v[7:8], -v[5:6]
	v_add_f64 v[2:3], v[2:3], v[5:6]
	v_lshlrev_b64 v[4:5], 3, v[0:1]
	v_add_nc_u32_e32 v0, s2, v0
	v_add_co_u32 v6, vcc_lo, s8, v4
	v_add_co_ci_u32_e64 v7, null, s9, v5, vcc_lo
	v_add_co_u32 v4, vcc_lo, s10, v4
	v_add_co_ci_u32_e64 v5, null, s11, v5, vcc_lo
	global_load_dwordx2 v[6:7], v[6:7], off
	global_load_dwordx2 v[4:5], v[4:5], off
	s_waitcnt vmcnt(0)
	v_add_f64 v[4:5], v[6:7], -v[4:5]
	v_add_f64 v[2:3], v[2:3], v[4:5]
	v_lshlrev_b64 v[4:5], 3, v[0:1]
	v_add_nc_u32_e32 v0, s5, v0
	v_add_co_u32 v6, vcc_lo, s8, v4
	v_add_co_ci_u32_e64 v7, null, s9, v5, vcc_lo
	v_add_co_u32 v4, vcc_lo, s10, v4
	v_add_co_ci_u32_e64 v5, null, s11, v5, vcc_lo
	global_load_dwordx2 v[6:7], v[6:7], off
	global_load_dwordx2 v[4:5], v[4:5], off
	s_waitcnt vmcnt(0)
	v_add_f64 v[4:5], v[6:7], -v[4:5]
	v_add_f64 v[2:3], v[2:3], -v[4:5]
	v_lshlrev_b64 v[4:5], 3, v[0:1]
	v_add_nc_u32_e32 v0, s2, v0
	v_add_co_u32 v6, vcc_lo, s8, v4
	v_add_co_ci_u32_e64 v7, null, s9, v5, vcc_lo
	v_add_co_u32 v4, vcc_lo, s10, v4
	v_add_co_ci_u32_e64 v5, null, s11, v5, vcc_lo
	global_load_dwordx2 v[6:7], v[6:7], off
	global_load_dwordx2 v[4:5], v[4:5], off
	s_waitcnt vmcnt(0)
	v_add_f64 v[4:5], v[6:7], -v[4:5]
	v_add_f64 v[2:3], v[2:3], v[4:5]
	v_lshlrev_b64 v[4:5], 3, v[0:1]
	v_add_nc_u32_e32 v0, s3, v0
	v_add_co_u32 v6, vcc_lo, s8, v4
	v_add_co_ci_u32_e64 v7, null, s9, v5, vcc_lo
	v_add_co_u32 v4, vcc_lo, s10, v4
	v_add_co_ci_u32_e64 v5, null, s11, v5, vcc_lo
	global_load_dwordx2 v[6:7], v[6:7], off
	global_load_dwordx2 v[4:5], v[4:5], off
	s_waitcnt vmcnt(0)
	v_add_f64 v[4:5], v[6:7], -v[4:5]
	v_add_f64 v[2:3], v[2:3], -v[4:5]
	;; [unrolled: 22-line block ×3, first 2 shown]
	v_lshlrev_b64 v[4:5], 3, v[0:1]
	v_add_nc_u32_e32 v0, s7, v0
	v_add_co_u32 v6, vcc_lo, s8, v4
	v_add_co_ci_u32_e64 v7, null, s9, v5, vcc_lo
	v_add_co_u32 v4, vcc_lo, s10, v4
	v_add_co_ci_u32_e64 v5, null, s11, v5, vcc_lo
	global_load_dwordx2 v[6:7], v[6:7], off
	global_load_dwordx2 v[4:5], v[4:5], off
	s_waitcnt vmcnt(0)
	v_add_f64 v[4:5], v[6:7], -v[4:5]
	v_add_f64 v[2:3], v[2:3], -v[4:5]
	v_lshlrev_b64 v[4:5], 3, v[0:1]
	v_add_nc_u32_e32 v0, s7, v0
	v_add_co_u32 v6, vcc_lo, s8, v4
	v_add_co_ci_u32_e64 v7, null, s9, v5, vcc_lo
	v_add_co_u32 v4, vcc_lo, s10, v4
	v_add_co_ci_u32_e64 v5, null, s11, v5, vcc_lo
	global_load_dwordx2 v[6:7], v[6:7], off
	global_load_dwordx2 v[4:5], v[4:5], off
	s_waitcnt vmcnt(0)
	v_add_f64 v[4:5], v[6:7], -v[4:5]
	v_add_f64 v[2:3], v[2:3], -v[4:5]
	v_lshlrev_b64 v[4:5], 3, v[0:1]
	v_add_nc_u32_e32 v0, s4, v0
	v_add_co_u32 v6, vcc_lo, s8, v4
	v_add_co_ci_u32_e64 v7, null, s9, v5, vcc_lo
	v_add_co_u32 v4, vcc_lo, s10, v4
	v_add_co_ci_u32_e64 v5, null, s11, v5, vcc_lo
	global_load_dwordx2 v[6:7], v[6:7], off
	global_load_dwordx2 v[4:5], v[4:5], off
	s_waitcnt vmcnt(0)
	v_add_f64 v[4:5], v[6:7], -v[4:5]
	v_add_f64 v[2:3], v[2:3], v[4:5]
	v_lshlrev_b64 v[4:5], 3, v[0:1]
	v_add_nc_u32_e32 v0, s3, v0
	v_add_co_u32 v6, vcc_lo, s8, v4
	v_add_co_ci_u32_e64 v7, null, s9, v5, vcc_lo
	v_add_co_u32 v4, vcc_lo, s10, v4
	v_add_co_ci_u32_e64 v5, null, s11, v5, vcc_lo
	global_load_dwordx2 v[6:7], v[6:7], off
	global_load_dwordx2 v[4:5], v[4:5], off
	s_waitcnt vmcnt(0)
	v_add_f64 v[4:5], v[6:7], -v[4:5]
	v_add_f64 v[2:3], v[2:3], -v[4:5]
	v_lshlrev_b64 v[4:5], 3, v[0:1]
	v_add_nc_u32_e32 v0, s6, v0
	v_add_co_u32 v6, vcc_lo, s8, v4
	v_add_co_ci_u32_e64 v7, null, s9, v5, vcc_lo
	v_add_co_u32 v4, vcc_lo, s10, v4
	v_add_co_ci_u32_e64 v5, null, s11, v5, vcc_lo
	global_load_dwordx2 v[6:7], v[6:7], off
	global_load_dwordx2 v[4:5], v[4:5], off
	s_waitcnt vmcnt(0)
	v_add_f64 v[4:5], v[6:7], -v[4:5]
	v_add_f64 v[2:3], v[2:3], -v[4:5]
	v_lshlrev_b64 v[4:5], 3, v[0:1]
	v_add_co_u32 v6, vcc_lo, s8, v4
	v_add_co_ci_u32_e64 v7, null, s9, v5, vcc_lo
	v_add_co_u32 v4, vcc_lo, s10, v4
	v_add_co_ci_u32_e64 v5, null, s11, v5, vcc_lo
	global_load_dwordx2 v[6:7], v[6:7], off
	global_load_dwordx2 v[4:5], v[4:5], off
	s_waitcnt vmcnt(0)
	v_add_f64 v[4:5], v[6:7], -v[4:5]
	v_add_f64 v[2:3], v[2:3], v[4:5]
	v_mad_u64_u32 v[4:5], null, s2, 10, v[0:1]
	v_mov_b32_e32 v5, v1
	v_lshlrev_b64 v[5:6], 3, v[4:5]
	v_add_nc_u32_e32 v0, s2, v4
	v_add_co_u32 v7, vcc_lo, s8, v5
	v_add_co_ci_u32_e64 v8, null, s9, v6, vcc_lo
	v_add_co_u32 v5, vcc_lo, s10, v5
	v_add_co_ci_u32_e64 v6, null, s11, v6, vcc_lo
	global_load_dwordx2 v[7:8], v[7:8], off
	global_load_dwordx2 v[5:6], v[5:6], off
	s_waitcnt vmcnt(0)
	v_add_f64 v[5:6], v[7:8], -v[5:6]
	v_add_f64 v[2:3], v[2:3], v[5:6]
	v_lshlrev_b64 v[4:5], 3, v[0:1]
	v_add_nc_u32_e32 v0, s4, v0
	v_add_co_u32 v6, vcc_lo, s8, v4
	v_add_co_ci_u32_e64 v7, null, s9, v5, vcc_lo
	v_add_co_u32 v4, vcc_lo, s10, v4
	v_add_co_ci_u32_e64 v5, null, s11, v5, vcc_lo
	global_load_dwordx2 v[6:7], v[6:7], off
	global_load_dwordx2 v[4:5], v[4:5], off
	s_waitcnt vmcnt(0)
	v_add_f64 v[4:5], v[6:7], -v[4:5]
	v_add_f64 v[2:3], v[2:3], -v[4:5]
	v_lshlrev_b64 v[4:5], 3, v[0:1]
	v_add_nc_u32_e32 v0, s6, v0
	v_add_co_u32 v6, vcc_lo, s8, v4
	v_add_co_ci_u32_e64 v7, null, s9, v5, vcc_lo
	v_add_co_u32 v4, vcc_lo, s10, v4
	v_add_co_ci_u32_e64 v5, null, s11, v5, vcc_lo
	global_load_dwordx2 v[6:7], v[6:7], off
	global_load_dwordx2 v[4:5], v[4:5], off
	s_waitcnt vmcnt(0)
	v_add_f64 v[4:5], v[6:7], -v[4:5]
	v_add_f64 v[2:3], v[2:3], v[4:5]
	v_lshlrev_b64 v[4:5], 3, v[0:1]
	v_add_nc_u32_e32 v0, s5, v0
	v_add_co_u32 v6, vcc_lo, s8, v4
	v_add_co_ci_u32_e64 v7, null, s9, v5, vcc_lo
	v_add_co_u32 v4, vcc_lo, s10, v4
	v_add_co_ci_u32_e64 v5, null, s11, v5, vcc_lo
	global_load_dwordx2 v[6:7], v[6:7], off
	global_load_dwordx2 v[4:5], v[4:5], off
	s_waitcnt vmcnt(0)
	v_add_f64 v[4:5], v[6:7], -v[4:5]
	v_add_f64 v[2:3], v[2:3], v[4:5]
	v_lshlrev_b64 v[4:5], 3, v[0:1]
	v_add_nc_u32_e32 v0, s4, v0
	v_add_co_u32 v6, vcc_lo, s8, v4
	v_add_co_ci_u32_e64 v7, null, s9, v5, vcc_lo
	v_add_co_u32 v4, vcc_lo, s10, v4
	v_add_co_ci_u32_e64 v5, null, s11, v5, vcc_lo
	global_load_dwordx2 v[6:7], v[6:7], off
	global_load_dwordx2 v[4:5], v[4:5], off
	s_waitcnt vmcnt(0)
	v_add_f64 v[4:5], v[6:7], -v[4:5]
	v_add_f64 v[2:3], v[2:3], -v[4:5]
	v_lshlrev_b64 v[4:5], 3, v[0:1]
	v_add_co_u32 v6, vcc_lo, s8, v4
	v_add_co_ci_u32_e64 v7, null, s9, v5, vcc_lo
	v_add_co_u32 v4, vcc_lo, s10, v4
	v_add_co_ci_u32_e64 v5, null, s11, v5, vcc_lo
	global_load_dwordx2 v[6:7], v[6:7], off
	global_load_dwordx2 v[4:5], v[4:5], off
	s_waitcnt vmcnt(0)
	v_add_f64 v[4:5], v[6:7], -v[4:5]
	v_add_f64 v[2:3], v[2:3], v[4:5]
	v_mad_u64_u32 v[4:5], null, s2, 14, v[0:1]
	v_mov_b32_e32 v5, v1
	v_lshlrev_b64 v[5:6], 3, v[4:5]
	v_add_nc_u32_e32 v0, s6, v4
	v_add_co_u32 v7, vcc_lo, s8, v5
	v_add_co_ci_u32_e64 v8, null, s9, v6, vcc_lo
	v_add_co_u32 v5, vcc_lo, s10, v5
	v_add_co_ci_u32_e64 v6, null, s11, v6, vcc_lo
	global_load_dwordx2 v[7:8], v[7:8], off
	global_load_dwordx2 v[5:6], v[5:6], off
	s_waitcnt vmcnt(0)
	v_add_f64 v[5:6], v[7:8], -v[5:6]
	v_add_f64 v[2:3], v[2:3], v[5:6]
	v_lshlrev_b64 v[4:5], 3, v[0:1]
	v_add_nc_u32_e32 v0, s2, v0
	v_add_co_u32 v6, vcc_lo, s8, v4
	v_add_co_ci_u32_e64 v7, null, s9, v5, vcc_lo
	v_add_co_u32 v4, vcc_lo, s10, v4
	v_add_co_ci_u32_e64 v5, null, s11, v5, vcc_lo
	global_load_dwordx2 v[6:7], v[6:7], off
	global_load_dwordx2 v[4:5], v[4:5], off
	s_waitcnt vmcnt(0)
	v_add_f64 v[4:5], v[6:7], -v[4:5]
	v_add_f64 v[2:3], v[2:3], v[4:5]
	v_lshlrev_b64 v[4:5], 3, v[0:1]
	v_add_nc_u32_e32 v0, s3, v0
	v_add_co_u32 v6, vcc_lo, s8, v4
	v_add_co_ci_u32_e64 v7, null, s9, v5, vcc_lo
	v_add_co_u32 v4, vcc_lo, s10, v4
	v_add_co_ci_u32_e64 v5, null, s11, v5, vcc_lo
	global_load_dwordx2 v[6:7], v[6:7], off
	global_load_dwordx2 v[4:5], v[4:5], off
	s_waitcnt vmcnt(0)
	v_add_f64 v[4:5], v[6:7], -v[4:5]
	v_add_f64 v[2:3], v[2:3], -v[4:5]
	v_lshlrev_b64 v[4:5], 3, v[0:1]
	v_add_co_u32 v6, vcc_lo, s8, v4
	v_add_co_ci_u32_e64 v7, null, s9, v5, vcc_lo
	v_add_co_u32 v4, vcc_lo, s10, v4
	v_add_co_ci_u32_e64 v5, null, s11, v5, vcc_lo
	global_load_dwordx2 v[6:7], v[6:7], off
	global_load_dwordx2 v[4:5], v[4:5], off
	s_waitcnt vmcnt(0)
	v_add_f64 v[4:5], v[6:7], -v[4:5]
	v_add_f64 v[2:3], v[2:3], v[4:5]
	v_mad_u64_u32 v[4:5], null, s2, 7, v[0:1]
	v_mov_b32_e32 v5, v1
	v_lshlrev_b64 v[5:6], 3, v[4:5]
	v_add_nc_u32_e32 v0, s2, v4
	v_add_co_u32 v7, vcc_lo, s8, v5
	v_add_co_ci_u32_e64 v8, null, s9, v6, vcc_lo
	v_add_co_u32 v5, vcc_lo, s10, v5
	v_add_co_ci_u32_e64 v6, null, s11, v6, vcc_lo
	global_load_dwordx2 v[7:8], v[7:8], off
	global_load_dwordx2 v[5:6], v[5:6], off
	s_waitcnt vmcnt(0)
	v_add_f64 v[5:6], v[7:8], -v[5:6]
	v_add_f64 v[2:3], v[2:3], v[5:6]
	v_lshlrev_b64 v[4:5], 3, v[0:1]
	v_add_nc_u32_e32 v0, s3, v0
	v_add_co_u32 v6, vcc_lo, s8, v4
	v_add_co_ci_u32_e64 v7, null, s9, v5, vcc_lo
	v_add_co_u32 v4, vcc_lo, s10, v4
	v_add_co_ci_u32_e64 v5, null, s11, v5, vcc_lo
	global_load_dwordx2 v[6:7], v[6:7], off
	global_load_dwordx2 v[4:5], v[4:5], off
	s_waitcnt vmcnt(0)
	v_add_f64 v[4:5], v[6:7], -v[4:5]
	v_add_f64 v[2:3], v[2:3], -v[4:5]
	v_lshlrev_b64 v[4:5], 3, v[0:1]
	v_add_nc_u32_e32 v0, s4, v0
	v_add_co_u32 v6, vcc_lo, s8, v4
	v_add_co_ci_u32_e64 v7, null, s9, v5, vcc_lo
	v_add_co_u32 v4, vcc_lo, s10, v4
	v_add_co_ci_u32_e64 v5, null, s11, v5, vcc_lo
	global_load_dwordx2 v[6:7], v[6:7], off
	global_load_dwordx2 v[4:5], v[4:5], off
	s_waitcnt vmcnt(0)
	v_add_f64 v[4:5], v[6:7], -v[4:5]
	v_lshlrev_b64 v[6:7], 3, v[0:1]
	v_add_f64 v[2:3], v[2:3], -v[4:5]
	v_add_co_u32 v4, vcc_lo, s8, v6
	v_add_co_ci_u32_e64 v5, null, s9, v7, vcc_lo
	v_add_co_u32 v6, vcc_lo, s10, v6
	v_add_co_ci_u32_e64 v7, null, s11, v7, vcc_lo
	global_load_dwordx2 v[4:5], v[4:5], off
	global_load_dwordx2 v[6:7], v[6:7], off
	s_waitcnt vmcnt(0)
	v_add_f64 v[4:5], v[4:5], -v[6:7]
	v_add_f64 v[2:3], v[2:3], v[4:5]
	v_mad_u64_u32 v[4:5], null, 0xffffff39, s2, v[0:1]
	v_mov_b32_e32 v5, v1
	v_lshlrev_b64 v[0:1], 3, v[4:5]
	v_add_co_u32 v0, vcc_lo, s12, v0
	v_add_co_ci_u32_e64 v1, null, s13, v1, vcc_lo
	v_mul_f64 v[2:3], s[14:15], v[2:3]
	s_waitcnt lgkmcnt(0)
	v_mul_f64 v[2:3], s[0:1], v[2:3]
	global_store_dwordx2 v[0:1], v[2:3], off
	s_endpgm
	.section	.rodata,"a",@progbits
	.p2align	6, 0x0
	.amdhsa_kernel _Z14rdwdot9_kernelIdEvPKT_S2_PS0_S0_S2_
		.amdhsa_group_segment_fixed_size 0
		.amdhsa_private_segment_fixed_size 0
		.amdhsa_kernarg_size 296
		.amdhsa_user_sgpr_count 6
		.amdhsa_user_sgpr_private_segment_buffer 1
		.amdhsa_user_sgpr_dispatch_ptr 0
		.amdhsa_user_sgpr_queue_ptr 0
		.amdhsa_user_sgpr_kernarg_segment_ptr 1
		.amdhsa_user_sgpr_dispatch_id 0
		.amdhsa_user_sgpr_flat_scratch_init 0
		.amdhsa_user_sgpr_private_segment_size 0
		.amdhsa_wavefront_size32 1
		.amdhsa_uses_dynamic_stack 0
		.amdhsa_system_sgpr_private_segment_wavefront_offset 0
		.amdhsa_system_sgpr_workgroup_id_x 1
		.amdhsa_system_sgpr_workgroup_id_y 0
		.amdhsa_system_sgpr_workgroup_id_z 0
		.amdhsa_system_sgpr_workgroup_info 0
		.amdhsa_system_vgpr_workitem_id 0
		.amdhsa_next_free_vgpr 11
		.amdhsa_next_free_sgpr 17
		.amdhsa_reserve_vcc 1
		.amdhsa_reserve_flat_scratch 0
		.amdhsa_float_round_mode_32 0
		.amdhsa_float_round_mode_16_64 0
		.amdhsa_float_denorm_mode_32 3
		.amdhsa_float_denorm_mode_16_64 3
		.amdhsa_dx10_clamp 1
		.amdhsa_ieee_mode 1
		.amdhsa_fp16_overflow 0
		.amdhsa_workgroup_processor_mode 1
		.amdhsa_memory_ordered 1
		.amdhsa_forward_progress 1
		.amdhsa_shared_vgpr_count 0
		.amdhsa_exception_fp_ieee_invalid_op 0
		.amdhsa_exception_fp_denorm_src 0
		.amdhsa_exception_fp_ieee_div_zero 0
		.amdhsa_exception_fp_ieee_overflow 0
		.amdhsa_exception_fp_ieee_underflow 0
		.amdhsa_exception_fp_ieee_inexact 0
		.amdhsa_exception_int_div_zero 0
	.end_amdhsa_kernel
	.section	.text._Z14rdwdot9_kernelIdEvPKT_S2_PS0_S0_S2_,"axG",@progbits,_Z14rdwdot9_kernelIdEvPKT_S2_PS0_S0_S2_,comdat
.Lfunc_end52:
	.size	_Z14rdwdot9_kernelIdEvPKT_S2_PS0_S0_S2_, .Lfunc_end52-_Z14rdwdot9_kernelIdEvPKT_S2_PS0_S0_S2_
                                        ; -- End function
	.set _Z14rdwdot9_kernelIdEvPKT_S2_PS0_S0_S2_.num_vgpr, 11
	.set _Z14rdwdot9_kernelIdEvPKT_S2_PS0_S0_S2_.num_agpr, 0
	.set _Z14rdwdot9_kernelIdEvPKT_S2_PS0_S0_S2_.numbered_sgpr, 17
	.set _Z14rdwdot9_kernelIdEvPKT_S2_PS0_S0_S2_.num_named_barrier, 0
	.set _Z14rdwdot9_kernelIdEvPKT_S2_PS0_S0_S2_.private_seg_size, 0
	.set _Z14rdwdot9_kernelIdEvPKT_S2_PS0_S0_S2_.uses_vcc, 1
	.set _Z14rdwdot9_kernelIdEvPKT_S2_PS0_S0_S2_.uses_flat_scratch, 0
	.set _Z14rdwdot9_kernelIdEvPKT_S2_PS0_S0_S2_.has_dyn_sized_stack, 0
	.set _Z14rdwdot9_kernelIdEvPKT_S2_PS0_S0_S2_.has_recursion, 0
	.set _Z14rdwdot9_kernelIdEvPKT_S2_PS0_S0_S2_.has_indirect_call, 0
	.section	.AMDGPU.csdata,"",@progbits
; Kernel info:
; codeLenInByte = 4860
; TotalNumSgprs: 19
; NumVgprs: 11
; ScratchSize: 0
; MemoryBound: 0
; FloatMode: 240
; IeeeMode: 1
; LDSByteSize: 0 bytes/workgroup (compile time only)
; SGPRBlocks: 0
; VGPRBlocks: 1
; NumSGPRsForWavesPerEU: 19
; NumVGPRsForWavesPerEU: 11
; Occupancy: 16
; WaveLimiterHint : 0
; COMPUTE_PGM_RSRC2:SCRATCH_EN: 0
; COMPUTE_PGM_RSRC2:USER_SGPR: 6
; COMPUTE_PGM_RSRC2:TRAP_HANDLER: 0
; COMPUTE_PGM_RSRC2:TGID_X_EN: 1
; COMPUTE_PGM_RSRC2:TGID_Y_EN: 0
; COMPUTE_PGM_RSRC2:TGID_Z_EN: 0
; COMPUTE_PGM_RSRC2:TIDIG_COMP_CNT: 0
	.section	.text._Z15rdwdot10_kernelIdEvPKT_S2_PS0_S0_S2_,"axG",@progbits,_Z15rdwdot10_kernelIdEvPKT_S2_PS0_S0_S2_,comdat
	.protected	_Z15rdwdot10_kernelIdEvPKT_S2_PS0_S0_S2_ ; -- Begin function _Z15rdwdot10_kernelIdEvPKT_S2_PS0_S0_S2_
	.globl	_Z15rdwdot10_kernelIdEvPKT_S2_PS0_S0_S2_
	.p2align	8
	.type	_Z15rdwdot10_kernelIdEvPKT_S2_PS0_S0_S2_,@function
_Z15rdwdot10_kernelIdEvPKT_S2_PS0_S0_S2_: ; @_Z15rdwdot10_kernelIdEvPKT_S2_PS0_S0_S2_
; %bb.0:
	s_clause 0x3
	s_load_dwordx8 s[8:15], s[4:5], 0x0
	s_load_dwordx2 s[16:17], s[4:5], 0x20
	s_load_dword s0, s[4:5], 0x28
	s_load_dword s1, s[4:5], 0x34
	s_waitcnt lgkmcnt(0)
	s_load_dwordx2 s[26:27], s[16:17], 0x0
	s_and_b32 s2, s1, 0xffff
	v_mad_u64_u32 v[10:11], null, s6, s2, v[0:1]
	s_mul_i32 s4, s0, s2
	v_mov_b32_e32 v1, 0
	s_mul_i32 s1, s4, 11
	s_mul_i32 s0, s4, 7
	s_lshl_b32 s5, s4, 2
	s_mul_i32 s7, s4, 15
	v_add_nc_u32_e32 v0, s1, v10
	s_mul_i32 s6, s4, 6
	s_mul_i32 s2, s4, 5
	;; [unrolled: 1-line block ×3, first 2 shown]
	s_lshl_b32 s19, s4, 1
	v_lshlrev_b64 v[2:3], 3, v[0:1]
	v_add_nc_u32_e32 v0, s4, v0
	s_mul_i32 s3, s4, 3
	s_lshl_b32 s21, s4, 3
	s_lshl_b32 s23, s4, 4
	s_mul_i32 s20, s4, 14
	v_add_co_u32 v4, vcc_lo, s8, v2
	v_add_co_ci_u32_e64 v5, null, s9, v3, vcc_lo
	v_add_co_u32 v2, vcc_lo, s10, v2
	v_add_co_ci_u32_e64 v3, null, s11, v3, vcc_lo
	global_load_dwordx2 v[4:5], v[4:5], off
	s_mul_i32 s24, s4, 12
	s_mul_i32 s22, s4, 17
	global_load_dwordx2 v[2:3], v[2:3], off
	s_waitcnt vmcnt(0)
	v_add_f64 v[2:3], v[4:5], -v[2:3]
	v_lshlrev_b64 v[4:5], 3, v[0:1]
	v_add_nc_u32_e32 v0, s4, v0
	v_add_co_u32 v6, vcc_lo, s8, v4
	v_add_co_ci_u32_e64 v7, null, s9, v5, vcc_lo
	v_add_co_u32 v4, vcc_lo, s10, v4
	v_add_co_ci_u32_e64 v5, null, s11, v5, vcc_lo
	global_load_dwordx2 v[6:7], v[6:7], off
	global_load_dwordx2 v[4:5], v[4:5], off
	s_waitcnt vmcnt(0)
	v_add_f64 v[4:5], v[6:7], -v[4:5]
	v_add_f64 v[2:3], v[2:3], v[4:5]
	v_lshlrev_b64 v[4:5], 3, v[0:1]
	v_add_nc_u32_e32 v0, s4, v0
	v_add_co_u32 v6, vcc_lo, s8, v4
	v_add_co_ci_u32_e64 v7, null, s9, v5, vcc_lo
	v_add_co_u32 v4, vcc_lo, s10, v4
	v_add_co_ci_u32_e64 v5, null, s11, v5, vcc_lo
	global_load_dwordx2 v[6:7], v[6:7], off
	global_load_dwordx2 v[4:5], v[4:5], off
	s_waitcnt vmcnt(0)
	v_add_f64 v[4:5], v[6:7], -v[4:5]
	v_add_f64 v[2:3], v[2:3], v[4:5]
	;; [unrolled: 11-line block ×3, first 2 shown]
	v_lshlrev_b64 v[2:3], 3, v[0:1]
	v_add_nc_u32_e32 v0, s4, v0
	v_add_co_u32 v4, vcc_lo, s8, v2
	v_add_co_ci_u32_e64 v5, null, s9, v3, vcc_lo
	v_add_co_u32 v2, vcc_lo, s10, v2
	v_add_co_ci_u32_e64 v3, null, s11, v3, vcc_lo
	global_load_dwordx2 v[4:5], v[4:5], off
	global_load_dwordx2 v[2:3], v[2:3], off
	s_waitcnt vmcnt(0)
	v_add_f64 v[2:3], v[4:5], -v[2:3]
	v_lshlrev_b64 v[4:5], 3, v[0:1]
	v_add_nc_u32_e32 v0, s5, v0
	v_add_co_u32 v6, vcc_lo, s8, v4
	v_add_co_ci_u32_e64 v7, null, s9, v5, vcc_lo
	v_add_co_u32 v4, vcc_lo, s10, v4
	v_add_co_ci_u32_e64 v5, null, s11, v5, vcc_lo
	global_load_dwordx2 v[6:7], v[6:7], off
	global_load_dwordx2 v[4:5], v[4:5], off
	s_waitcnt vmcnt(0)
	v_add_f64 v[4:5], v[6:7], -v[4:5]
	v_add_f64 v[20:21], v[2:3], v[4:5]
	v_lshlrev_b64 v[2:3], 3, v[0:1]
	v_add_nc_u32_e32 v0, s4, v0
	v_add_co_u32 v4, vcc_lo, s8, v2
	v_add_co_ci_u32_e64 v5, null, s9, v3, vcc_lo
	v_add_co_u32 v2, vcc_lo, s10, v2
	v_add_co_ci_u32_e64 v3, null, s11, v3, vcc_lo
	global_load_dwordx2 v[4:5], v[4:5], off
	global_load_dwordx2 v[2:3], v[2:3], off
	s_waitcnt vmcnt(0)
	v_add_f64 v[2:3], v[4:5], -v[2:3]
	v_lshlrev_b64 v[4:5], 3, v[0:1]
	v_add_co_u32 v6, vcc_lo, s8, v4
	v_add_co_ci_u32_e64 v7, null, s9, v5, vcc_lo
	v_add_co_u32 v4, vcc_lo, s10, v4
	v_add_co_ci_u32_e64 v5, null, s11, v5, vcc_lo
	global_load_dwordx2 v[6:7], v[6:7], off
	global_load_dwordx2 v[4:5], v[4:5], off
	s_waitcnt vmcnt(0)
	v_add_f64 v[4:5], v[6:7], -v[4:5]
	v_add_f64 v[4:5], v[2:3], v[4:5]
	v_mad_u64_u32 v[2:3], null, 0xffffffe9, s4, v[0:1]
	v_mov_b32_e32 v3, v1
	v_lshlrev_b64 v[6:7], 3, v[2:3]
	v_add_nc_u32_e32 v0, s4, v2
	v_add_co_u32 v8, vcc_lo, s8, v6
	v_add_co_ci_u32_e64 v9, null, s9, v7, vcc_lo
	v_add_co_u32 v6, vcc_lo, s10, v6
	v_add_co_ci_u32_e64 v7, null, s11, v7, vcc_lo
	global_load_dwordx2 v[8:9], v[8:9], off
	v_lshlrev_b64 v[2:3], 3, v[0:1]
	v_add_nc_u32_e32 v0, s4, v0
	global_load_dwordx2 v[6:7], v[6:7], off
	s_waitcnt vmcnt(0)
	v_add_f64 v[6:7], v[8:9], -v[6:7]
	v_add_co_u32 v8, vcc_lo, s8, v2
	v_add_co_ci_u32_e64 v9, null, s9, v3, vcc_lo
	v_add_co_u32 v11, vcc_lo, s10, v2
	v_add_co_ci_u32_e64 v12, null, s11, v3, vcc_lo
	global_load_dwordx2 v[8:9], v[8:9], off
	global_load_dwordx2 v[11:12], v[11:12], off
	s_waitcnt vmcnt(0)
	v_add_f64 v[8:9], v[8:9], -v[11:12]
	v_add_f64 v[6:7], v[6:7], v[8:9]
	v_lshlrev_b64 v[8:9], 3, v[0:1]
	v_add_nc_u32_e32 v0, s4, v0
	v_add_co_u32 v11, vcc_lo, s8, v8
	v_add_co_ci_u32_e64 v12, null, s9, v9, vcc_lo
	v_add_co_u32 v8, vcc_lo, s10, v8
	v_add_co_ci_u32_e64 v9, null, s11, v9, vcc_lo
	global_load_dwordx2 v[11:12], v[11:12], off
	global_load_dwordx2 v[8:9], v[8:9], off
	s_waitcnt vmcnt(0)
	v_add_f64 v[8:9], v[11:12], -v[8:9]
	v_add_f64 v[6:7], v[6:7], v[8:9]
	v_lshlrev_b64 v[8:9], 3, v[0:1]
	v_add_nc_u32_e32 v0, s4, v10
	v_add_co_u32 v11, vcc_lo, s8, v8
	v_add_co_ci_u32_e64 v12, null, s9, v9, vcc_lo
	v_add_co_u32 v8, vcc_lo, s10, v8
	v_add_co_ci_u32_e64 v9, null, s11, v9, vcc_lo
	global_load_dwordx2 v[11:12], v[11:12], off
	global_load_dwordx2 v[8:9], v[8:9], off
	s_waitcnt vmcnt(0)
	v_add_f64 v[8:9], v[11:12], -v[8:9]
	v_mov_b32_e32 v11, v1
	v_lshlrev_b64 v[10:11], 3, v[10:11]
	v_add_f64 v[14:15], v[6:7], v[8:9]
	v_lshlrev_b64 v[6:7], 3, v[0:1]
	v_add_nc_u32_e32 v0, s4, v0
	v_add_co_u32 v8, vcc_lo, s8, v6
	v_add_co_ci_u32_e64 v9, null, s9, v7, vcc_lo
	v_add_co_u32 v6, vcc_lo, s10, v6
	v_add_co_ci_u32_e64 v7, null, s11, v7, vcc_lo
	global_load_dwordx2 v[8:9], v[8:9], off
	v_lshlrev_b64 v[22:23], 3, v[0:1]
	v_add_nc_u32_e32 v0, s7, v0
	global_load_dwordx2 v[6:7], v[6:7], off
	s_waitcnt vmcnt(0)
	v_add_f64 v[12:13], v[8:9], -v[6:7]
	v_add_co_u32 v6, vcc_lo, s8, v22
	v_add_co_ci_u32_e64 v7, null, s9, v23, vcc_lo
	v_add_co_u32 v8, vcc_lo, s10, v22
	v_add_co_ci_u32_e64 v9, null, s11, v23, vcc_lo
	global_load_dwordx2 v[16:17], v[6:7], off
	global_load_dwordx2 v[24:25], v[8:9], off
	s_waitcnt vmcnt(0)
	v_add_f64 v[16:17], v[16:17], -v[24:25]
	v_add_f64 v[16:17], -v[12:13], -v[16:17]
	v_add_f64 v[14:15], v[14:15], v[16:17]
	v_lshlrev_b64 v[16:17], 3, v[0:1]
	v_add_nc_u32_e32 v0, s6, v0
	v_add_co_u32 v24, vcc_lo, s8, v16
	v_add_co_ci_u32_e64 v25, null, s9, v17, vcc_lo
	v_add_co_u32 v16, vcc_lo, s10, v16
	v_add_co_ci_u32_e64 v17, null, s11, v17, vcc_lo
	global_load_dwordx2 v[24:25], v[24:25], off
	global_load_dwordx2 v[16:17], v[16:17], off
	s_waitcnt vmcnt(0)
	v_add_f64 v[24:25], v[24:25], -v[16:17]
	v_lshlrev_b64 v[16:17], 3, v[0:1]
	v_add_nc_u32_e32 v0, s0, v0
	v_add_co_u32 v26, vcc_lo, s8, v16
	v_add_co_ci_u32_e64 v27, null, s9, v17, vcc_lo
	v_add_co_u32 v16, vcc_lo, s10, v16
	v_add_co_ci_u32_e64 v17, null, s11, v17, vcc_lo
	global_load_dwordx2 v[26:27], v[26:27], off
	global_load_dwordx2 v[16:17], v[16:17], off
	v_add_f64 v[14:15], v[14:15], v[24:25]
	s_waitcnt vmcnt(0)
	v_add_f64 v[16:17], v[26:27], -v[16:17]
	v_add_f64 v[14:15], v[14:15], v[16:17]
	v_lshlrev_b64 v[16:17], 3, v[0:1]
	v_add_nc_u32_e32 v0, s2, v0
	v_add_co_u32 v26, vcc_lo, s8, v16
	v_add_co_ci_u32_e64 v27, null, s9, v17, vcc_lo
	v_add_co_u32 v16, vcc_lo, s10, v16
	v_add_co_ci_u32_e64 v17, null, s11, v17, vcc_lo
	global_load_dwordx2 v[26:27], v[26:27], off
	global_load_dwordx2 v[16:17], v[16:17], off
	s_waitcnt vmcnt(0)
	v_add_f64 v[16:17], v[26:27], -v[16:17]
	v_add_f64 v[14:15], v[14:15], -v[16:17]
	v_lshlrev_b64 v[16:17], 3, v[0:1]
	v_add_nc_u32_e32 v0, s6, v0
	v_add_co_u32 v26, vcc_lo, s8, v16
	v_add_co_ci_u32_e64 v27, null, s9, v17, vcc_lo
	v_add_co_u32 v16, vcc_lo, s10, v16
	v_add_co_ci_u32_e64 v17, null, s11, v17, vcc_lo
	global_load_dwordx2 v[26:27], v[26:27], off
	global_load_dwordx2 v[16:17], v[16:17], off
	s_waitcnt vmcnt(0)
	v_add_f64 v[16:17], v[26:27], -v[16:17]
	v_add_f64 v[14:15], v[14:15], -v[16:17]
	v_lshlrev_b64 v[16:17], 3, v[0:1]
	v_add_nc_u32_e32 v0, s0, v0
	v_add_co_u32 v26, vcc_lo, s8, v16
	v_add_co_ci_u32_e64 v27, null, s9, v17, vcc_lo
	v_add_co_u32 v16, vcc_lo, s10, v16
	v_add_co_ci_u32_e64 v17, null, s11, v17, vcc_lo
	global_load_dwordx2 v[26:27], v[26:27], off
	global_load_dwordx2 v[16:17], v[16:17], off
	s_waitcnt vmcnt(0)
	v_add_f64 v[16:17], v[26:27], -v[16:17]
	v_add_f64 v[14:15], v[14:15], v[16:17]
	v_lshlrev_b64 v[16:17], 3, v[0:1]
	v_add_nc_u32_e32 v0, s18, v0
	v_add_co_u32 v26, vcc_lo, s8, v16
	v_add_co_ci_u32_e64 v27, null, s9, v17, vcc_lo
	v_add_co_u32 v16, vcc_lo, s10, v16
	v_add_co_ci_u32_e64 v17, null, s11, v17, vcc_lo
	global_load_dwordx2 v[26:27], v[26:27], off
	global_load_dwordx2 v[16:17], v[16:17], off
	s_waitcnt vmcnt(0)
	v_add_f64 v[16:17], v[26:27], -v[16:17]
	v_add_f64 v[14:15], v[14:15], -v[16:17]
	v_lshlrev_b64 v[16:17], 3, v[0:1]
	v_add_nc_u32_e32 v0, s19, v0
	v_add_co_u32 v26, vcc_lo, s8, v16
	v_add_co_ci_u32_e64 v27, null, s9, v17, vcc_lo
	v_add_co_u32 v16, vcc_lo, s10, v16
	v_add_co_ci_u32_e64 v17, null, s11, v17, vcc_lo
	global_load_dwordx2 v[26:27], v[26:27], off
	global_load_dwordx2 v[16:17], v[16:17], off
	s_waitcnt vmcnt(0)
	v_add_f64 v[16:17], v[26:27], -v[16:17]
	v_add_f64 v[14:15], v[14:15], v[16:17]
	v_lshlrev_b64 v[16:17], 3, v[0:1]
	v_add_nc_u32_e32 v0, s4, v0
	v_add_co_u32 v26, vcc_lo, s8, v16
	v_add_co_ci_u32_e64 v27, null, s9, v17, vcc_lo
	v_add_co_u32 v16, vcc_lo, s10, v16
	v_add_co_ci_u32_e64 v17, null, s11, v17, vcc_lo
	global_load_dwordx2 v[26:27], v[26:27], off
	global_load_dwordx2 v[16:17], v[16:17], off
	s_waitcnt vmcnt(0)
	v_add_f64 v[16:17], v[26:27], -v[16:17]
	v_add_f64 v[14:15], v[14:15], v[16:17]
	v_lshlrev_b64 v[16:17], 3, v[0:1]
	v_add_nc_u32_e32 v0, s3, v0
	v_add_co_u32 v26, vcc_lo, s8, v16
	v_add_co_ci_u32_e64 v27, null, s9, v17, vcc_lo
	v_add_co_u32 v16, vcc_lo, s10, v16
	v_add_co_ci_u32_e64 v17, null, s11, v17, vcc_lo
	global_load_dwordx2 v[26:27], v[26:27], off
	global_load_dwordx2 v[16:17], v[16:17], off
	s_waitcnt vmcnt(0)
	v_add_f64 v[30:31], v[26:27], -v[16:17]
	v_lshlrev_b64 v[16:17], 3, v[0:1]
	v_add_nc_u32_e32 v0, s21, v0
	v_add_co_u32 v26, vcc_lo, s8, v16
	v_add_co_ci_u32_e64 v27, null, s9, v17, vcc_lo
	v_add_co_u32 v16, vcc_lo, s10, v16
	v_add_co_ci_u32_e64 v17, null, s11, v17, vcc_lo
	global_load_dwordx2 v[26:27], v[26:27], off
	global_load_dwordx2 v[16:17], v[16:17], off
	v_add_f64 v[14:15], v[14:15], v[30:31]
	s_waitcnt vmcnt(0)
	v_add_f64 v[16:17], v[26:27], -v[16:17]
	v_add_f64 v[14:15], v[14:15], -v[16:17]
	v_lshlrev_b64 v[16:17], 3, v[0:1]
	v_add_co_u32 v26, vcc_lo, s8, v16
	v_add_co_ci_u32_e64 v27, null, s9, v17, vcc_lo
	v_add_co_u32 v16, vcc_lo, s10, v16
	v_add_co_ci_u32_e64 v17, null, s11, v17, vcc_lo
	global_load_dwordx2 v[26:27], v[26:27], off
	global_load_dwordx2 v[16:17], v[16:17], off
	s_waitcnt vmcnt(0)
	v_add_f64 v[16:17], v[26:27], -v[16:17]
	v_add_f64 v[14:15], v[14:15], v[16:17]
	v_mad_u64_u32 v[16:17], null, s4, 24, v[0:1]
	v_mov_b32_e32 v17, v1
	v_lshlrev_b64 v[26:27], 3, v[16:17]
	v_add_nc_u32_e32 v0, s6, v16
	v_add_co_u32 v28, vcc_lo, s8, v26
	v_add_co_ci_u32_e64 v29, null, s9, v27, vcc_lo
	v_add_co_u32 v26, vcc_lo, s10, v26
	v_add_co_ci_u32_e64 v27, null, s11, v27, vcc_lo
	global_load_dwordx2 v[28:29], v[28:29], off
	v_lshlrev_b64 v[16:17], 3, v[0:1]
	global_load_dwordx2 v[26:27], v[26:27], off
	s_waitcnt vmcnt(0)
	v_add_f64 v[26:27], v[28:29], -v[26:27]
	v_add_f64 v[14:15], v[14:15], v[26:27]
	v_add_co_u32 v26, vcc_lo, s8, v16
	v_add_co_ci_u32_e64 v27, null, s9, v17, vcc_lo
	v_add_co_u32 v16, vcc_lo, s10, v16
	v_add_co_ci_u32_e64 v17, null, s11, v17, vcc_lo
	global_load_dwordx2 v[26:27], v[26:27], off
	global_load_dwordx2 v[16:17], v[16:17], off
	s_waitcnt vmcnt(0)
	v_add_f64 v[16:17], v[26:27], -v[16:17]
	v_add_f64 v[14:15], v[14:15], v[16:17]
	v_mad_u64_u32 v[16:17], null, s4, 25, v[0:1]
	v_mov_b32_e32 v17, v1
	v_lshlrev_b64 v[26:27], 3, v[16:17]
	v_add_nc_u32_e32 v0, s6, v16
	v_add_co_u32 v28, vcc_lo, s8, v26
	v_add_co_ci_u32_e64 v29, null, s9, v27, vcc_lo
	v_add_co_u32 v26, vcc_lo, s10, v26
	v_add_co_ci_u32_e64 v27, null, s11, v27, vcc_lo
	global_load_dwordx2 v[28:29], v[28:29], off
	v_lshlrev_b64 v[16:17], 3, v[0:1]
	v_add_nc_u32_e32 v0, s4, v0
	global_load_dwordx2 v[26:27], v[26:27], off
	s_waitcnt vmcnt(0)
	v_add_f64 v[26:27], v[28:29], -v[26:27]
	v_add_f64 v[14:15], v[14:15], v[26:27]
	v_add_co_u32 v26, vcc_lo, s8, v16
	v_add_co_ci_u32_e64 v27, null, s9, v17, vcc_lo
	v_add_co_u32 v16, vcc_lo, s10, v16
	v_add_co_ci_u32_e64 v17, null, s11, v17, vcc_lo
	global_load_dwordx2 v[26:27], v[26:27], off
	global_load_dwordx2 v[16:17], v[16:17], off
	s_waitcnt vmcnt(0)
	v_add_f64 v[16:17], v[26:27], -v[16:17]
	v_add_f64 v[14:15], v[14:15], v[16:17]
	v_lshlrev_b64 v[16:17], 3, v[0:1]
	v_add_nc_u32_e32 v0, s23, v0
	v_add_co_u32 v26, vcc_lo, s8, v16
	v_add_co_ci_u32_e64 v27, null, s9, v17, vcc_lo
	v_add_co_u32 v16, vcc_lo, s10, v16
	v_add_co_ci_u32_e64 v17, null, s11, v17, vcc_lo
	global_load_dwordx2 v[26:27], v[26:27], off
	global_load_dwordx2 v[16:17], v[16:17], off
	s_waitcnt vmcnt(0)
	v_add_f64 v[16:17], v[26:27], -v[16:17]
	v_add_f64 v[14:15], v[14:15], v[16:17]
	v_lshlrev_b64 v[16:17], 3, v[0:1]
	v_add_nc_u32_e32 v0, s2, v0
	;; [unrolled: 11-line block ×7, first 2 shown]
	v_add_co_u32 v26, vcc_lo, s8, v16
	v_add_co_ci_u32_e64 v27, null, s9, v17, vcc_lo
	v_add_co_u32 v16, vcc_lo, s10, v16
	v_add_co_ci_u32_e64 v17, null, s11, v17, vcc_lo
	global_load_dwordx2 v[26:27], v[26:27], off
	global_load_dwordx2 v[16:17], v[16:17], off
	s_waitcnt vmcnt(0)
	v_add_f64 v[16:17], v[26:27], -v[16:17]
	v_add_f64 v[14:15], v[14:15], v[16:17]
	v_lshlrev_b64 v[16:17], 3, v[0:1]
	v_add_co_u32 v26, vcc_lo, s8, v16
	v_add_co_ci_u32_e64 v27, null, s9, v17, vcc_lo
	v_add_co_u32 v16, vcc_lo, s10, v16
	v_add_co_ci_u32_e64 v17, null, s11, v17, vcc_lo
	global_load_dwordx2 v[26:27], v[26:27], off
	global_load_dwordx2 v[16:17], v[16:17], off
	s_waitcnt vmcnt(0)
	v_add_f64 v[16:17], v[26:27], -v[16:17]
	v_add_f64 v[14:15], v[14:15], v[16:17]
	v_add_co_u32 v16, vcc_lo, s12, v10
	v_add_co_ci_u32_e64 v17, null, s13, v11, vcc_lo
	v_mul_f64 v[14:15], s[14:15], v[14:15]
	s_waitcnt lgkmcnt(0)
	v_mul_f64 v[14:15], s[26:27], v[14:15]
	global_store_dwordx2 v[16:17], v[14:15], off
	v_add_co_u32 v14, vcc_lo, s8, v10
	v_add_co_ci_u32_e64 v15, null, s9, v11, vcc_lo
	v_add_co_u32 v10, vcc_lo, s10, v10
	v_add_co_ci_u32_e64 v11, null, s11, v11, vcc_lo
	global_load_dwordx2 v[14:15], v[14:15], off
	v_mad_u64_u32 v[16:17], null, 0xffffff3c, s4, v[0:1]
	global_load_dwordx2 v[10:11], v[10:11], off
	v_mov_b32_e32 v17, v1
	v_lshlrev_b64 v[26:27], 3, v[16:17]
	v_add_nc_u32_e32 v0, s6, v16
	v_lshlrev_b64 v[16:17], 3, v[0:1]
	v_add_nc_u32_e32 v0, s4, v0
	s_waitcnt vmcnt(0)
	v_add_f64 v[28:29], v[14:15], -v[10:11]
	v_add_co_u32 v10, vcc_lo, s8, v26
	v_add_co_ci_u32_e64 v11, null, s9, v27, vcc_lo
	global_load_dwordx2 v[32:33], v[10:11], off
	v_add_f64 v[14:15], v[28:29], -v[12:13]
	v_add_co_u32 v12, vcc_lo, s10, v26
	v_add_co_ci_u32_e64 v13, null, s11, v27, vcc_lo
	global_load_dwordx2 v[34:35], v[12:13], off
	s_waitcnt vmcnt(0)
	v_add_f64 v[32:33], v[32:33], -v[34:35]
	v_add_f64 v[14:15], v[14:15], v[32:33]
	v_add_co_u32 v32, vcc_lo, s8, v16
	v_add_co_ci_u32_e64 v33, null, s9, v17, vcc_lo
	v_add_co_u32 v16, vcc_lo, s10, v16
	v_add_co_ci_u32_e64 v17, null, s11, v17, vcc_lo
	global_load_dwordx2 v[32:33], v[32:33], off
	global_load_dwordx2 v[16:17], v[16:17], off
	s_waitcnt vmcnt(0)
	v_add_f64 v[16:17], v[32:33], -v[16:17]
	v_add_f64 v[14:15], v[14:15], -v[16:17]
	v_lshlrev_b64 v[16:17], 3, v[0:1]
	v_add_nc_u32_e32 v0, s6, v0
	v_add_co_u32 v32, vcc_lo, s8, v16
	v_add_co_ci_u32_e64 v33, null, s9, v17, vcc_lo
	v_add_co_u32 v16, vcc_lo, s10, v16
	v_add_co_ci_u32_e64 v17, null, s11, v17, vcc_lo
	global_load_dwordx2 v[32:33], v[32:33], off
	global_load_dwordx2 v[16:17], v[16:17], off
	s_waitcnt vmcnt(0)
	v_add_f64 v[34:35], v[32:33], -v[16:17]
	v_lshlrev_b64 v[16:17], 3, v[0:1]
	v_add_nc_u32_e32 v0, s3, v0
	v_add_f64 v[14:15], v[14:15], -v[34:35]
	v_add_f64 v[32:33], v[14:15], -v[34:35]
	v_add_co_u32 v14, vcc_lo, s8, v16
	v_add_co_ci_u32_e64 v15, null, s9, v17, vcc_lo
	v_add_co_u32 v16, vcc_lo, s10, v16
	v_add_co_ci_u32_e64 v17, null, s11, v17, vcc_lo
	global_load_dwordx2 v[36:37], v[14:15], off
	global_load_dwordx2 v[38:39], v[16:17], off
	s_waitcnt vmcnt(0)
	v_add_f64 v[36:37], v[36:37], -v[38:39]
	v_add_f64 v[32:33], v[32:33], v[36:37]
	v_lshlrev_b64 v[36:37], 3, v[0:1]
	v_add_nc_u32_e32 v0, s6, v0
	v_add_co_u32 v38, vcc_lo, s8, v36
	v_add_co_ci_u32_e64 v39, null, s9, v37, vcc_lo
	v_add_co_u32 v36, vcc_lo, s10, v36
	v_add_co_ci_u32_e64 v37, null, s11, v37, vcc_lo
	global_load_dwordx2 v[38:39], v[38:39], off
	global_load_dwordx2 v[36:37], v[36:37], off
	s_waitcnt vmcnt(0)
	v_add_f64 v[44:45], v[38:39], -v[36:37]
	v_lshlrev_b64 v[36:37], 3, v[0:1]
	v_add_nc_u32_e32 v0, s3, v0
	v_add_co_u32 v38, vcc_lo, s8, v36
	v_add_co_ci_u32_e64 v39, null, s9, v37, vcc_lo
	v_add_co_u32 v36, vcc_lo, s10, v36
	v_add_co_ci_u32_e64 v37, null, s11, v37, vcc_lo
	global_load_dwordx2 v[38:39], v[38:39], off
	global_load_dwordx2 v[36:37], v[36:37], off
	v_add_f64 v[32:33], v[32:33], -v[44:45]
	s_waitcnt vmcnt(0)
	v_add_f64 v[36:37], v[38:39], -v[36:37]
	v_add_f64 v[32:33], v[32:33], -v[36:37]
	v_lshlrev_b64 v[36:37], 3, v[0:1]
	v_add_nc_u32_e32 v0, s3, v0
	v_add_co_u32 v38, vcc_lo, s8, v36
	v_add_co_ci_u32_e64 v39, null, s9, v37, vcc_lo
	v_add_co_u32 v36, vcc_lo, s10, v36
	v_add_co_ci_u32_e64 v37, null, s11, v37, vcc_lo
	global_load_dwordx2 v[38:39], v[38:39], off
	global_load_dwordx2 v[36:37], v[36:37], off
	s_waitcnt vmcnt(0)
	v_add_f64 v[36:37], v[38:39], -v[36:37]
	v_add_f64 v[38:39], v[32:33], -v[36:37]
	v_lshlrev_b64 v[36:37], 3, v[0:1]
	v_add_nc_u32_e32 v0, s19, v0
	v_add_co_u32 v32, vcc_lo, s8, v36
	v_add_co_ci_u32_e64 v33, null, s9, v37, vcc_lo
	v_add_co_u32 v36, vcc_lo, s10, v36
	v_add_co_ci_u32_e64 v37, null, s11, v37, vcc_lo
	global_load_dwordx2 v[40:41], v[32:33], off
	global_load_dwordx2 v[42:43], v[36:37], off
	s_waitcnt vmcnt(0)
	v_add_f64 v[40:41], v[40:41], -v[42:43]
	v_add_f64 v[38:39], v[38:39], v[40:41]
	v_lshlrev_b64 v[40:41], 3, v[0:1]
	v_add_nc_u32_e32 v0, s5, v0
	v_add_co_u32 v42, vcc_lo, s8, v40
	v_add_co_ci_u32_e64 v43, null, s9, v41, vcc_lo
	v_add_co_u32 v40, vcc_lo, s10, v40
	v_add_co_ci_u32_e64 v41, null, s11, v41, vcc_lo
	global_load_dwordx2 v[42:43], v[42:43], off
	global_load_dwordx2 v[40:41], v[40:41], off
	s_waitcnt vmcnt(0)
	v_add_f64 v[40:41], v[42:43], -v[40:41]
	v_lshlrev_b64 v[42:43], 3, v[0:1]
	v_add_nc_u32_e32 v0, s2, v0
	v_add_f64 v[38:39], v[38:39], -v[40:41]
	v_add_co_u32 v40, vcc_lo, s8, v42
	v_add_co_ci_u32_e64 v41, null, s9, v43, vcc_lo
	v_add_co_u32 v42, vcc_lo, s10, v42
	v_add_co_ci_u32_e64 v43, null, s11, v43, vcc_lo
	global_load_dwordx2 v[46:47], v[40:41], off
	global_load_dwordx2 v[48:49], v[42:43], off
	s_waitcnt vmcnt(0)
	v_add_f64 v[46:47], v[46:47], -v[48:49]
	v_add_f64 v[38:39], v[38:39], v[46:47]
	v_lshlrev_b64 v[46:47], 3, v[0:1]
	v_add_nc_u32_e32 v0, s4, v0
	v_add_co_u32 v48, vcc_lo, s8, v46
	v_add_co_ci_u32_e64 v49, null, s9, v47, vcc_lo
	v_add_co_u32 v46, vcc_lo, s10, v46
	v_add_co_ci_u32_e64 v47, null, s11, v47, vcc_lo
	global_load_dwordx2 v[48:49], v[48:49], off
	global_load_dwordx2 v[46:47], v[46:47], off
	s_waitcnt vmcnt(0)
	v_add_f64 v[46:47], v[48:49], -v[46:47]
	v_add_f64 v[38:39], v[38:39], -v[46:47]
	v_lshlrev_b64 v[46:47], 3, v[0:1]
	v_add_nc_u32_e32 v0, s6, v0
	v_add_co_u32 v48, vcc_lo, s8, v46
	v_add_co_ci_u32_e64 v49, null, s9, v47, vcc_lo
	v_add_co_u32 v46, vcc_lo, s10, v46
	v_add_co_ci_u32_e64 v47, null, s11, v47, vcc_lo
	global_load_dwordx2 v[48:49], v[48:49], off
	global_load_dwordx2 v[46:47], v[46:47], off
	s_waitcnt vmcnt(0)
	v_add_f64 v[46:47], v[48:49], -v[46:47]
	v_add_f64 v[38:39], v[38:39], -v[46:47]
	;; [unrolled: 11-line block ×3, first 2 shown]
	v_add_f64 v[30:31], v[38:39], -v[30:31]
	v_lshlrev_b64 v[38:39], 3, v[0:1]
	v_add_nc_u32_e32 v0, s1, v0
	v_add_co_u32 v46, vcc_lo, s8, v38
	v_add_co_ci_u32_e64 v47, null, s9, v39, vcc_lo
	v_add_co_u32 v38, vcc_lo, s10, v38
	v_add_co_ci_u32_e64 v39, null, s11, v39, vcc_lo
	global_load_dwordx2 v[46:47], v[46:47], off
	global_load_dwordx2 v[38:39], v[38:39], off
	s_waitcnt vmcnt(0)
	v_add_f64 v[38:39], v[46:47], -v[38:39]
	v_add_f64 v[30:31], v[30:31], -v[38:39]
	v_lshlrev_b64 v[38:39], 3, v[0:1]
	v_add_nc_u32_e32 v0, s6, v0
	v_add_co_u32 v46, vcc_lo, s8, v38
	v_add_co_ci_u32_e64 v47, null, s9, v39, vcc_lo
	v_add_co_u32 v38, vcc_lo, s10, v38
	v_add_co_ci_u32_e64 v39, null, s11, v39, vcc_lo
	global_load_dwordx2 v[46:47], v[46:47], off
	global_load_dwordx2 v[38:39], v[38:39], off
	s_waitcnt vmcnt(0)
	v_add_f64 v[38:39], v[46:47], -v[38:39]
	;; [unrolled: 11-line block ×4, first 2 shown]
	v_add_f64 v[46:47], v[46:47], v[48:49]
	v_lshlrev_b64 v[48:49], 3, v[0:1]
	v_add_nc_u32_e32 v0, s5, v0
	v_add_co_u32 v50, vcc_lo, s8, v48
	v_add_co_ci_u32_e64 v51, null, s9, v49, vcc_lo
	v_add_co_u32 v48, vcc_lo, s10, v48
	v_add_co_ci_u32_e64 v49, null, s11, v49, vcc_lo
	global_load_dwordx2 v[50:51], v[50:51], off
	global_load_dwordx2 v[48:49], v[48:49], off
	s_waitcnt vmcnt(0)
	v_add_f64 v[48:49], v[50:51], -v[48:49]
	v_add_f64 v[46:47], v[46:47], -v[48:49]
	v_lshlrev_b64 v[48:49], 3, v[0:1]
	v_add_nc_u32_e32 v0, s6, v0
	v_add_co_u32 v50, vcc_lo, s8, v48
	v_add_co_ci_u32_e64 v51, null, s9, v49, vcc_lo
	v_add_co_u32 v48, vcc_lo, s10, v48
	v_add_co_ci_u32_e64 v49, null, s11, v49, vcc_lo
	global_load_dwordx2 v[50:51], v[50:51], off
	global_load_dwordx2 v[48:49], v[48:49], off
	s_waitcnt vmcnt(0)
	v_add_f64 v[48:49], v[50:51], -v[48:49]
	v_add_f64 v[46:47], v[46:47], -v[48:49]
	;; [unrolled: 11-line block ×10, first 2 shown]
	v_lshlrev_b64 v[48:49], 3, v[0:1]
	v_add_nc_u32_e32 v0, s24, v0
	v_add_co_u32 v46, vcc_lo, s8, v48
	v_add_co_ci_u32_e64 v47, null, s9, v49, vcc_lo
	v_add_co_u32 v48, vcc_lo, s10, v48
	v_add_co_ci_u32_e64 v49, null, s11, v49, vcc_lo
	global_load_dwordx2 v[52:53], v[46:47], off
	global_load_dwordx2 v[54:55], v[48:49], off
	s_waitcnt vmcnt(0)
	v_add_f64 v[52:53], v[52:53], -v[54:55]
	v_add_f64 v[50:51], v[50:51], v[52:53]
	v_lshlrev_b64 v[52:53], 3, v[0:1]
	v_add_nc_u32_e32 v0, s0, v0
	s_load_dwordx4 s[0:3], s[16:17], 0x10
	v_add_co_u32 v54, vcc_lo, s8, v52
	v_add_co_ci_u32_e64 v55, null, s9, v53, vcc_lo
	v_add_co_u32 v52, vcc_lo, s10, v52
	v_add_co_ci_u32_e64 v53, null, s11, v53, vcc_lo
	global_load_dwordx2 v[54:55], v[54:55], off
	global_load_dwordx2 v[52:53], v[52:53], off
	s_waitcnt vmcnt(0)
	v_add_f64 v[52:53], v[54:55], -v[52:53]
	v_add_f64 v[50:51], v[50:51], -v[52:53]
	v_lshlrev_b64 v[52:53], 3, v[0:1]
	v_add_nc_u32_e32 v0, s4, v0
	v_add_co_u32 v54, vcc_lo, s8, v52
	v_add_co_ci_u32_e64 v55, null, s9, v53, vcc_lo
	v_add_co_u32 v52, vcc_lo, s10, v52
	v_add_co_ci_u32_e64 v53, null, s11, v53, vcc_lo
	global_load_dwordx2 v[54:55], v[54:55], off
	global_load_dwordx2 v[52:53], v[52:53], off
	s_waitcnt vmcnt(0)
	v_add_f64 v[52:53], v[54:55], -v[52:53]
	v_add_f64 v[50:51], v[50:51], -v[52:53]
	v_lshlrev_b64 v[52:53], 3, v[0:1]
	v_add_nc_u32_e32 v0, s4, v0
	;; [unrolled: 11-line block ×9, first 2 shown]
	v_add_co_u32 v54, vcc_lo, s8, v52
	v_add_co_ci_u32_e64 v55, null, s9, v53, vcc_lo
	v_add_co_u32 v52, vcc_lo, s10, v52
	v_add_co_ci_u32_e64 v53, null, s11, v53, vcc_lo
	global_load_dwordx2 v[54:55], v[54:55], off
	global_load_dwordx2 v[52:53], v[52:53], off
	s_waitcnt vmcnt(0)
	v_add_f64 v[52:53], v[54:55], -v[52:53]
	v_add_f64 v[50:51], v[50:51], -v[52:53]
	v_lshlrev_b64 v[52:53], 3, v[0:1]
	v_add_co_u32 v54, vcc_lo, s8, v52
	v_add_co_ci_u32_e64 v55, null, s9, v53, vcc_lo
	v_add_co_u32 v52, vcc_lo, s10, v52
	v_add_co_ci_u32_e64 v53, null, s11, v53, vcc_lo
	global_load_dwordx2 v[54:55], v[54:55], off
	v_add_co_u32 v22, vcc_lo, s12, v22
	global_load_dwordx2 v[52:53], v[52:53], off
	v_add_co_ci_u32_e64 v23, null, s13, v23, vcc_lo
	s_waitcnt vmcnt(0)
	v_add_f64 v[52:53], v[54:55], -v[52:53]
	v_add_f64 v[50:51], v[50:51], -v[52:53]
	v_mul_f64 v[50:51], s[14:15], v[50:51]
	s_waitcnt lgkmcnt(0)
	v_mul_f64 v[50:51], s[0:1], v[50:51]
	s_mul_i32 s0, s4, 13
	global_store_dwordx2 v[22:23], v[50:51], off
	v_add_f64 v[22:23], v[34:35], -v[28:29]
	v_mad_u64_u32 v[28:29], null, 0xffffff4c, s4, v[0:1]
	v_mov_b32_e32 v29, v1
	v_add_f64 v[18:19], v[22:23], -v[18:19]
	v_add_f64 v[18:19], v[24:25], v[18:19]
	v_lshlrev_b64 v[24:25], 3, v[28:29]
	v_add_co_u32 v22, vcc_lo, s8, v24
	v_add_co_ci_u32_e64 v23, null, s9, v25, vcc_lo
	v_add_co_u32 v24, vcc_lo, s10, v24
	v_add_co_ci_u32_e64 v25, null, s11, v25, vcc_lo
	global_load_dwordx2 v[34:35], v[22:23], off
	v_add_f64 v[18:19], v[18:19], v[44:45]
	global_load_dwordx2 v[44:45], v[24:25], off
	s_waitcnt vmcnt(0)
	v_add_f64 v[34:35], v[34:35], -v[44:45]
	v_add_f64 v[18:19], v[18:19], v[34:35]
	v_add_f64 v[18:19], v[20:21], v[18:19]
	global_load_dwordx2 v[20:21], v[32:33], off
	global_load_dwordx2 v[32:33], v[36:37], off
	s_waitcnt vmcnt(0)
	v_add_f64 v[20:21], v[20:21], -v[32:33]
	v_add_f64 v[18:19], v[18:19], -v[20:21]
	global_load_dwordx2 v[20:21], v[40:41], off
	global_load_dwordx2 v[32:33], v[42:43], off
	s_waitcnt vmcnt(0)
	v_add_f64 v[20:21], v[20:21], -v[32:33]
	v_add_f64 v[18:19], v[18:19], -v[20:21]
	v_mad_u64_u32 v[20:21], null, s4, 26, v[28:29]
	v_mov_b32_e32 v21, v1
	v_lshlrev_b64 v[28:29], 3, v[20:21]
	v_add_nc_u32_e32 v0, s5, v20
	v_add_co_u32 v32, vcc_lo, s8, v28
	v_add_co_ci_u32_e64 v33, null, s9, v29, vcc_lo
	v_add_co_u32 v28, vcc_lo, s10, v28
	v_add_co_ci_u32_e64 v29, null, s11, v29, vcc_lo
	global_load_dwordx2 v[32:33], v[32:33], off
	v_lshlrev_b64 v[20:21], 3, v[0:1]
	v_add_nc_u32_e32 v0, s4, v0
	global_load_dwordx2 v[28:29], v[28:29], off
	s_waitcnt vmcnt(0)
	v_add_f64 v[28:29], v[32:33], -v[28:29]
	v_add_f64 v[18:19], v[18:19], -v[28:29]
	v_add_co_u32 v28, vcc_lo, s8, v20
	v_add_co_ci_u32_e64 v29, null, s9, v21, vcc_lo
	v_add_co_u32 v20, vcc_lo, s10, v20
	v_add_co_ci_u32_e64 v21, null, s11, v21, vcc_lo
	global_load_dwordx2 v[28:29], v[28:29], off
	global_load_dwordx2 v[20:21], v[20:21], off
	s_waitcnt vmcnt(0)
	v_add_f64 v[20:21], v[28:29], -v[20:21]
	v_add_f64 v[18:19], v[18:19], -v[20:21]
	v_lshlrev_b64 v[20:21], 3, v[0:1]
	v_add_nc_u32_e32 v0, s0, v0
	v_add_co_u32 v28, vcc_lo, s8, v20
	v_add_co_ci_u32_e64 v29, null, s9, v21, vcc_lo
	v_add_co_u32 v20, vcc_lo, s10, v20
	v_add_co_ci_u32_e64 v21, null, s11, v21, vcc_lo
	global_load_dwordx2 v[28:29], v[28:29], off
	global_load_dwordx2 v[20:21], v[20:21], off
	s_waitcnt vmcnt(0)
	v_add_f64 v[20:21], v[28:29], -v[20:21]
	v_add_f64 v[18:19], v[18:19], -v[20:21]
	v_lshlrev_b64 v[20:21], 3, v[0:1]
	v_add_nc_u32_e32 v0, s4, v0
	;; [unrolled: 11-line block ×4, first 2 shown]
	v_add_co_u32 v34, vcc_lo, s8, v32
	v_add_co_ci_u32_e64 v35, null, s9, v33, vcc_lo
	v_add_co_u32 v32, vcc_lo, s10, v32
	v_add_co_ci_u32_e64 v33, null, s11, v33, vcc_lo
	global_load_dwordx2 v[34:35], v[34:35], off
	global_load_dwordx2 v[32:33], v[32:33], off
	s_waitcnt vmcnt(0)
	v_add_f64 v[32:33], v[34:35], -v[32:33]
	v_add_f64 v[28:29], v[28:29], -v[32:33]
	global_load_dwordx2 v[30:31], v[30:31], off
	global_load_dwordx2 v[32:33], v[38:39], off
	s_waitcnt vmcnt(0)
	v_add_f64 v[30:31], v[30:31], -v[32:33]
	v_add_f64 v[28:29], v[28:29], -v[30:31]
	v_lshlrev_b64 v[30:31], 3, v[0:1]
	v_add_nc_u32_e32 v0, s4, v0
	v_add_co_u32 v32, vcc_lo, s8, v30
	v_add_co_ci_u32_e64 v33, null, s9, v31, vcc_lo
	v_add_co_u32 v30, vcc_lo, s10, v30
	v_add_co_ci_u32_e64 v31, null, s11, v31, vcc_lo
	global_load_dwordx2 v[32:33], v[32:33], off
	global_load_dwordx2 v[30:31], v[30:31], off
	s_waitcnt vmcnt(0)
	v_add_f64 v[30:31], v[32:33], -v[30:31]
	v_add_f64 v[28:29], v[28:29], -v[30:31]
	v_lshlrev_b64 v[30:31], 3, v[0:1]
	v_add_nc_u32_e32 v0, s22, v0
	v_add_co_u32 v32, vcc_lo, s8, v30
	v_add_co_ci_u32_e64 v33, null, s9, v31, vcc_lo
	v_add_co_u32 v30, vcc_lo, s10, v30
	v_add_co_ci_u32_e64 v31, null, s11, v31, vcc_lo
	global_load_dwordx2 v[32:33], v[32:33], off
	global_load_dwordx2 v[30:31], v[30:31], off
	s_waitcnt vmcnt(0)
	v_add_f64 v[30:31], v[32:33], -v[30:31]
	v_add_f64 v[28:29], v[28:29], v[30:31]
	v_lshlrev_b64 v[30:31], 3, v[0:1]
	v_add_nc_u32_e32 v0, s18, v0
	v_add_co_u32 v32, vcc_lo, s8, v30
	v_add_co_ci_u32_e64 v33, null, s9, v31, vcc_lo
	v_add_co_u32 v30, vcc_lo, s10, v30
	v_add_co_ci_u32_e64 v31, null, s11, v31, vcc_lo
	global_load_dwordx2 v[32:33], v[32:33], off
	global_load_dwordx2 v[30:31], v[30:31], off
	s_waitcnt vmcnt(0)
	v_add_f64 v[30:31], v[32:33], -v[30:31]
	v_add_f64 v[28:29], v[28:29], -v[30:31]
	v_lshlrev_b64 v[30:31], 3, v[0:1]
	v_add_nc_u32_e32 v0, s7, v0
	v_add_co_u32 v32, vcc_lo, s8, v30
	v_add_co_ci_u32_e64 v33, null, s9, v31, vcc_lo
	v_add_co_u32 v30, vcc_lo, s10, v30
	v_add_co_ci_u32_e64 v31, null, s11, v31, vcc_lo
	global_load_dwordx2 v[32:33], v[32:33], off
	global_load_dwordx2 v[30:31], v[30:31], off
	s_waitcnt vmcnt(0)
	v_add_f64 v[30:31], v[32:33], -v[30:31]
	v_add_f64 v[28:29], v[28:29], -v[30:31]
	;; [unrolled: 11-line block ×4, first 2 shown]
	global_load_dwordx2 v[30:31], v[46:47], off
	global_load_dwordx2 v[32:33], v[48:49], off
	s_waitcnt vmcnt(0)
	v_add_f64 v[30:31], v[30:31], -v[32:33]
	v_add_f64 v[28:29], v[28:29], -v[30:31]
	v_lshlrev_b64 v[30:31], 3, v[0:1]
	v_add_nc_u32_e32 v0, s0, v0
	v_add_co_u32 v32, vcc_lo, s8, v30
	v_add_co_ci_u32_e64 v33, null, s9, v31, vcc_lo
	v_add_co_u32 v30, vcc_lo, s10, v30
	v_add_co_ci_u32_e64 v31, null, s11, v31, vcc_lo
	global_load_dwordx2 v[32:33], v[32:33], off
	global_load_dwordx2 v[30:31], v[30:31], off
	s_waitcnt vmcnt(0)
	v_add_f64 v[30:31], v[32:33], -v[30:31]
	v_add_f64 v[28:29], v[28:29], -v[30:31]
	v_lshlrev_b64 v[30:31], 3, v[0:1]
	v_add_nc_u32_e32 v0, s4, v0
	v_add_co_u32 v32, vcc_lo, s8, v30
	v_add_co_ci_u32_e64 v33, null, s9, v31, vcc_lo
	v_add_co_u32 v30, vcc_lo, s10, v30
	v_add_co_ci_u32_e64 v31, null, s11, v31, vcc_lo
	;; [unrolled: 11-line block ×6, first 2 shown]
	global_load_dwordx2 v[32:33], v[32:33], off
	global_load_dwordx2 v[30:31], v[30:31], off
	s_waitcnt vmcnt(0)
	v_add_f64 v[30:31], v[32:33], -v[30:31]
	v_add_f64 v[28:29], v[28:29], v[30:31]
	v_lshlrev_b64 v[30:31], 3, v[0:1]
	v_add_nc_u32_e32 v0, s23, v0
	v_add_co_u32 v32, vcc_lo, s8, v30
	v_add_co_ci_u32_e64 v33, null, s9, v31, vcc_lo
	v_add_co_u32 v30, vcc_lo, s10, v30
	v_add_co_ci_u32_e64 v31, null, s11, v31, vcc_lo
	global_load_dwordx2 v[32:33], v[32:33], off
	global_load_dwordx2 v[30:31], v[30:31], off
	s_waitcnt vmcnt(0)
	v_add_f64 v[30:31], v[32:33], -v[30:31]
	v_add_f64 v[28:29], v[28:29], v[30:31]
	v_lshlrev_b64 v[30:31], 3, v[0:1]
	v_add_co_u32 v32, vcc_lo, s8, v30
	v_add_co_ci_u32_e64 v33, null, s9, v31, vcc_lo
	v_add_co_u32 v30, vcc_lo, s10, v30
	v_add_co_ci_u32_e64 v31, null, s11, v31, vcc_lo
	global_load_dwordx2 v[32:33], v[32:33], off
	v_add_co_u32 v26, vcc_lo, s12, v26
	global_load_dwordx2 v[30:31], v[30:31], off
	v_add_co_ci_u32_e64 v27, null, s13, v27, vcc_lo
	s_waitcnt vmcnt(0)
	v_add_f64 v[30:31], v[32:33], -v[30:31]
	v_add_f64 v[28:29], v[28:29], -v[30:31]
	v_mul_f64 v[28:29], s[14:15], v[28:29]
	v_mul_f64 v[28:29], s[2:3], v[28:29]
	global_store_dwordx2 v[26:27], v[28:29], off
	global_load_dwordx2 v[6:7], v[6:7], off
	global_load_dwordx2 v[8:9], v[8:9], off
	s_waitcnt vmcnt(0)
	v_add_f64 v[6:7], v[6:7], -v[8:9]
	global_load_dwordx2 v[8:9], v[10:11], off
	global_load_dwordx2 v[10:11], v[12:13], off
	s_waitcnt vmcnt(0)
	v_add_f64 v[8:9], v[8:9], -v[10:11]
	v_add_f64 v[6:7], v[6:7], v[8:9]
	v_mad_u64_u32 v[8:9], null, 0xffffff3e, s4, v[0:1]
	v_mov_b32_e32 v9, v1
	v_lshlrev_b64 v[9:10], 3, v[8:9]
	v_add_nc_u32_e32 v0, s23, v8
	v_add_co_u32 v11, vcc_lo, s8, v9
	v_add_co_ci_u32_e64 v12, null, s9, v10, vcc_lo
	v_add_co_u32 v9, vcc_lo, s10, v9
	v_add_co_ci_u32_e64 v10, null, s11, v10, vcc_lo
	global_load_dwordx2 v[11:12], v[11:12], off
	global_load_dwordx2 v[9:10], v[9:10], off
	s_waitcnt vmcnt(0)
	v_add_f64 v[9:10], v[11:12], -v[9:10]
	v_add_f64 v[6:7], v[6:7], v[9:10]
	global_load_dwordx2 v[9:10], v[14:15], off
	global_load_dwordx2 v[11:12], v[16:17], off
	s_waitcnt vmcnt(0)
	v_add_f64 v[9:10], v[9:10], -v[11:12]
	v_add_f64 v[6:7], v[6:7], v[9:10]
	;; [unrolled: 5-line block ×3, first 2 shown]
	v_lshlrev_b64 v[8:9], 3, v[0:1]
	v_add_nc_u32_e32 v0, s24, v0
	v_add_co_u32 v10, vcc_lo, s8, v8
	v_add_co_ci_u32_e64 v11, null, s9, v9, vcc_lo
	v_add_co_u32 v8, vcc_lo, s10, v8
	v_add_co_ci_u32_e64 v9, null, s11, v9, vcc_lo
	global_load_dwordx2 v[10:11], v[10:11], off
	global_load_dwordx2 v[8:9], v[8:9], off
	s_waitcnt vmcnt(0)
	v_add_f64 v[8:9], v[10:11], -v[8:9]
	v_add_f64 v[6:7], v[6:7], v[8:9]
	v_add_f64 v[4:5], v[4:5], v[6:7]
	v_lshlrev_b64 v[6:7], 3, v[0:1]
	v_add_nc_u32_e32 v0, s21, v0
	v_add_co_u32 v8, vcc_lo, s8, v6
	v_add_co_ci_u32_e64 v9, null, s9, v7, vcc_lo
	v_add_co_u32 v6, vcc_lo, s10, v6
	v_add_co_ci_u32_e64 v7, null, s11, v7, vcc_lo
	global_load_dwordx2 v[8:9], v[8:9], off
	global_load_dwordx2 v[6:7], v[6:7], off
	s_waitcnt vmcnt(0)
	v_add_f64 v[6:7], v[8:9], -v[6:7]
	v_add_f64 v[4:5], v[4:5], -v[6:7]
	v_lshlrev_b64 v[6:7], 3, v[0:1]
	v_add_nc_u32_e32 v0, s18, v0
	v_add_co_u32 v8, vcc_lo, s8, v6
	v_add_co_ci_u32_e64 v9, null, s9, v7, vcc_lo
	v_add_co_u32 v6, vcc_lo, s10, v6
	v_add_co_ci_u32_e64 v7, null, s11, v7, vcc_lo
	global_load_dwordx2 v[8:9], v[8:9], off
	global_load_dwordx2 v[6:7], v[6:7], off
	s_waitcnt vmcnt(0)
	v_add_f64 v[6:7], v[8:9], -v[6:7]
	v_add_f64 v[4:5], v[4:5], v[6:7]
	v_lshlrev_b64 v[6:7], 3, v[0:1]
	v_add_co_u32 v8, vcc_lo, s8, v6
	v_add_co_ci_u32_e64 v9, null, s9, v7, vcc_lo
	v_add_co_u32 v6, vcc_lo, s10, v6
	v_add_co_ci_u32_e64 v7, null, s11, v7, vcc_lo
	global_load_dwordx2 v[8:9], v[8:9], off
	global_load_dwordx2 v[6:7], v[6:7], off
	s_waitcnt vmcnt(0)
	v_add_f64 v[6:7], v[8:9], -v[6:7]
	v_add_f64 v[4:5], v[4:5], v[6:7]
	global_load_dwordx2 v[6:7], v[18:19], off
	global_load_dwordx2 v[8:9], v[20:21], off
	s_load_dwordx2 s[0:1], s[16:17], 0x28
	s_waitcnt vmcnt(0)
	v_add_f64 v[6:7], v[6:7], -v[8:9]
	v_add_f64 v[4:5], v[4:5], v[6:7]
	v_mad_u64_u32 v[6:7], null, s4, 20, v[0:1]
	v_mov_b32_e32 v7, v1
	v_lshlrev_b64 v[7:8], 3, v[6:7]
	v_add_nc_u32_e32 v0, s6, v6
	v_add_co_u32 v9, vcc_lo, s8, v7
	v_add_co_ci_u32_e64 v10, null, s9, v8, vcc_lo
	v_add_co_u32 v7, vcc_lo, s10, v7
	v_add_co_ci_u32_e64 v8, null, s11, v8, vcc_lo
	global_load_dwordx2 v[9:10], v[9:10], off
	global_load_dwordx2 v[7:8], v[7:8], off
	s_waitcnt vmcnt(0)
	v_add_f64 v[7:8], v[9:10], -v[7:8]
	v_add_f64 v[4:5], v[4:5], v[7:8]
	v_lshlrev_b64 v[6:7], 3, v[0:1]
	v_add_nc_u32_e32 v0, s4, v0
	v_add_co_u32 v8, vcc_lo, s8, v6
	v_add_co_ci_u32_e64 v9, null, s9, v7, vcc_lo
	v_add_co_u32 v6, vcc_lo, s10, v6
	v_add_co_ci_u32_e64 v7, null, s11, v7, vcc_lo
	global_load_dwordx2 v[8:9], v[8:9], off
	global_load_dwordx2 v[6:7], v[6:7], off
	s_waitcnt vmcnt(0)
	v_add_f64 v[6:7], v[8:9], -v[6:7]
	v_add_f64 v[4:5], v[4:5], v[6:7]
	;; [unrolled: 11-line block ×5, first 2 shown]
	v_lshlrev_b64 v[6:7], 3, v[0:1]
	v_add_co_u32 v8, vcc_lo, s8, v6
	v_add_co_ci_u32_e64 v9, null, s9, v7, vcc_lo
	v_add_co_u32 v6, vcc_lo, s10, v6
	v_add_co_ci_u32_e64 v7, null, s11, v7, vcc_lo
	global_load_dwordx2 v[8:9], v[8:9], off
	global_load_dwordx2 v[6:7], v[6:7], off
	s_waitcnt vmcnt(0)
	v_add_f64 v[6:7], v[8:9], -v[6:7]
	v_add_f64 v[4:5], v[4:5], v[6:7]
	v_mad_u64_u32 v[6:7], null, s4, 27, v[0:1]
	v_mov_b32_e32 v7, v1
	v_lshlrev_b64 v[7:8], 3, v[6:7]
	v_add_nc_u32_e32 v0, s6, v6
	v_add_co_u32 v9, vcc_lo, s8, v7
	v_add_co_ci_u32_e64 v10, null, s9, v8, vcc_lo
	v_add_co_u32 v7, vcc_lo, s10, v7
	v_add_co_ci_u32_e64 v8, null, s11, v8, vcc_lo
	global_load_dwordx2 v[9:10], v[9:10], off
	global_load_dwordx2 v[7:8], v[7:8], off
	s_waitcnt vmcnt(0)
	v_add_f64 v[7:8], v[9:10], -v[7:8]
	v_add_f64 v[4:5], v[4:5], v[7:8]
	v_lshlrev_b64 v[6:7], 3, v[0:1]
	v_add_nc_u32_e32 v0, s7, v0
	v_add_co_u32 v8, vcc_lo, s8, v6
	v_add_co_ci_u32_e64 v9, null, s9, v7, vcc_lo
	v_add_co_u32 v6, vcc_lo, s10, v6
	v_add_co_ci_u32_e64 v7, null, s11, v7, vcc_lo
	global_load_dwordx2 v[8:9], v[8:9], off
	global_load_dwordx2 v[6:7], v[6:7], off
	s_waitcnt vmcnt(0)
	v_add_f64 v[6:7], v[8:9], -v[6:7]
	v_add_f64 v[4:5], v[4:5], v[6:7]
	;; [unrolled: 11-line block ×3, first 2 shown]
	v_lshlrev_b64 v[6:7], 3, v[0:1]
	v_add_co_u32 v8, vcc_lo, s8, v6
	v_add_co_ci_u32_e64 v9, null, s9, v7, vcc_lo
	v_add_co_u32 v6, vcc_lo, s10, v6
	v_add_co_ci_u32_e64 v7, null, s11, v7, vcc_lo
	global_load_dwordx2 v[8:9], v[8:9], off
	global_load_dwordx2 v[6:7], v[6:7], off
	s_waitcnt vmcnt(0)
	v_add_f64 v[6:7], v[8:9], -v[6:7]
	v_add_f64 v[4:5], v[4:5], v[6:7]
	v_mad_u64_u32 v[6:7], null, s4, 21, v[0:1]
	v_mov_b32_e32 v7, v1
	v_lshlrev_b64 v[7:8], 3, v[6:7]
	v_add_nc_u32_e32 v0, s20, v6
	v_add_co_u32 v9, vcc_lo, s8, v7
	v_add_co_ci_u32_e64 v10, null, s9, v8, vcc_lo
	v_add_co_u32 v7, vcc_lo, s10, v7
	v_add_co_ci_u32_e64 v8, null, s11, v8, vcc_lo
	global_load_dwordx2 v[9:10], v[9:10], off
	global_load_dwordx2 v[7:8], v[7:8], off
	s_waitcnt vmcnt(0)
	v_add_f64 v[7:8], v[9:10], -v[7:8]
	v_add_f64 v[4:5], v[4:5], v[7:8]
	v_lshlrev_b64 v[6:7], 3, v[0:1]
	v_add_nc_u32_e32 v0, s6, v0
	v_add_co_u32 v8, vcc_lo, s8, v6
	v_add_co_ci_u32_e64 v9, null, s9, v7, vcc_lo
	v_add_co_u32 v6, vcc_lo, s10, v6
	v_add_co_ci_u32_e64 v7, null, s11, v7, vcc_lo
	global_load_dwordx2 v[8:9], v[8:9], off
	v_lshlrev_b64 v[0:1], 3, v[0:1]
	global_load_dwordx2 v[6:7], v[6:7], off
	s_waitcnt vmcnt(0)
	v_add_f64 v[6:7], v[8:9], -v[6:7]
	v_add_f64 v[4:5], v[4:5], v[6:7]
	v_add_co_u32 v6, vcc_lo, s8, v0
	v_add_co_ci_u32_e64 v7, null, s9, v1, vcc_lo
	v_add_co_u32 v0, vcc_lo, s10, v0
	v_add_co_ci_u32_e64 v1, null, s11, v1, vcc_lo
	global_load_dwordx2 v[6:7], v[6:7], off
	v_add_co_u32 v2, vcc_lo, s12, v2
	global_load_dwordx2 v[0:1], v[0:1], off
	v_add_co_ci_u32_e64 v3, null, s13, v3, vcc_lo
	s_waitcnt vmcnt(0)
	v_add_f64 v[0:1], v[6:7], -v[0:1]
	v_add_f64 v[0:1], v[4:5], v[0:1]
	v_mul_f64 v[0:1], s[14:15], v[0:1]
	s_waitcnt lgkmcnt(0)
	v_mul_f64 v[0:1], s[0:1], v[0:1]
	global_store_dwordx2 v[2:3], v[0:1], off
	s_endpgm
	.section	.rodata,"a",@progbits
	.p2align	6, 0x0
	.amdhsa_kernel _Z15rdwdot10_kernelIdEvPKT_S2_PS0_S0_S2_
		.amdhsa_group_segment_fixed_size 0
		.amdhsa_private_segment_fixed_size 0
		.amdhsa_kernarg_size 296
		.amdhsa_user_sgpr_count 6
		.amdhsa_user_sgpr_private_segment_buffer 1
		.amdhsa_user_sgpr_dispatch_ptr 0
		.amdhsa_user_sgpr_queue_ptr 0
		.amdhsa_user_sgpr_kernarg_segment_ptr 1
		.amdhsa_user_sgpr_dispatch_id 0
		.amdhsa_user_sgpr_flat_scratch_init 0
		.amdhsa_user_sgpr_private_segment_size 0
		.amdhsa_wavefront_size32 1
		.amdhsa_uses_dynamic_stack 0
		.amdhsa_system_sgpr_private_segment_wavefront_offset 0
		.amdhsa_system_sgpr_workgroup_id_x 1
		.amdhsa_system_sgpr_workgroup_id_y 0
		.amdhsa_system_sgpr_workgroup_id_z 0
		.amdhsa_system_sgpr_workgroup_info 0
		.amdhsa_system_vgpr_workitem_id 0
		.amdhsa_next_free_vgpr 56
		.amdhsa_next_free_sgpr 28
		.amdhsa_reserve_vcc 1
		.amdhsa_reserve_flat_scratch 0
		.amdhsa_float_round_mode_32 0
		.amdhsa_float_round_mode_16_64 0
		.amdhsa_float_denorm_mode_32 3
		.amdhsa_float_denorm_mode_16_64 3
		.amdhsa_dx10_clamp 1
		.amdhsa_ieee_mode 1
		.amdhsa_fp16_overflow 0
		.amdhsa_workgroup_processor_mode 1
		.amdhsa_memory_ordered 1
		.amdhsa_forward_progress 1
		.amdhsa_shared_vgpr_count 0
		.amdhsa_exception_fp_ieee_invalid_op 0
		.amdhsa_exception_fp_denorm_src 0
		.amdhsa_exception_fp_ieee_div_zero 0
		.amdhsa_exception_fp_ieee_overflow 0
		.amdhsa_exception_fp_ieee_underflow 0
		.amdhsa_exception_fp_ieee_inexact 0
		.amdhsa_exception_int_div_zero 0
	.end_amdhsa_kernel
	.section	.text._Z15rdwdot10_kernelIdEvPKT_S2_PS0_S0_S2_,"axG",@progbits,_Z15rdwdot10_kernelIdEvPKT_S2_PS0_S0_S2_,comdat
.Lfunc_end53:
	.size	_Z15rdwdot10_kernelIdEvPKT_S2_PS0_S0_S2_, .Lfunc_end53-_Z15rdwdot10_kernelIdEvPKT_S2_PS0_S0_S2_
                                        ; -- End function
	.set _Z15rdwdot10_kernelIdEvPKT_S2_PS0_S0_S2_.num_vgpr, 56
	.set _Z15rdwdot10_kernelIdEvPKT_S2_PS0_S0_S2_.num_agpr, 0
	.set _Z15rdwdot10_kernelIdEvPKT_S2_PS0_S0_S2_.numbered_sgpr, 28
	.set _Z15rdwdot10_kernelIdEvPKT_S2_PS0_S0_S2_.num_named_barrier, 0
	.set _Z15rdwdot10_kernelIdEvPKT_S2_PS0_S0_S2_.private_seg_size, 0
	.set _Z15rdwdot10_kernelIdEvPKT_S2_PS0_S0_S2_.uses_vcc, 1
	.set _Z15rdwdot10_kernelIdEvPKT_S2_PS0_S0_S2_.uses_flat_scratch, 0
	.set _Z15rdwdot10_kernelIdEvPKT_S2_PS0_S0_S2_.has_dyn_sized_stack, 0
	.set _Z15rdwdot10_kernelIdEvPKT_S2_PS0_S0_S2_.has_recursion, 0
	.set _Z15rdwdot10_kernelIdEvPKT_S2_PS0_S0_S2_.has_indirect_call, 0
	.section	.AMDGPU.csdata,"",@progbits
; Kernel info:
; codeLenInByte = 10048
; TotalNumSgprs: 30
; NumVgprs: 56
; ScratchSize: 0
; MemoryBound: 0
; FloatMode: 240
; IeeeMode: 1
; LDSByteSize: 0 bytes/workgroup (compile time only)
; SGPRBlocks: 0
; VGPRBlocks: 6
; NumSGPRsForWavesPerEU: 30
; NumVGPRsForWavesPerEU: 56
; Occupancy: 16
; WaveLimiterHint : 0
; COMPUTE_PGM_RSRC2:SCRATCH_EN: 0
; COMPUTE_PGM_RSRC2:USER_SGPR: 6
; COMPUTE_PGM_RSRC2:TRAP_HANDLER: 0
; COMPUTE_PGM_RSRC2:TGID_X_EN: 1
; COMPUTE_PGM_RSRC2:TGID_Y_EN: 0
; COMPUTE_PGM_RSRC2:TGID_Z_EN: 0
; COMPUTE_PGM_RSRC2:TIDIG_COMP_CNT: 0
	.section	.AMDGPU.gpr_maximums,"",@progbits
	.set amdgpu.max_num_vgpr, 0
	.set amdgpu.max_num_agpr, 0
	.set amdgpu.max_num_sgpr, 0
	.section	.AMDGPU.csdata,"",@progbits
	.type	__hip_cuid_57bca9d4d2752862,@object ; @__hip_cuid_57bca9d4d2752862
	.section	.bss,"aw",@nobits
	.globl	__hip_cuid_57bca9d4d2752862
__hip_cuid_57bca9d4d2752862:
	.byte	0                               ; 0x0
	.size	__hip_cuid_57bca9d4d2752862, 1

	.ident	"AMD clang version 22.0.0git (https://github.com/RadeonOpenCompute/llvm-project roc-7.2.4 26084 f58b06dce1f9c15707c5f808fd002e18c2accf7e)"
	.section	".note.GNU-stack","",@progbits
	.addrsig
	.addrsig_sym __hip_cuid_57bca9d4d2752862
	.amdgpu_metadata
---
amdhsa.kernels:
  - .args:
      - .actual_access:  read_only
        .address_space:  global
        .offset:         0
        .size:           8
        .value_kind:     global_buffer
      - .actual_access:  write_only
        .address_space:  global
        .offset:         8
        .size:           8
        .value_kind:     global_buffer
      - .offset:         16
        .size:           4
        .value_kind:     by_value
      - .offset:         24
        .size:           4
        .value_kind:     hidden_block_count_x
      - .offset:         28
        .size:           4
        .value_kind:     hidden_block_count_y
      - .offset:         32
        .size:           4
        .value_kind:     hidden_block_count_z
      - .offset:         36
        .size:           2
        .value_kind:     hidden_group_size_x
      - .offset:         38
        .size:           2
        .value_kind:     hidden_group_size_y
      - .offset:         40
        .size:           2
        .value_kind:     hidden_group_size_z
      - .offset:         42
        .size:           2
        .value_kind:     hidden_remainder_x
      - .offset:         44
        .size:           2
        .value_kind:     hidden_remainder_y
      - .offset:         46
        .size:           2
        .value_kind:     hidden_remainder_z
      - .offset:         64
        .size:           8
        .value_kind:     hidden_global_offset_x
      - .offset:         72
        .size:           8
        .value_kind:     hidden_global_offset_y
      - .offset:         80
        .size:           8
        .value_kind:     hidden_global_offset_z
      - .offset:         88
        .size:           2
        .value_kind:     hidden_grid_dims
    .group_segment_fixed_size: 0
    .kernarg_segment_align: 8
    .kernarg_segment_size: 280
    .language:       OpenCL C
    .language_version:
      - 2
      - 0
    .max_flat_workgroup_size: 1024
    .name:           _Z11ratt_kernelIfEvPKT_PS0_S0_
    .private_segment_fixed_size: 0
    .sgpr_count:     11
    .sgpr_spill_count: 0
    .symbol:         _Z11ratt_kernelIfEvPKT_PS0_S0_.kd
    .uniform_work_group_size: 1
    .uses_dynamic_stack: false
    .vgpr_count:     15
    .vgpr_spill_count: 0
    .wavefront_size: 32
    .workgroup_processor_mode: 1
  - .args:
      - .actual_access:  read_only
        .address_space:  global
        .offset:         0
        .size:           8
        .value_kind:     global_buffer
      - .actual_access:  write_only
        .address_space:  global
        .offset:         8
        .size:           8
        .value_kind:     global_buffer
      - .offset:         16
        .size:           4
        .value_kind:     by_value
      - .offset:         24
        .size:           4
        .value_kind:     hidden_block_count_x
      - .offset:         28
        .size:           4
        .value_kind:     hidden_block_count_y
      - .offset:         32
        .size:           4
        .value_kind:     hidden_block_count_z
      - .offset:         36
        .size:           2
        .value_kind:     hidden_group_size_x
      - .offset:         38
        .size:           2
        .value_kind:     hidden_group_size_y
      - .offset:         40
        .size:           2
        .value_kind:     hidden_group_size_z
      - .offset:         42
        .size:           2
        .value_kind:     hidden_remainder_x
      - .offset:         44
        .size:           2
        .value_kind:     hidden_remainder_y
      - .offset:         46
        .size:           2
        .value_kind:     hidden_remainder_z
      - .offset:         64
        .size:           8
        .value_kind:     hidden_global_offset_x
      - .offset:         72
        .size:           8
        .value_kind:     hidden_global_offset_y
      - .offset:         80
        .size:           8
        .value_kind:     hidden_global_offset_z
      - .offset:         88
        .size:           2
        .value_kind:     hidden_grid_dims
    .group_segment_fixed_size: 0
    .kernarg_segment_align: 8
    .kernarg_segment_size: 280
    .language:       OpenCL C
    .language_version:
      - 2
      - 0
    .max_flat_workgroup_size: 1024
    .name:           _Z12rdsmh_kernelIfEvPKT_PS0_S0_
    .private_segment_fixed_size: 0
    .sgpr_count:     10
    .sgpr_spill_count: 0
    .symbol:         _Z12rdsmh_kernelIfEvPKT_PS0_S0_.kd
    .uniform_work_group_size: 1
    .uses_dynamic_stack: false
    .vgpr_count:     22
    .vgpr_spill_count: 0
    .wavefront_size: 32
    .workgroup_processor_mode: 1
  - .args:
      - .address_space:  global
        .offset:         0
        .size:           8
        .value_kind:     global_buffer
      - .address_space:  global
        .offset:         8
        .size:           8
        .value_kind:     global_buffer
      - .address_space:  global
        .offset:         16
        .size:           8
        .value_kind:     global_buffer
      - .address_space:  global
        .offset:         24
        .size:           8
        .value_kind:     global_buffer
      - .offset:         32
        .size:           4
        .value_kind:     by_value
      - .offset:         36
        .size:           4
        .value_kind:     by_value
      - .offset:         40
        .size:           4
        .value_kind:     hidden_block_count_x
      - .offset:         44
        .size:           4
        .value_kind:     hidden_block_count_y
      - .offset:         48
        .size:           4
        .value_kind:     hidden_block_count_z
      - .offset:         52
        .size:           2
        .value_kind:     hidden_group_size_x
      - .offset:         54
        .size:           2
        .value_kind:     hidden_group_size_y
      - .offset:         56
        .size:           2
        .value_kind:     hidden_group_size_z
      - .offset:         58
        .size:           2
        .value_kind:     hidden_remainder_x
      - .offset:         60
        .size:           2
        .value_kind:     hidden_remainder_y
      - .offset:         62
        .size:           2
        .value_kind:     hidden_remainder_z
      - .offset:         80
        .size:           8
        .value_kind:     hidden_global_offset_x
      - .offset:         88
        .size:           8
        .value_kind:     hidden_global_offset_y
      - .offset:         96
        .size:           8
        .value_kind:     hidden_global_offset_z
      - .offset:         104
        .size:           2
        .value_kind:     hidden_grid_dims
    .group_segment_fixed_size: 0
    .kernarg_segment_align: 8
    .kernarg_segment_size: 296
    .language:       OpenCL C
    .language_version:
      - 2
      - 0
    .max_flat_workgroup_size: 1024
    .name:           _Z7gr_baseIfEvPKT_S2_S2_PS0_S0_S0_
    .private_segment_fixed_size: 0
    .sgpr_count:     18
    .sgpr_spill_count: 0
    .symbol:         _Z7gr_baseIfEvPKT_S2_S2_PS0_S0_S0_.kd
    .uniform_work_group_size: 1
    .uses_dynamic_stack: false
    .vgpr_count:     45
    .vgpr_spill_count: 0
    .wavefront_size: 32
    .workgroup_processor_mode: 1
  - .args:
      - .actual_access:  read_only
        .address_space:  global
        .offset:         0
        .size:           8
        .value_kind:     global_buffer
      - .actual_access:  read_only
        .address_space:  global
        .offset:         8
        .size:           8
        .value_kind:     global_buffer
      - .actual_access:  write_only
        .address_space:  global
        .offset:         16
        .size:           8
        .value_kind:     global_buffer
      - .actual_access:  read_only
        .address_space:  global
        .offset:         24
        .size:           8
        .value_kind:     global_buffer
      - .offset:         32
        .size:           4
        .value_kind:     by_value
      - .offset:         40
        .size:           4
        .value_kind:     hidden_block_count_x
      - .offset:         44
        .size:           4
        .value_kind:     hidden_block_count_y
      - .offset:         48
        .size:           4
        .value_kind:     hidden_block_count_z
      - .offset:         52
        .size:           2
        .value_kind:     hidden_group_size_x
      - .offset:         54
        .size:           2
        .value_kind:     hidden_group_size_y
      - .offset:         56
        .size:           2
        .value_kind:     hidden_group_size_z
      - .offset:         58
        .size:           2
        .value_kind:     hidden_remainder_x
      - .offset:         60
        .size:           2
        .value_kind:     hidden_remainder_y
      - .offset:         62
        .size:           2
        .value_kind:     hidden_remainder_z
      - .offset:         80
        .size:           8
        .value_kind:     hidden_global_offset_x
      - .offset:         88
        .size:           8
        .value_kind:     hidden_global_offset_y
      - .offset:         96
        .size:           8
        .value_kind:     hidden_global_offset_z
      - .offset:         104
        .size:           2
        .value_kind:     hidden_grid_dims
    .group_segment_fixed_size: 0
    .kernarg_segment_align: 8
    .kernarg_segment_size: 296
    .language:       OpenCL C
    .language_version:
      - 2
      - 0
    .max_flat_workgroup_size: 1024
    .name:           _Z12ratt2_kernelIfEvPKT_S2_PS0_S2_S0_
    .private_segment_fixed_size: 0
    .sgpr_count:     18
    .sgpr_spill_count: 0
    .symbol:         _Z12ratt2_kernelIfEvPKT_S2_PS0_S2_S0_.kd
    .uniform_work_group_size: 1
    .uses_dynamic_stack: false
    .vgpr_count:     38
    .vgpr_spill_count: 0
    .wavefront_size: 32
    .workgroup_processor_mode: 1
  - .args:
      - .actual_access:  read_only
        .address_space:  global
        .offset:         0
        .size:           8
        .value_kind:     global_buffer
      - .actual_access:  read_only
        .address_space:  global
        .offset:         8
        .size:           8
        .value_kind:     global_buffer
      - .actual_access:  write_only
        .address_space:  global
        .offset:         16
        .size:           8
        .value_kind:     global_buffer
      - .actual_access:  read_only
        .address_space:  global
        .offset:         24
        .size:           8
        .value_kind:     global_buffer
      - .offset:         32
        .size:           4
        .value_kind:     by_value
      - .offset:         40
        .size:           4
        .value_kind:     hidden_block_count_x
      - .offset:         44
        .size:           4
        .value_kind:     hidden_block_count_y
      - .offset:         48
        .size:           4
        .value_kind:     hidden_block_count_z
      - .offset:         52
        .size:           2
        .value_kind:     hidden_group_size_x
      - .offset:         54
        .size:           2
        .value_kind:     hidden_group_size_y
      - .offset:         56
        .size:           2
        .value_kind:     hidden_group_size_z
      - .offset:         58
        .size:           2
        .value_kind:     hidden_remainder_x
      - .offset:         60
        .size:           2
        .value_kind:     hidden_remainder_y
      - .offset:         62
        .size:           2
        .value_kind:     hidden_remainder_z
      - .offset:         80
        .size:           8
        .value_kind:     hidden_global_offset_x
      - .offset:         88
        .size:           8
        .value_kind:     hidden_global_offset_y
      - .offset:         96
        .size:           8
        .value_kind:     hidden_global_offset_z
      - .offset:         104
        .size:           2
        .value_kind:     hidden_grid_dims
    .group_segment_fixed_size: 0
    .kernarg_segment_align: 8
    .kernarg_segment_size: 296
    .language:       OpenCL C
    .language_version:
      - 2
      - 0
    .max_flat_workgroup_size: 1024
    .name:           _Z12ratt3_kernelIfEvPKT_S2_PS0_S2_S0_
    .private_segment_fixed_size: 0
    .sgpr_count:     18
    .sgpr_spill_count: 0
    .symbol:         _Z12ratt3_kernelIfEvPKT_S2_PS0_S2_S0_.kd
    .uniform_work_group_size: 1
    .uses_dynamic_stack: false
    .vgpr_count:     69
    .vgpr_spill_count: 0
    .wavefront_size: 32
    .workgroup_processor_mode: 1
  - .args:
      - .actual_access:  read_only
        .address_space:  global
        .offset:         0
        .size:           8
        .value_kind:     global_buffer
      - .actual_access:  read_only
        .address_space:  global
        .offset:         8
        .size:           8
        .value_kind:     global_buffer
      - .actual_access:  write_only
        .address_space:  global
        .offset:         16
        .size:           8
        .value_kind:     global_buffer
      - .actual_access:  read_only
        .address_space:  global
        .offset:         24
        .size:           8
        .value_kind:     global_buffer
      - .offset:         32
        .size:           4
        .value_kind:     by_value
      - .offset:         40
        .size:           4
        .value_kind:     hidden_block_count_x
      - .offset:         44
        .size:           4
        .value_kind:     hidden_block_count_y
      - .offset:         48
        .size:           4
        .value_kind:     hidden_block_count_z
      - .offset:         52
        .size:           2
        .value_kind:     hidden_group_size_x
      - .offset:         54
        .size:           2
        .value_kind:     hidden_group_size_y
      - .offset:         56
        .size:           2
        .value_kind:     hidden_group_size_z
      - .offset:         58
        .size:           2
        .value_kind:     hidden_remainder_x
      - .offset:         60
        .size:           2
        .value_kind:     hidden_remainder_y
      - .offset:         62
        .size:           2
        .value_kind:     hidden_remainder_z
      - .offset:         80
        .size:           8
        .value_kind:     hidden_global_offset_x
      - .offset:         88
        .size:           8
        .value_kind:     hidden_global_offset_y
      - .offset:         96
        .size:           8
        .value_kind:     hidden_global_offset_z
      - .offset:         104
        .size:           2
        .value_kind:     hidden_grid_dims
    .group_segment_fixed_size: 0
    .kernarg_segment_align: 8
    .kernarg_segment_size: 296
    .language:       OpenCL C
    .language_version:
      - 2
      - 0
    .max_flat_workgroup_size: 1024
    .name:           _Z12ratt4_kernelIfEvPKT_S2_PS0_S2_S0_
    .private_segment_fixed_size: 0
    .sgpr_count:     18
    .sgpr_spill_count: 0
    .symbol:         _Z12ratt4_kernelIfEvPKT_S2_PS0_S2_S0_.kd
    .uniform_work_group_size: 1
    .uses_dynamic_stack: false
    .vgpr_count:     45
    .vgpr_spill_count: 0
    .wavefront_size: 32
    .workgroup_processor_mode: 1
  - .args:
      - .actual_access:  read_only
        .address_space:  global
        .offset:         0
        .size:           8
        .value_kind:     global_buffer
      - .actual_access:  read_only
        .address_space:  global
        .offset:         8
        .size:           8
        .value_kind:     global_buffer
      - .actual_access:  write_only
        .address_space:  global
        .offset:         16
        .size:           8
        .value_kind:     global_buffer
      - .actual_access:  read_only
        .address_space:  global
        .offset:         24
        .size:           8
        .value_kind:     global_buffer
      - .offset:         32
        .size:           4
        .value_kind:     by_value
      - .offset:         40
        .size:           4
        .value_kind:     hidden_block_count_x
      - .offset:         44
        .size:           4
        .value_kind:     hidden_block_count_y
      - .offset:         48
        .size:           4
        .value_kind:     hidden_block_count_z
      - .offset:         52
        .size:           2
        .value_kind:     hidden_group_size_x
      - .offset:         54
        .size:           2
        .value_kind:     hidden_group_size_y
      - .offset:         56
        .size:           2
        .value_kind:     hidden_group_size_z
      - .offset:         58
        .size:           2
        .value_kind:     hidden_remainder_x
      - .offset:         60
        .size:           2
        .value_kind:     hidden_remainder_y
      - .offset:         62
        .size:           2
        .value_kind:     hidden_remainder_z
      - .offset:         80
        .size:           8
        .value_kind:     hidden_global_offset_x
      - .offset:         88
        .size:           8
        .value_kind:     hidden_global_offset_y
      - .offset:         96
        .size:           8
        .value_kind:     hidden_global_offset_z
      - .offset:         104
        .size:           2
        .value_kind:     hidden_grid_dims
    .group_segment_fixed_size: 0
    .kernarg_segment_align: 8
    .kernarg_segment_size: 296
    .language:       OpenCL C
    .language_version:
      - 2
      - 0
    .max_flat_workgroup_size: 1024
    .name:           _Z12ratt5_kernelIfEvPKT_S2_PS0_S2_S0_
    .private_segment_fixed_size: 0
    .sgpr_count:     18
    .sgpr_spill_count: 0
    .symbol:         _Z12ratt5_kernelIfEvPKT_S2_PS0_S2_S0_.kd
    .uniform_work_group_size: 1
    .uses_dynamic_stack: false
    .vgpr_count:     41
    .vgpr_spill_count: 0
    .wavefront_size: 32
    .workgroup_processor_mode: 1
  - .args:
      - .actual_access:  read_only
        .address_space:  global
        .offset:         0
        .size:           8
        .value_kind:     global_buffer
      - .actual_access:  read_only
        .address_space:  global
        .offset:         8
        .size:           8
        .value_kind:     global_buffer
      - .actual_access:  write_only
        .address_space:  global
        .offset:         16
        .size:           8
        .value_kind:     global_buffer
      - .actual_access:  read_only
        .address_space:  global
        .offset:         24
        .size:           8
        .value_kind:     global_buffer
      - .offset:         32
        .size:           4
        .value_kind:     by_value
      - .offset:         40
        .size:           4
        .value_kind:     hidden_block_count_x
      - .offset:         44
        .size:           4
        .value_kind:     hidden_block_count_y
      - .offset:         48
        .size:           4
        .value_kind:     hidden_block_count_z
      - .offset:         52
        .size:           2
        .value_kind:     hidden_group_size_x
      - .offset:         54
        .size:           2
        .value_kind:     hidden_group_size_y
      - .offset:         56
        .size:           2
        .value_kind:     hidden_group_size_z
      - .offset:         58
        .size:           2
        .value_kind:     hidden_remainder_x
      - .offset:         60
        .size:           2
        .value_kind:     hidden_remainder_y
      - .offset:         62
        .size:           2
        .value_kind:     hidden_remainder_z
      - .offset:         80
        .size:           8
        .value_kind:     hidden_global_offset_x
      - .offset:         88
        .size:           8
        .value_kind:     hidden_global_offset_y
      - .offset:         96
        .size:           8
        .value_kind:     hidden_global_offset_z
      - .offset:         104
        .size:           2
        .value_kind:     hidden_grid_dims
    .group_segment_fixed_size: 0
    .kernarg_segment_align: 8
    .kernarg_segment_size: 296
    .language:       OpenCL C
    .language_version:
      - 2
      - 0
    .max_flat_workgroup_size: 1024
    .name:           _Z12ratt6_kernelIfEvPKT_S2_PS0_S2_S0_
    .private_segment_fixed_size: 0
    .sgpr_count:     18
    .sgpr_spill_count: 0
    .symbol:         _Z12ratt6_kernelIfEvPKT_S2_PS0_S2_S0_.kd
    .uniform_work_group_size: 1
    .uses_dynamic_stack: false
    .vgpr_count:     33
    .vgpr_spill_count: 0
    .wavefront_size: 32
    .workgroup_processor_mode: 1
  - .args:
      - .actual_access:  read_only
        .address_space:  global
        .offset:         0
        .size:           8
        .value_kind:     global_buffer
      - .actual_access:  read_only
        .address_space:  global
        .offset:         8
        .size:           8
        .value_kind:     global_buffer
      - .actual_access:  write_only
        .address_space:  global
        .offset:         16
        .size:           8
        .value_kind:     global_buffer
      - .actual_access:  read_only
        .address_space:  global
        .offset:         24
        .size:           8
        .value_kind:     global_buffer
      - .offset:         32
        .size:           4
        .value_kind:     by_value
      - .offset:         40
        .size:           4
        .value_kind:     hidden_block_count_x
      - .offset:         44
        .size:           4
        .value_kind:     hidden_block_count_y
      - .offset:         48
        .size:           4
        .value_kind:     hidden_block_count_z
      - .offset:         52
        .size:           2
        .value_kind:     hidden_group_size_x
      - .offset:         54
        .size:           2
        .value_kind:     hidden_group_size_y
      - .offset:         56
        .size:           2
        .value_kind:     hidden_group_size_z
      - .offset:         58
        .size:           2
        .value_kind:     hidden_remainder_x
      - .offset:         60
        .size:           2
        .value_kind:     hidden_remainder_y
      - .offset:         62
        .size:           2
        .value_kind:     hidden_remainder_z
      - .offset:         80
        .size:           8
        .value_kind:     hidden_global_offset_x
      - .offset:         88
        .size:           8
        .value_kind:     hidden_global_offset_y
      - .offset:         96
        .size:           8
        .value_kind:     hidden_global_offset_z
      - .offset:         104
        .size:           2
        .value_kind:     hidden_grid_dims
    .group_segment_fixed_size: 0
    .kernarg_segment_align: 8
    .kernarg_segment_size: 296
    .language:       OpenCL C
    .language_version:
      - 2
      - 0
    .max_flat_workgroup_size: 1024
    .name:           _Z12ratt7_kernelIfEvPKT_S2_PS0_S2_S0_
    .private_segment_fixed_size: 0
    .sgpr_count:     18
    .sgpr_spill_count: 0
    .symbol:         _Z12ratt7_kernelIfEvPKT_S2_PS0_S2_S0_.kd
    .uniform_work_group_size: 1
    .uses_dynamic_stack: false
    .vgpr_count:     37
    .vgpr_spill_count: 0
    .wavefront_size: 32
    .workgroup_processor_mode: 1
  - .args:
      - .actual_access:  read_only
        .address_space:  global
        .offset:         0
        .size:           8
        .value_kind:     global_buffer
      - .actual_access:  read_only
        .address_space:  global
        .offset:         8
        .size:           8
        .value_kind:     global_buffer
      - .actual_access:  write_only
        .address_space:  global
        .offset:         16
        .size:           8
        .value_kind:     global_buffer
      - .actual_access:  read_only
        .address_space:  global
        .offset:         24
        .size:           8
        .value_kind:     global_buffer
      - .offset:         32
        .size:           4
        .value_kind:     by_value
      - .offset:         40
        .size:           4
        .value_kind:     hidden_block_count_x
      - .offset:         44
        .size:           4
        .value_kind:     hidden_block_count_y
      - .offset:         48
        .size:           4
        .value_kind:     hidden_block_count_z
      - .offset:         52
        .size:           2
        .value_kind:     hidden_group_size_x
      - .offset:         54
        .size:           2
        .value_kind:     hidden_group_size_y
      - .offset:         56
        .size:           2
        .value_kind:     hidden_group_size_z
      - .offset:         58
        .size:           2
        .value_kind:     hidden_remainder_x
      - .offset:         60
        .size:           2
        .value_kind:     hidden_remainder_y
      - .offset:         62
        .size:           2
        .value_kind:     hidden_remainder_z
      - .offset:         80
        .size:           8
        .value_kind:     hidden_global_offset_x
      - .offset:         88
        .size:           8
        .value_kind:     hidden_global_offset_y
      - .offset:         96
        .size:           8
        .value_kind:     hidden_global_offset_z
      - .offset:         104
        .size:           2
        .value_kind:     hidden_grid_dims
    .group_segment_fixed_size: 0
    .kernarg_segment_align: 8
    .kernarg_segment_size: 296
    .language:       OpenCL C
    .language_version:
      - 2
      - 0
    .max_flat_workgroup_size: 1024
    .name:           _Z12ratt8_kernelIfEvPKT_S2_PS0_S2_S0_
    .private_segment_fixed_size: 0
    .sgpr_count:     18
    .sgpr_spill_count: 0
    .symbol:         _Z12ratt8_kernelIfEvPKT_S2_PS0_S2_S0_.kd
    .uniform_work_group_size: 1
    .uses_dynamic_stack: false
    .vgpr_count:     42
    .vgpr_spill_count: 0
    .wavefront_size: 32
    .workgroup_processor_mode: 1
  - .args:
      - .actual_access:  read_only
        .address_space:  global
        .offset:         0
        .size:           8
        .value_kind:     global_buffer
      - .actual_access:  read_only
        .address_space:  global
        .offset:         8
        .size:           8
        .value_kind:     global_buffer
      - .actual_access:  write_only
        .address_space:  global
        .offset:         16
        .size:           8
        .value_kind:     global_buffer
      - .actual_access:  read_only
        .address_space:  global
        .offset:         24
        .size:           8
        .value_kind:     global_buffer
      - .offset:         32
        .size:           4
        .value_kind:     by_value
      - .offset:         40
        .size:           4
        .value_kind:     hidden_block_count_x
      - .offset:         44
        .size:           4
        .value_kind:     hidden_block_count_y
      - .offset:         48
        .size:           4
        .value_kind:     hidden_block_count_z
      - .offset:         52
        .size:           2
        .value_kind:     hidden_group_size_x
      - .offset:         54
        .size:           2
        .value_kind:     hidden_group_size_y
      - .offset:         56
        .size:           2
        .value_kind:     hidden_group_size_z
      - .offset:         58
        .size:           2
        .value_kind:     hidden_remainder_x
      - .offset:         60
        .size:           2
        .value_kind:     hidden_remainder_y
      - .offset:         62
        .size:           2
        .value_kind:     hidden_remainder_z
      - .offset:         80
        .size:           8
        .value_kind:     hidden_global_offset_x
      - .offset:         88
        .size:           8
        .value_kind:     hidden_global_offset_y
      - .offset:         96
        .size:           8
        .value_kind:     hidden_global_offset_z
      - .offset:         104
        .size:           2
        .value_kind:     hidden_grid_dims
    .group_segment_fixed_size: 0
    .kernarg_segment_align: 8
    .kernarg_segment_size: 296
    .language:       OpenCL C
    .language_version:
      - 2
      - 0
    .max_flat_workgroup_size: 1024
    .name:           _Z12ratt9_kernelIfEvPKT_S2_PS0_S2_S0_
    .private_segment_fixed_size: 0
    .sgpr_count:     18
    .sgpr_spill_count: 0
    .symbol:         _Z12ratt9_kernelIfEvPKT_S2_PS0_S2_S0_.kd
    .uniform_work_group_size: 1
    .uses_dynamic_stack: false
    .vgpr_count:     50
    .vgpr_spill_count: 0
    .wavefront_size: 32
    .workgroup_processor_mode: 1
  - .args:
      - .actual_access:  read_only
        .address_space:  global
        .offset:         0
        .size:           8
        .value_kind:     global_buffer
      - .actual_access:  write_only
        .address_space:  global
        .offset:         8
        .size:           8
        .value_kind:     global_buffer
      - .offset:         16
        .size:           4
        .value_kind:     by_value
      - .offset:         24
        .size:           4
        .value_kind:     hidden_block_count_x
      - .offset:         28
        .size:           4
        .value_kind:     hidden_block_count_y
      - .offset:         32
        .size:           4
        .value_kind:     hidden_block_count_z
      - .offset:         36
        .size:           2
        .value_kind:     hidden_group_size_x
      - .offset:         38
        .size:           2
        .value_kind:     hidden_group_size_y
      - .offset:         40
        .size:           2
        .value_kind:     hidden_group_size_z
      - .offset:         42
        .size:           2
        .value_kind:     hidden_remainder_x
      - .offset:         44
        .size:           2
        .value_kind:     hidden_remainder_y
      - .offset:         46
        .size:           2
        .value_kind:     hidden_remainder_z
      - .offset:         64
        .size:           8
        .value_kind:     hidden_global_offset_x
      - .offset:         72
        .size:           8
        .value_kind:     hidden_global_offset_y
      - .offset:         80
        .size:           8
        .value_kind:     hidden_global_offset_z
      - .offset:         88
        .size:           2
        .value_kind:     hidden_grid_dims
    .group_segment_fixed_size: 0
    .kernarg_segment_align: 8
    .kernarg_segment_size: 280
    .language:       OpenCL C
    .language_version:
      - 2
      - 0
    .max_flat_workgroup_size: 1024
    .name:           _Z13ratt10_kernelIfEvPKT_PS0_S0_
    .private_segment_fixed_size: 0
    .sgpr_count:     11
    .sgpr_spill_count: 0
    .symbol:         _Z13ratt10_kernelIfEvPKT_PS0_S0_.kd
    .uniform_work_group_size: 1
    .uses_dynamic_stack: false
    .vgpr_count:     12
    .vgpr_spill_count: 0
    .wavefront_size: 32
    .workgroup_processor_mode: 1
  - .args:
      - .actual_access:  read_only
        .address_space:  global
        .offset:         0
        .size:           8
        .value_kind:     global_buffer
      - .actual_access:  read_only
        .address_space:  global
        .offset:         8
        .size:           8
        .value_kind:     global_buffer
      - .address_space:  global
        .offset:         16
        .size:           8
        .value_kind:     global_buffer
      - .address_space:  global
        .offset:         24
        .size:           8
        .value_kind:     global_buffer
      - .actual_access:  read_only
        .address_space:  global
        .offset:         32
        .size:           8
        .value_kind:     global_buffer
      - .offset:         40
        .size:           4
        .value_kind:     by_value
      - .offset:         48
        .size:           4
        .value_kind:     hidden_block_count_x
      - .offset:         52
        .size:           4
        .value_kind:     hidden_block_count_y
      - .offset:         56
        .size:           4
        .value_kind:     hidden_block_count_z
      - .offset:         60
        .size:           2
        .value_kind:     hidden_group_size_x
      - .offset:         62
        .size:           2
        .value_kind:     hidden_group_size_y
      - .offset:         64
        .size:           2
        .value_kind:     hidden_group_size_z
      - .offset:         66
        .size:           2
        .value_kind:     hidden_remainder_x
      - .offset:         68
        .size:           2
        .value_kind:     hidden_remainder_y
      - .offset:         70
        .size:           2
        .value_kind:     hidden_remainder_z
      - .offset:         88
        .size:           8
        .value_kind:     hidden_global_offset_x
      - .offset:         96
        .size:           8
        .value_kind:     hidden_global_offset_y
      - .offset:         104
        .size:           8
        .value_kind:     hidden_global_offset_z
      - .offset:         112
        .size:           2
        .value_kind:     hidden_grid_dims
    .group_segment_fixed_size: 0
    .kernarg_segment_align: 8
    .kernarg_segment_size: 304
    .language:       OpenCL C
    .language_version:
      - 2
      - 0
    .max_flat_workgroup_size: 1024
    .name:           _Z11ratx_kernelIfEvPKT_S2_PS0_S3_S2_S0_
    .private_segment_fixed_size: 0
    .sgpr_count:     18
    .sgpr_spill_count: 0
    .symbol:         _Z11ratx_kernelIfEvPKT_S2_PS0_S3_S2_S0_.kd
    .uniform_work_group_size: 1
    .uses_dynamic_stack: false
    .vgpr_count:     55
    .vgpr_spill_count: 0
    .wavefront_size: 32
    .workgroup_processor_mode: 1
  - .args:
      - .actual_access:  read_only
        .address_space:  global
        .offset:         0
        .size:           8
        .value_kind:     global_buffer
      - .actual_access:  read_only
        .address_space:  global
        .offset:         8
        .size:           8
        .value_kind:     global_buffer
      - .address_space:  global
        .offset:         16
        .size:           8
        .value_kind:     global_buffer
      - .address_space:  global
        .offset:         24
        .size:           8
        .value_kind:     global_buffer
      - .actual_access:  read_only
        .address_space:  global
        .offset:         32
        .size:           8
        .value_kind:     global_buffer
      - .offset:         40
        .size:           4
        .value_kind:     by_value
      - .offset:         48
        .size:           4
        .value_kind:     hidden_block_count_x
      - .offset:         52
        .size:           4
        .value_kind:     hidden_block_count_y
      - .offset:         56
        .size:           4
        .value_kind:     hidden_block_count_z
      - .offset:         60
        .size:           2
        .value_kind:     hidden_group_size_x
      - .offset:         62
        .size:           2
        .value_kind:     hidden_group_size_y
      - .offset:         64
        .size:           2
        .value_kind:     hidden_group_size_z
      - .offset:         66
        .size:           2
        .value_kind:     hidden_remainder_x
      - .offset:         68
        .size:           2
        .value_kind:     hidden_remainder_y
      - .offset:         70
        .size:           2
        .value_kind:     hidden_remainder_z
      - .offset:         88
        .size:           8
        .value_kind:     hidden_global_offset_x
      - .offset:         96
        .size:           8
        .value_kind:     hidden_global_offset_y
      - .offset:         104
        .size:           8
        .value_kind:     hidden_global_offset_z
      - .offset:         112
        .size:           2
        .value_kind:     hidden_grid_dims
    .group_segment_fixed_size: 0
    .kernarg_segment_align: 8
    .kernarg_segment_size: 304
    .language:       OpenCL C
    .language_version:
      - 2
      - 0
    .max_flat_workgroup_size: 1024
    .name:           _Z12ratxb_kernelIfEvPKT_S2_PS0_S3_S2_S0_
    .private_segment_fixed_size: 0
    .sgpr_count:     18
    .sgpr_spill_count: 0
    .symbol:         _Z12ratxb_kernelIfEvPKT_S2_PS0_S3_S2_S0_.kd
    .uniform_work_group_size: 1
    .uses_dynamic_stack: false
    .vgpr_count:     54
    .vgpr_spill_count: 0
    .wavefront_size: 32
    .workgroup_processor_mode: 1
  - .args:
      - .actual_access:  read_only
        .address_space:  global
        .offset:         0
        .size:           8
        .value_kind:     global_buffer
      - .address_space:  global
        .offset:         8
        .size:           8
        .value_kind:     global_buffer
      - .actual_access:  read_only
        .address_space:  global
        .offset:         16
        .size:           8
        .value_kind:     global_buffer
      - .offset:         24
        .size:           4
        .value_kind:     hidden_block_count_x
      - .offset:         28
        .size:           4
        .value_kind:     hidden_block_count_y
      - .offset:         32
        .size:           4
        .value_kind:     hidden_block_count_z
      - .offset:         36
        .size:           2
        .value_kind:     hidden_group_size_x
      - .offset:         38
        .size:           2
        .value_kind:     hidden_group_size_y
      - .offset:         40
        .size:           2
        .value_kind:     hidden_group_size_z
      - .offset:         42
        .size:           2
        .value_kind:     hidden_remainder_x
      - .offset:         44
        .size:           2
        .value_kind:     hidden_remainder_y
      - .offset:         46
        .size:           2
        .value_kind:     hidden_remainder_z
      - .offset:         64
        .size:           8
        .value_kind:     hidden_global_offset_x
      - .offset:         72
        .size:           8
        .value_kind:     hidden_global_offset_y
      - .offset:         80
        .size:           8
        .value_kind:     hidden_global_offset_z
      - .offset:         88
        .size:           2
        .value_kind:     hidden_grid_dims
    .group_segment_fixed_size: 0
    .kernarg_segment_align: 8
    .kernarg_segment_size: 280
    .language:       OpenCL C
    .language_version:
      - 2
      - 0
    .max_flat_workgroup_size: 1024
    .name:           _Z12ratx2_kernelIfEvPKT_PS0_S3_
    .private_segment_fixed_size: 0
    .sgpr_count:     11
    .sgpr_spill_count: 0
    .symbol:         _Z12ratx2_kernelIfEvPKT_PS0_S3_.kd
    .uniform_work_group_size: 1
    .uses_dynamic_stack: false
    .vgpr_count:     48
    .vgpr_spill_count: 0
    .wavefront_size: 32
    .workgroup_processor_mode: 1
  - .args:
      - .actual_access:  read_only
        .address_space:  global
        .offset:         0
        .size:           8
        .value_kind:     global_buffer
      - .actual_access:  read_only
        .address_space:  global
        .offset:         8
        .size:           8
        .value_kind:     global_buffer
      - .address_space:  global
        .offset:         16
        .size:           8
        .value_kind:     global_buffer
      - .offset:         24
        .size:           4
        .value_kind:     hidden_block_count_x
      - .offset:         28
        .size:           4
        .value_kind:     hidden_block_count_y
      - .offset:         32
        .size:           4
        .value_kind:     hidden_block_count_z
      - .offset:         36
        .size:           2
        .value_kind:     hidden_group_size_x
      - .offset:         38
        .size:           2
        .value_kind:     hidden_group_size_y
      - .offset:         40
        .size:           2
        .value_kind:     hidden_group_size_z
      - .offset:         42
        .size:           2
        .value_kind:     hidden_remainder_x
      - .offset:         44
        .size:           2
        .value_kind:     hidden_remainder_y
      - .offset:         46
        .size:           2
        .value_kind:     hidden_remainder_z
      - .offset:         64
        .size:           8
        .value_kind:     hidden_global_offset_x
      - .offset:         72
        .size:           8
        .value_kind:     hidden_global_offset_y
      - .offset:         80
        .size:           8
        .value_kind:     hidden_global_offset_z
      - .offset:         88
        .size:           2
        .value_kind:     hidden_grid_dims
    .group_segment_fixed_size: 0
    .kernarg_segment_align: 8
    .kernarg_segment_size: 280
    .language:       OpenCL C
    .language_version:
      - 2
      - 0
    .max_flat_workgroup_size: 1024
    .name:           _Z12ratx4_kernelIfEvPKT_PS0_S3_
    .private_segment_fixed_size: 0
    .sgpr_count:     10
    .sgpr_spill_count: 0
    .symbol:         _Z12ratx4_kernelIfEvPKT_PS0_S3_.kd
    .uniform_work_group_size: 1
    .uses_dynamic_stack: false
    .vgpr_count:     54
    .vgpr_spill_count: 0
    .wavefront_size: 32
    .workgroup_processor_mode: 1
  - .args:
      - .address_space:  global
        .offset:         0
        .size:           8
        .value_kind:     global_buffer
      - .address_space:  global
        .offset:         8
        .size:           8
        .value_kind:     global_buffer
      - .actual_access:  write_only
        .address_space:  global
        .offset:         16
        .size:           8
        .value_kind:     global_buffer
      - .offset:         24
        .size:           4
        .value_kind:     hidden_block_count_x
      - .offset:         28
        .size:           4
        .value_kind:     hidden_block_count_y
      - .offset:         32
        .size:           4
        .value_kind:     hidden_block_count_z
      - .offset:         36
        .size:           2
        .value_kind:     hidden_group_size_x
      - .offset:         38
        .size:           2
        .value_kind:     hidden_group_size_y
      - .offset:         40
        .size:           2
        .value_kind:     hidden_group_size_z
      - .offset:         42
        .size:           2
        .value_kind:     hidden_remainder_x
      - .offset:         44
        .size:           2
        .value_kind:     hidden_remainder_y
      - .offset:         46
        .size:           2
        .value_kind:     hidden_remainder_z
      - .offset:         64
        .size:           8
        .value_kind:     hidden_global_offset_x
      - .offset:         72
        .size:           8
        .value_kind:     hidden_global_offset_y
      - .offset:         80
        .size:           8
        .value_kind:     hidden_global_offset_z
      - .offset:         88
        .size:           2
        .value_kind:     hidden_grid_dims
    .group_segment_fixed_size: 0
    .kernarg_segment_align: 8
    .kernarg_segment_size: 280
    .language:       OpenCL C
    .language_version:
      - 2
      - 0
    .max_flat_workgroup_size: 1024
    .name:           _Z11qssa_kernelIfEvPT_S1_S1_
    .private_segment_fixed_size: 20
    .sgpr_count:     26
    .sgpr_spill_count: 0
    .symbol:         _Z11qssa_kernelIfEvPT_S1_S1_.kd
    .uniform_work_group_size: 1
    .uses_dynamic_stack: false
    .vgpr_count:     128
    .vgpr_spill_count: 4
    .wavefront_size: 32
    .workgroup_processor_mode: 1
  - .args:
      - .actual_access:  read_only
        .address_space:  global
        .offset:         0
        .size:           8
        .value_kind:     global_buffer
      - .actual_access:  read_only
        .address_space:  global
        .offset:         8
        .size:           8
        .value_kind:     global_buffer
      - .address_space:  global
        .offset:         16
        .size:           8
        .value_kind:     global_buffer
      - .offset:         24
        .size:           4
        .value_kind:     hidden_block_count_x
      - .offset:         28
        .size:           4
        .value_kind:     hidden_block_count_y
      - .offset:         32
        .size:           4
        .value_kind:     hidden_block_count_z
      - .offset:         36
        .size:           2
        .value_kind:     hidden_group_size_x
      - .offset:         38
        .size:           2
        .value_kind:     hidden_group_size_y
      - .offset:         40
        .size:           2
        .value_kind:     hidden_group_size_z
      - .offset:         42
        .size:           2
        .value_kind:     hidden_remainder_x
      - .offset:         44
        .size:           2
        .value_kind:     hidden_remainder_y
      - .offset:         46
        .size:           2
        .value_kind:     hidden_remainder_z
      - .offset:         64
        .size:           8
        .value_kind:     hidden_global_offset_x
      - .offset:         72
        .size:           8
        .value_kind:     hidden_global_offset_y
      - .offset:         80
        .size:           8
        .value_kind:     hidden_global_offset_z
      - .offset:         88
        .size:           2
        .value_kind:     hidden_grid_dims
    .group_segment_fixed_size: 0
    .kernarg_segment_align: 8
    .kernarg_segment_size: 280
    .language:       OpenCL C
    .language_version:
      - 2
      - 0
    .max_flat_workgroup_size: 1024
    .name:           _Z12qssab_kernelIfEvPT_S1_S1_
    .private_segment_fixed_size: 0
    .sgpr_count:     12
    .sgpr_spill_count: 0
    .symbol:         _Z12qssab_kernelIfEvPT_S1_S1_.kd
    .uniform_work_group_size: 1
    .uses_dynamic_stack: false
    .vgpr_count:     58
    .vgpr_spill_count: 0
    .wavefront_size: 32
    .workgroup_processor_mode: 1
  - .args:
      - .address_space:  global
        .offset:         0
        .size:           8
        .value_kind:     global_buffer
      - .address_space:  global
        .offset:         8
        .size:           8
        .value_kind:     global_buffer
      - .actual_access:  read_only
        .address_space:  global
        .offset:         16
        .size:           8
        .value_kind:     global_buffer
      - .offset:         24
        .size:           4
        .value_kind:     hidden_block_count_x
      - .offset:         28
        .size:           4
        .value_kind:     hidden_block_count_y
      - .offset:         32
        .size:           4
        .value_kind:     hidden_block_count_z
      - .offset:         36
        .size:           2
        .value_kind:     hidden_group_size_x
      - .offset:         38
        .size:           2
        .value_kind:     hidden_group_size_y
      - .offset:         40
        .size:           2
        .value_kind:     hidden_group_size_z
      - .offset:         42
        .size:           2
        .value_kind:     hidden_remainder_x
      - .offset:         44
        .size:           2
        .value_kind:     hidden_remainder_y
      - .offset:         46
        .size:           2
        .value_kind:     hidden_remainder_z
      - .offset:         64
        .size:           8
        .value_kind:     hidden_global_offset_x
      - .offset:         72
        .size:           8
        .value_kind:     hidden_global_offset_y
      - .offset:         80
        .size:           8
        .value_kind:     hidden_global_offset_z
      - .offset:         88
        .size:           2
        .value_kind:     hidden_grid_dims
    .group_segment_fixed_size: 0
    .kernarg_segment_align: 8
    .kernarg_segment_size: 280
    .language:       OpenCL C
    .language_version:
      - 2
      - 0
    .max_flat_workgroup_size: 1024
    .name:           _Z12qssa2_kernelIfEvPT_S1_PKS0_
    .private_segment_fixed_size: 0
    .sgpr_count:     13
    .sgpr_spill_count: 0
    .symbol:         _Z12qssa2_kernelIfEvPT_S1_PKS0_.kd
    .uniform_work_group_size: 1
    .uses_dynamic_stack: false
    .vgpr_count:     63
    .vgpr_spill_count: 0
    .wavefront_size: 32
    .workgroup_processor_mode: 1
  - .args:
      - .actual_access:  read_only
        .address_space:  global
        .offset:         0
        .size:           8
        .value_kind:     global_buffer
      - .actual_access:  read_only
        .address_space:  global
        .offset:         8
        .size:           8
        .value_kind:     global_buffer
      - .actual_access:  write_only
        .address_space:  global
        .offset:         16
        .size:           8
        .value_kind:     global_buffer
      - .offset:         24
        .size:           4
        .value_kind:     by_value
      - .actual_access:  read_only
        .address_space:  global
        .offset:         32
        .size:           8
        .value_kind:     global_buffer
      - .offset:         40
        .size:           4
        .value_kind:     hidden_block_count_x
      - .offset:         44
        .size:           4
        .value_kind:     hidden_block_count_y
      - .offset:         48
        .size:           4
        .value_kind:     hidden_block_count_z
      - .offset:         52
        .size:           2
        .value_kind:     hidden_group_size_x
      - .offset:         54
        .size:           2
        .value_kind:     hidden_group_size_y
      - .offset:         56
        .size:           2
        .value_kind:     hidden_group_size_z
      - .offset:         58
        .size:           2
        .value_kind:     hidden_remainder_x
      - .offset:         60
        .size:           2
        .value_kind:     hidden_remainder_y
      - .offset:         62
        .size:           2
        .value_kind:     hidden_remainder_z
      - .offset:         80
        .size:           8
        .value_kind:     hidden_global_offset_x
      - .offset:         88
        .size:           8
        .value_kind:     hidden_global_offset_y
      - .offset:         96
        .size:           8
        .value_kind:     hidden_global_offset_z
      - .offset:         104
        .size:           2
        .value_kind:     hidden_grid_dims
    .group_segment_fixed_size: 0
    .kernarg_segment_align: 8
    .kernarg_segment_size: 296
    .language:       OpenCL C
    .language_version:
      - 2
      - 0
    .max_flat_workgroup_size: 1024
    .name:           _Z13rdwdot_kernelIfEvPKT_S2_PS0_S0_S2_
    .private_segment_fixed_size: 0
    .sgpr_count:     19
    .sgpr_spill_count: 0
    .symbol:         _Z13rdwdot_kernelIfEvPKT_S2_PS0_S0_S2_.kd
    .uniform_work_group_size: 1
    .uses_dynamic_stack: false
    .vgpr_count:     11
    .vgpr_spill_count: 0
    .wavefront_size: 32
    .workgroup_processor_mode: 1
  - .args:
      - .actual_access:  read_only
        .address_space:  global
        .offset:         0
        .size:           8
        .value_kind:     global_buffer
      - .actual_access:  read_only
        .address_space:  global
        .offset:         8
        .size:           8
        .value_kind:     global_buffer
      - .actual_access:  write_only
        .address_space:  global
        .offset:         16
        .size:           8
        .value_kind:     global_buffer
      - .offset:         24
        .size:           4
        .value_kind:     by_value
      - .actual_access:  read_only
        .address_space:  global
        .offset:         32
        .size:           8
        .value_kind:     global_buffer
      - .offset:         40
        .size:           4
        .value_kind:     hidden_block_count_x
      - .offset:         44
        .size:           4
        .value_kind:     hidden_block_count_y
      - .offset:         48
        .size:           4
        .value_kind:     hidden_block_count_z
      - .offset:         52
        .size:           2
        .value_kind:     hidden_group_size_x
      - .offset:         54
        .size:           2
        .value_kind:     hidden_group_size_y
      - .offset:         56
        .size:           2
        .value_kind:     hidden_group_size_z
      - .offset:         58
        .size:           2
        .value_kind:     hidden_remainder_x
      - .offset:         60
        .size:           2
        .value_kind:     hidden_remainder_y
      - .offset:         62
        .size:           2
        .value_kind:     hidden_remainder_z
      - .offset:         80
        .size:           8
        .value_kind:     hidden_global_offset_x
      - .offset:         88
        .size:           8
        .value_kind:     hidden_global_offset_y
      - .offset:         96
        .size:           8
        .value_kind:     hidden_global_offset_z
      - .offset:         104
        .size:           2
        .value_kind:     hidden_grid_dims
    .group_segment_fixed_size: 0
    .kernarg_segment_align: 8
    .kernarg_segment_size: 296
    .language:       OpenCL C
    .language_version:
      - 2
      - 0
    .max_flat_workgroup_size: 1024
    .name:           _Z14rdwdot2_kernelIfEvPKT_S2_PS0_S0_S2_
    .private_segment_fixed_size: 0
    .sgpr_count:     13
    .sgpr_spill_count: 0
    .symbol:         _Z14rdwdot2_kernelIfEvPKT_S2_PS0_S0_S2_.kd
    .uniform_work_group_size: 1
    .uses_dynamic_stack: false
    .vgpr_count:     59
    .vgpr_spill_count: 0
    .wavefront_size: 32
    .workgroup_processor_mode: 1
  - .args:
      - .actual_access:  read_only
        .address_space:  global
        .offset:         0
        .size:           8
        .value_kind:     global_buffer
      - .actual_access:  read_only
        .address_space:  global
        .offset:         8
        .size:           8
        .value_kind:     global_buffer
      - .actual_access:  write_only
        .address_space:  global
        .offset:         16
        .size:           8
        .value_kind:     global_buffer
      - .offset:         24
        .size:           4
        .value_kind:     by_value
      - .actual_access:  read_only
        .address_space:  global
        .offset:         32
        .size:           8
        .value_kind:     global_buffer
      - .offset:         40
        .size:           4
        .value_kind:     hidden_block_count_x
      - .offset:         44
        .size:           4
        .value_kind:     hidden_block_count_y
      - .offset:         48
        .size:           4
        .value_kind:     hidden_block_count_z
      - .offset:         52
        .size:           2
        .value_kind:     hidden_group_size_x
      - .offset:         54
        .size:           2
        .value_kind:     hidden_group_size_y
      - .offset:         56
        .size:           2
        .value_kind:     hidden_group_size_z
      - .offset:         58
        .size:           2
        .value_kind:     hidden_remainder_x
      - .offset:         60
        .size:           2
        .value_kind:     hidden_remainder_y
      - .offset:         62
        .size:           2
        .value_kind:     hidden_remainder_z
      - .offset:         80
        .size:           8
        .value_kind:     hidden_global_offset_x
      - .offset:         88
        .size:           8
        .value_kind:     hidden_global_offset_y
      - .offset:         96
        .size:           8
        .value_kind:     hidden_global_offset_z
      - .offset:         104
        .size:           2
        .value_kind:     hidden_grid_dims
    .group_segment_fixed_size: 0
    .kernarg_segment_align: 8
    .kernarg_segment_size: 296
    .language:       OpenCL C
    .language_version:
      - 2
      - 0
    .max_flat_workgroup_size: 1024
    .name:           _Z14rdwdot3_kernelIfEvPKT_S2_PS0_S0_S2_
    .private_segment_fixed_size: 0
    .sgpr_count:     25
    .sgpr_spill_count: 0
    .symbol:         _Z14rdwdot3_kernelIfEvPKT_S2_PS0_S0_S2_.kd
    .uniform_work_group_size: 1
    .uses_dynamic_stack: false
    .vgpr_count:     35
    .vgpr_spill_count: 0
    .wavefront_size: 32
    .workgroup_processor_mode: 1
  - .args:
      - .actual_access:  read_only
        .address_space:  global
        .offset:         0
        .size:           8
        .value_kind:     global_buffer
      - .actual_access:  read_only
        .address_space:  global
        .offset:         8
        .size:           8
        .value_kind:     global_buffer
      - .actual_access:  write_only
        .address_space:  global
        .offset:         16
        .size:           8
        .value_kind:     global_buffer
      - .offset:         24
        .size:           4
        .value_kind:     by_value
      - .actual_access:  read_only
        .address_space:  global
        .offset:         32
        .size:           8
        .value_kind:     global_buffer
      - .offset:         40
        .size:           4
        .value_kind:     hidden_block_count_x
      - .offset:         44
        .size:           4
        .value_kind:     hidden_block_count_y
      - .offset:         48
        .size:           4
        .value_kind:     hidden_block_count_z
      - .offset:         52
        .size:           2
        .value_kind:     hidden_group_size_x
      - .offset:         54
        .size:           2
        .value_kind:     hidden_group_size_y
      - .offset:         56
        .size:           2
        .value_kind:     hidden_group_size_z
      - .offset:         58
        .size:           2
        .value_kind:     hidden_remainder_x
      - .offset:         60
        .size:           2
        .value_kind:     hidden_remainder_y
      - .offset:         62
        .size:           2
        .value_kind:     hidden_remainder_z
      - .offset:         80
        .size:           8
        .value_kind:     hidden_global_offset_x
      - .offset:         88
        .size:           8
        .value_kind:     hidden_global_offset_y
      - .offset:         96
        .size:           8
        .value_kind:     hidden_global_offset_z
      - .offset:         104
        .size:           2
        .value_kind:     hidden_grid_dims
    .group_segment_fixed_size: 0
    .kernarg_segment_align: 8
    .kernarg_segment_size: 296
    .language:       OpenCL C
    .language_version:
      - 2
      - 0
    .max_flat_workgroup_size: 1024
    .name:           _Z14rdwdot6_kernelIfEvPKT_S2_PS0_S0_S2_
    .private_segment_fixed_size: 0
    .sgpr_count:     17
    .sgpr_spill_count: 0
    .symbol:         _Z14rdwdot6_kernelIfEvPKT_S2_PS0_S0_S2_.kd
    .uniform_work_group_size: 1
    .uses_dynamic_stack: false
    .vgpr_count:     14
    .vgpr_spill_count: 0
    .wavefront_size: 32
    .workgroup_processor_mode: 1
  - .args:
      - .actual_access:  read_only
        .address_space:  global
        .offset:         0
        .size:           8
        .value_kind:     global_buffer
      - .actual_access:  read_only
        .address_space:  global
        .offset:         8
        .size:           8
        .value_kind:     global_buffer
      - .actual_access:  write_only
        .address_space:  global
        .offset:         16
        .size:           8
        .value_kind:     global_buffer
      - .offset:         24
        .size:           4
        .value_kind:     by_value
      - .actual_access:  read_only
        .address_space:  global
        .offset:         32
        .size:           8
        .value_kind:     global_buffer
      - .offset:         40
        .size:           4
        .value_kind:     hidden_block_count_x
      - .offset:         44
        .size:           4
        .value_kind:     hidden_block_count_y
      - .offset:         48
        .size:           4
        .value_kind:     hidden_block_count_z
      - .offset:         52
        .size:           2
        .value_kind:     hidden_group_size_x
      - .offset:         54
        .size:           2
        .value_kind:     hidden_group_size_y
      - .offset:         56
        .size:           2
        .value_kind:     hidden_group_size_z
      - .offset:         58
        .size:           2
        .value_kind:     hidden_remainder_x
      - .offset:         60
        .size:           2
        .value_kind:     hidden_remainder_y
      - .offset:         62
        .size:           2
        .value_kind:     hidden_remainder_z
      - .offset:         80
        .size:           8
        .value_kind:     hidden_global_offset_x
      - .offset:         88
        .size:           8
        .value_kind:     hidden_global_offset_y
      - .offset:         96
        .size:           8
        .value_kind:     hidden_global_offset_z
      - .offset:         104
        .size:           2
        .value_kind:     hidden_grid_dims
    .group_segment_fixed_size: 0
    .kernarg_segment_align: 8
    .kernarg_segment_size: 296
    .language:       OpenCL C
    .language_version:
      - 2
      - 0
    .max_flat_workgroup_size: 1024
    .name:           _Z14rdwdot7_kernelIfEvPKT_S2_PS0_S0_S2_
    .private_segment_fixed_size: 0
    .sgpr_count:     16
    .sgpr_spill_count: 0
    .symbol:         _Z14rdwdot7_kernelIfEvPKT_S2_PS0_S0_S2_.kd
    .uniform_work_group_size: 1
    .uses_dynamic_stack: false
    .vgpr_count:     22
    .vgpr_spill_count: 0
    .wavefront_size: 32
    .workgroup_processor_mode: 1
  - .args:
      - .actual_access:  read_only
        .address_space:  global
        .offset:         0
        .size:           8
        .value_kind:     global_buffer
      - .actual_access:  read_only
        .address_space:  global
        .offset:         8
        .size:           8
        .value_kind:     global_buffer
      - .actual_access:  write_only
        .address_space:  global
        .offset:         16
        .size:           8
        .value_kind:     global_buffer
      - .offset:         24
        .size:           4
        .value_kind:     by_value
      - .actual_access:  read_only
        .address_space:  global
        .offset:         32
        .size:           8
        .value_kind:     global_buffer
      - .offset:         40
        .size:           4
        .value_kind:     hidden_block_count_x
      - .offset:         44
        .size:           4
        .value_kind:     hidden_block_count_y
      - .offset:         48
        .size:           4
        .value_kind:     hidden_block_count_z
      - .offset:         52
        .size:           2
        .value_kind:     hidden_group_size_x
      - .offset:         54
        .size:           2
        .value_kind:     hidden_group_size_y
      - .offset:         56
        .size:           2
        .value_kind:     hidden_group_size_z
      - .offset:         58
        .size:           2
        .value_kind:     hidden_remainder_x
      - .offset:         60
        .size:           2
        .value_kind:     hidden_remainder_y
      - .offset:         62
        .size:           2
        .value_kind:     hidden_remainder_z
      - .offset:         80
        .size:           8
        .value_kind:     hidden_global_offset_x
      - .offset:         88
        .size:           8
        .value_kind:     hidden_global_offset_y
      - .offset:         96
        .size:           8
        .value_kind:     hidden_global_offset_z
      - .offset:         104
        .size:           2
        .value_kind:     hidden_grid_dims
    .group_segment_fixed_size: 0
    .kernarg_segment_align: 8
    .kernarg_segment_size: 296
    .language:       OpenCL C
    .language_version:
      - 2
      - 0
    .max_flat_workgroup_size: 1024
    .name:           _Z14rdwdot8_kernelIfEvPKT_S2_PS0_S0_S2_
    .private_segment_fixed_size: 0
    .sgpr_count:     15
    .sgpr_spill_count: 0
    .symbol:         _Z14rdwdot8_kernelIfEvPKT_S2_PS0_S0_S2_.kd
    .uniform_work_group_size: 1
    .uses_dynamic_stack: false
    .vgpr_count:     18
    .vgpr_spill_count: 0
    .wavefront_size: 32
    .workgroup_processor_mode: 1
  - .args:
      - .actual_access:  read_only
        .address_space:  global
        .offset:         0
        .size:           8
        .value_kind:     global_buffer
      - .actual_access:  read_only
        .address_space:  global
        .offset:         8
        .size:           8
        .value_kind:     global_buffer
      - .actual_access:  write_only
        .address_space:  global
        .offset:         16
        .size:           8
        .value_kind:     global_buffer
      - .offset:         24
        .size:           4
        .value_kind:     by_value
      - .actual_access:  read_only
        .address_space:  global
        .offset:         32
        .size:           8
        .value_kind:     global_buffer
      - .offset:         40
        .size:           4
        .value_kind:     hidden_block_count_x
      - .offset:         44
        .size:           4
        .value_kind:     hidden_block_count_y
      - .offset:         48
        .size:           4
        .value_kind:     hidden_block_count_z
      - .offset:         52
        .size:           2
        .value_kind:     hidden_group_size_x
      - .offset:         54
        .size:           2
        .value_kind:     hidden_group_size_y
      - .offset:         56
        .size:           2
        .value_kind:     hidden_group_size_z
      - .offset:         58
        .size:           2
        .value_kind:     hidden_remainder_x
      - .offset:         60
        .size:           2
        .value_kind:     hidden_remainder_y
      - .offset:         62
        .size:           2
        .value_kind:     hidden_remainder_z
      - .offset:         80
        .size:           8
        .value_kind:     hidden_global_offset_x
      - .offset:         88
        .size:           8
        .value_kind:     hidden_global_offset_y
      - .offset:         96
        .size:           8
        .value_kind:     hidden_global_offset_z
      - .offset:         104
        .size:           2
        .value_kind:     hidden_grid_dims
    .group_segment_fixed_size: 0
    .kernarg_segment_align: 8
    .kernarg_segment_size: 296
    .language:       OpenCL C
    .language_version:
      - 2
      - 0
    .max_flat_workgroup_size: 1024
    .name:           _Z14rdwdot9_kernelIfEvPKT_S2_PS0_S0_S2_
    .private_segment_fixed_size: 0
    .sgpr_count:     18
    .sgpr_spill_count: 0
    .symbol:         _Z14rdwdot9_kernelIfEvPKT_S2_PS0_S0_S2_.kd
    .uniform_work_group_size: 1
    .uses_dynamic_stack: false
    .vgpr_count:     8
    .vgpr_spill_count: 0
    .wavefront_size: 32
    .workgroup_processor_mode: 1
  - .args:
      - .actual_access:  read_only
        .address_space:  global
        .offset:         0
        .size:           8
        .value_kind:     global_buffer
      - .actual_access:  read_only
        .address_space:  global
        .offset:         8
        .size:           8
        .value_kind:     global_buffer
      - .actual_access:  write_only
        .address_space:  global
        .offset:         16
        .size:           8
        .value_kind:     global_buffer
      - .offset:         24
        .size:           4
        .value_kind:     by_value
      - .actual_access:  read_only
        .address_space:  global
        .offset:         32
        .size:           8
        .value_kind:     global_buffer
      - .offset:         40
        .size:           4
        .value_kind:     hidden_block_count_x
      - .offset:         44
        .size:           4
        .value_kind:     hidden_block_count_y
      - .offset:         48
        .size:           4
        .value_kind:     hidden_block_count_z
      - .offset:         52
        .size:           2
        .value_kind:     hidden_group_size_x
      - .offset:         54
        .size:           2
        .value_kind:     hidden_group_size_y
      - .offset:         56
        .size:           2
        .value_kind:     hidden_group_size_z
      - .offset:         58
        .size:           2
        .value_kind:     hidden_remainder_x
      - .offset:         60
        .size:           2
        .value_kind:     hidden_remainder_y
      - .offset:         62
        .size:           2
        .value_kind:     hidden_remainder_z
      - .offset:         80
        .size:           8
        .value_kind:     hidden_global_offset_x
      - .offset:         88
        .size:           8
        .value_kind:     hidden_global_offset_y
      - .offset:         96
        .size:           8
        .value_kind:     hidden_global_offset_z
      - .offset:         104
        .size:           2
        .value_kind:     hidden_grid_dims
    .group_segment_fixed_size: 0
    .kernarg_segment_align: 8
    .kernarg_segment_size: 296
    .language:       OpenCL C
    .language_version:
      - 2
      - 0
    .max_flat_workgroup_size: 1024
    .name:           _Z15rdwdot10_kernelIfEvPKT_S2_PS0_S0_S2_
    .private_segment_fixed_size: 0
    .sgpr_count:     26
    .sgpr_spill_count: 0
    .symbol:         _Z15rdwdot10_kernelIfEvPKT_S2_PS0_S0_S2_.kd
    .uniform_work_group_size: 1
    .uses_dynamic_stack: false
    .vgpr_count:     48
    .vgpr_spill_count: 0
    .wavefront_size: 32
    .workgroup_processor_mode: 1
  - .args:
      - .actual_access:  read_only
        .address_space:  global
        .offset:         0
        .size:           8
        .value_kind:     global_buffer
      - .actual_access:  write_only
        .address_space:  global
        .offset:         8
        .size:           8
        .value_kind:     global_buffer
      - .offset:         16
        .size:           8
        .value_kind:     by_value
      - .offset:         24
        .size:           4
        .value_kind:     hidden_block_count_x
      - .offset:         28
        .size:           4
        .value_kind:     hidden_block_count_y
      - .offset:         32
        .size:           4
        .value_kind:     hidden_block_count_z
      - .offset:         36
        .size:           2
        .value_kind:     hidden_group_size_x
      - .offset:         38
        .size:           2
        .value_kind:     hidden_group_size_y
      - .offset:         40
        .size:           2
        .value_kind:     hidden_group_size_z
      - .offset:         42
        .size:           2
        .value_kind:     hidden_remainder_x
      - .offset:         44
        .size:           2
        .value_kind:     hidden_remainder_y
      - .offset:         46
        .size:           2
        .value_kind:     hidden_remainder_z
      - .offset:         64
        .size:           8
        .value_kind:     hidden_global_offset_x
      - .offset:         72
        .size:           8
        .value_kind:     hidden_global_offset_y
      - .offset:         80
        .size:           8
        .value_kind:     hidden_global_offset_z
      - .offset:         88
        .size:           2
        .value_kind:     hidden_grid_dims
    .group_segment_fixed_size: 0
    .kernarg_segment_align: 8
    .kernarg_segment_size: 280
    .language:       OpenCL C
    .language_version:
      - 2
      - 0
    .max_flat_workgroup_size: 1024
    .name:           _Z11ratt_kernelIdEvPKT_PS0_S0_
    .private_segment_fixed_size: 0
    .sgpr_count:     84
    .sgpr_spill_count: 0
    .symbol:         _Z11ratt_kernelIdEvPKT_PS0_S0_.kd
    .uniform_work_group_size: 1
    .uses_dynamic_stack: false
    .vgpr_count:     66
    .vgpr_spill_count: 0
    .wavefront_size: 32
    .workgroup_processor_mode: 1
  - .args:
      - .actual_access:  read_only
        .address_space:  global
        .offset:         0
        .size:           8
        .value_kind:     global_buffer
      - .actual_access:  write_only
        .address_space:  global
        .offset:         8
        .size:           8
        .value_kind:     global_buffer
      - .offset:         16
        .size:           8
        .value_kind:     by_value
      - .offset:         24
        .size:           4
        .value_kind:     hidden_block_count_x
      - .offset:         28
        .size:           4
        .value_kind:     hidden_block_count_y
      - .offset:         32
        .size:           4
        .value_kind:     hidden_block_count_z
      - .offset:         36
        .size:           2
        .value_kind:     hidden_group_size_x
      - .offset:         38
        .size:           2
        .value_kind:     hidden_group_size_y
      - .offset:         40
        .size:           2
        .value_kind:     hidden_group_size_z
      - .offset:         42
        .size:           2
        .value_kind:     hidden_remainder_x
      - .offset:         44
        .size:           2
        .value_kind:     hidden_remainder_y
      - .offset:         46
        .size:           2
        .value_kind:     hidden_remainder_z
      - .offset:         64
        .size:           8
        .value_kind:     hidden_global_offset_x
      - .offset:         72
        .size:           8
        .value_kind:     hidden_global_offset_y
      - .offset:         80
        .size:           8
        .value_kind:     hidden_global_offset_z
      - .offset:         88
        .size:           2
        .value_kind:     hidden_grid_dims
    .group_segment_fixed_size: 0
    .kernarg_segment_align: 8
    .kernarg_segment_size: 280
    .language:       OpenCL C
    .language_version:
      - 2
      - 0
    .max_flat_workgroup_size: 1024
    .name:           _Z12rdsmh_kernelIdEvPKT_PS0_S0_
    .private_segment_fixed_size: 0
    .sgpr_count:     66
    .sgpr_spill_count: 0
    .symbol:         _Z12rdsmh_kernelIdEvPKT_PS0_S0_.kd
    .uniform_work_group_size: 1
    .uses_dynamic_stack: false
    .vgpr_count:     67
    .vgpr_spill_count: 0
    .wavefront_size: 32
    .workgroup_processor_mode: 1
  - .args:
      - .address_space:  global
        .offset:         0
        .size:           8
        .value_kind:     global_buffer
      - .address_space:  global
        .offset:         8
        .size:           8
        .value_kind:     global_buffer
      - .address_space:  global
        .offset:         16
        .size:           8
        .value_kind:     global_buffer
      - .address_space:  global
        .offset:         24
        .size:           8
        .value_kind:     global_buffer
      - .offset:         32
        .size:           8
        .value_kind:     by_value
      - .offset:         40
        .size:           8
        .value_kind:     by_value
      - .offset:         48
        .size:           4
        .value_kind:     hidden_block_count_x
      - .offset:         52
        .size:           4
        .value_kind:     hidden_block_count_y
      - .offset:         56
        .size:           4
        .value_kind:     hidden_block_count_z
      - .offset:         60
        .size:           2
        .value_kind:     hidden_group_size_x
      - .offset:         62
        .size:           2
        .value_kind:     hidden_group_size_y
      - .offset:         64
        .size:           2
        .value_kind:     hidden_group_size_z
      - .offset:         66
        .size:           2
        .value_kind:     hidden_remainder_x
      - .offset:         68
        .size:           2
        .value_kind:     hidden_remainder_y
      - .offset:         70
        .size:           2
        .value_kind:     hidden_remainder_z
      - .offset:         88
        .size:           8
        .value_kind:     hidden_global_offset_x
      - .offset:         96
        .size:           8
        .value_kind:     hidden_global_offset_y
      - .offset:         104
        .size:           8
        .value_kind:     hidden_global_offset_z
      - .offset:         112
        .size:           2
        .value_kind:     hidden_grid_dims
    .group_segment_fixed_size: 0
    .kernarg_segment_align: 8
    .kernarg_segment_size: 304
    .language:       OpenCL C
    .language_version:
      - 2
      - 0
    .max_flat_workgroup_size: 1024
    .name:           _Z7gr_baseIdEvPKT_S2_S2_PS0_S0_S0_
    .private_segment_fixed_size: 0
    .sgpr_count:     50
    .sgpr_spill_count: 0
    .symbol:         _Z7gr_baseIdEvPKT_S2_S2_PS0_S0_S0_.kd
    .uniform_work_group_size: 1
    .uses_dynamic_stack: false
    .vgpr_count:     76
    .vgpr_spill_count: 0
    .wavefront_size: 32
    .workgroup_processor_mode: 1
  - .args:
      - .actual_access:  read_only
        .address_space:  global
        .offset:         0
        .size:           8
        .value_kind:     global_buffer
      - .actual_access:  read_only
        .address_space:  global
        .offset:         8
        .size:           8
        .value_kind:     global_buffer
      - .actual_access:  write_only
        .address_space:  global
        .offset:         16
        .size:           8
        .value_kind:     global_buffer
      - .actual_access:  read_only
        .address_space:  global
        .offset:         24
        .size:           8
        .value_kind:     global_buffer
      - .offset:         32
        .size:           8
        .value_kind:     by_value
      - .offset:         40
        .size:           4
        .value_kind:     hidden_block_count_x
      - .offset:         44
        .size:           4
        .value_kind:     hidden_block_count_y
      - .offset:         48
        .size:           4
        .value_kind:     hidden_block_count_z
      - .offset:         52
        .size:           2
        .value_kind:     hidden_group_size_x
      - .offset:         54
        .size:           2
        .value_kind:     hidden_group_size_y
      - .offset:         56
        .size:           2
        .value_kind:     hidden_group_size_z
      - .offset:         58
        .size:           2
        .value_kind:     hidden_remainder_x
      - .offset:         60
        .size:           2
        .value_kind:     hidden_remainder_y
      - .offset:         62
        .size:           2
        .value_kind:     hidden_remainder_z
      - .offset:         80
        .size:           8
        .value_kind:     hidden_global_offset_x
      - .offset:         88
        .size:           8
        .value_kind:     hidden_global_offset_y
      - .offset:         96
        .size:           8
        .value_kind:     hidden_global_offset_z
      - .offset:         104
        .size:           2
        .value_kind:     hidden_grid_dims
    .group_segment_fixed_size: 0
    .kernarg_segment_align: 8
    .kernarg_segment_size: 296
    .language:       OpenCL C
    .language_version:
      - 2
      - 0
    .max_flat_workgroup_size: 1024
    .name:           _Z12ratt2_kernelIdEvPKT_S2_PS0_S2_S0_
    .private_segment_fixed_size: 0
    .sgpr_count:     18
    .sgpr_spill_count: 0
    .symbol:         _Z12ratt2_kernelIdEvPKT_S2_PS0_S2_S0_.kd
    .uniform_work_group_size: 1
    .uses_dynamic_stack: false
    .vgpr_count:     52
    .vgpr_spill_count: 0
    .wavefront_size: 32
    .workgroup_processor_mode: 1
  - .args:
      - .actual_access:  read_only
        .address_space:  global
        .offset:         0
        .size:           8
        .value_kind:     global_buffer
      - .actual_access:  read_only
        .address_space:  global
        .offset:         8
        .size:           8
        .value_kind:     global_buffer
      - .actual_access:  write_only
        .address_space:  global
        .offset:         16
        .size:           8
        .value_kind:     global_buffer
      - .actual_access:  read_only
        .address_space:  global
        .offset:         24
        .size:           8
        .value_kind:     global_buffer
      - .offset:         32
        .size:           8
        .value_kind:     by_value
      - .offset:         40
        .size:           4
        .value_kind:     hidden_block_count_x
      - .offset:         44
        .size:           4
        .value_kind:     hidden_block_count_y
      - .offset:         48
        .size:           4
        .value_kind:     hidden_block_count_z
      - .offset:         52
        .size:           2
        .value_kind:     hidden_group_size_x
      - .offset:         54
        .size:           2
        .value_kind:     hidden_group_size_y
      - .offset:         56
        .size:           2
        .value_kind:     hidden_group_size_z
      - .offset:         58
        .size:           2
        .value_kind:     hidden_remainder_x
      - .offset:         60
        .size:           2
        .value_kind:     hidden_remainder_y
      - .offset:         62
        .size:           2
        .value_kind:     hidden_remainder_z
      - .offset:         80
        .size:           8
        .value_kind:     hidden_global_offset_x
      - .offset:         88
        .size:           8
        .value_kind:     hidden_global_offset_y
      - .offset:         96
        .size:           8
        .value_kind:     hidden_global_offset_z
      - .offset:         104
        .size:           2
        .value_kind:     hidden_grid_dims
    .group_segment_fixed_size: 0
    .kernarg_segment_align: 8
    .kernarg_segment_size: 296
    .language:       OpenCL C
    .language_version:
      - 2
      - 0
    .max_flat_workgroup_size: 1024
    .name:           _Z12ratt3_kernelIdEvPKT_S2_PS0_S2_S0_
    .private_segment_fixed_size: 0
    .sgpr_count:     18
    .sgpr_spill_count: 0
    .symbol:         _Z12ratt3_kernelIdEvPKT_S2_PS0_S2_S0_.kd
    .uniform_work_group_size: 1
    .uses_dynamic_stack: false
    .vgpr_count:     64
    .vgpr_spill_count: 0
    .wavefront_size: 32
    .workgroup_processor_mode: 1
  - .args:
      - .actual_access:  read_only
        .address_space:  global
        .offset:         0
        .size:           8
        .value_kind:     global_buffer
      - .actual_access:  read_only
        .address_space:  global
        .offset:         8
        .size:           8
        .value_kind:     global_buffer
      - .actual_access:  write_only
        .address_space:  global
        .offset:         16
        .size:           8
        .value_kind:     global_buffer
      - .actual_access:  read_only
        .address_space:  global
        .offset:         24
        .size:           8
        .value_kind:     global_buffer
      - .offset:         32
        .size:           8
        .value_kind:     by_value
      - .offset:         40
        .size:           4
        .value_kind:     hidden_block_count_x
      - .offset:         44
        .size:           4
        .value_kind:     hidden_block_count_y
      - .offset:         48
        .size:           4
        .value_kind:     hidden_block_count_z
      - .offset:         52
        .size:           2
        .value_kind:     hidden_group_size_x
      - .offset:         54
        .size:           2
        .value_kind:     hidden_group_size_y
      - .offset:         56
        .size:           2
        .value_kind:     hidden_group_size_z
      - .offset:         58
        .size:           2
        .value_kind:     hidden_remainder_x
      - .offset:         60
        .size:           2
        .value_kind:     hidden_remainder_y
      - .offset:         62
        .size:           2
        .value_kind:     hidden_remainder_z
      - .offset:         80
        .size:           8
        .value_kind:     hidden_global_offset_x
      - .offset:         88
        .size:           8
        .value_kind:     hidden_global_offset_y
      - .offset:         96
        .size:           8
        .value_kind:     hidden_global_offset_z
      - .offset:         104
        .size:           2
        .value_kind:     hidden_grid_dims
    .group_segment_fixed_size: 0
    .kernarg_segment_align: 8
    .kernarg_segment_size: 296
    .language:       OpenCL C
    .language_version:
      - 2
      - 0
    .max_flat_workgroup_size: 1024
    .name:           _Z12ratt4_kernelIdEvPKT_S2_PS0_S2_S0_
    .private_segment_fixed_size: 0
    .sgpr_count:     18
    .sgpr_spill_count: 0
    .symbol:         _Z12ratt4_kernelIdEvPKT_S2_PS0_S2_S0_.kd
    .uniform_work_group_size: 1
    .uses_dynamic_stack: false
    .vgpr_count:     63
    .vgpr_spill_count: 0
    .wavefront_size: 32
    .workgroup_processor_mode: 1
  - .args:
      - .actual_access:  read_only
        .address_space:  global
        .offset:         0
        .size:           8
        .value_kind:     global_buffer
      - .actual_access:  read_only
        .address_space:  global
        .offset:         8
        .size:           8
        .value_kind:     global_buffer
      - .actual_access:  write_only
        .address_space:  global
        .offset:         16
        .size:           8
        .value_kind:     global_buffer
      - .actual_access:  read_only
        .address_space:  global
        .offset:         24
        .size:           8
        .value_kind:     global_buffer
      - .offset:         32
        .size:           8
        .value_kind:     by_value
      - .offset:         40
        .size:           4
        .value_kind:     hidden_block_count_x
      - .offset:         44
        .size:           4
        .value_kind:     hidden_block_count_y
      - .offset:         48
        .size:           4
        .value_kind:     hidden_block_count_z
      - .offset:         52
        .size:           2
        .value_kind:     hidden_group_size_x
      - .offset:         54
        .size:           2
        .value_kind:     hidden_group_size_y
      - .offset:         56
        .size:           2
        .value_kind:     hidden_group_size_z
      - .offset:         58
        .size:           2
        .value_kind:     hidden_remainder_x
      - .offset:         60
        .size:           2
        .value_kind:     hidden_remainder_y
      - .offset:         62
        .size:           2
        .value_kind:     hidden_remainder_z
      - .offset:         80
        .size:           8
        .value_kind:     hidden_global_offset_x
      - .offset:         88
        .size:           8
        .value_kind:     hidden_global_offset_y
      - .offset:         96
        .size:           8
        .value_kind:     hidden_global_offset_z
      - .offset:         104
        .size:           2
        .value_kind:     hidden_grid_dims
    .group_segment_fixed_size: 0
    .kernarg_segment_align: 8
    .kernarg_segment_size: 296
    .language:       OpenCL C
    .language_version:
      - 2
      - 0
    .max_flat_workgroup_size: 1024
    .name:           _Z12ratt5_kernelIdEvPKT_S2_PS0_S2_S0_
    .private_segment_fixed_size: 0
    .sgpr_count:     18
    .sgpr_spill_count: 0
    .symbol:         _Z12ratt5_kernelIdEvPKT_S2_PS0_S2_S0_.kd
    .uniform_work_group_size: 1
    .uses_dynamic_stack: false
    .vgpr_count:     61
    .vgpr_spill_count: 0
    .wavefront_size: 32
    .workgroup_processor_mode: 1
  - .args:
      - .actual_access:  read_only
        .address_space:  global
        .offset:         0
        .size:           8
        .value_kind:     global_buffer
      - .actual_access:  read_only
        .address_space:  global
        .offset:         8
        .size:           8
        .value_kind:     global_buffer
      - .actual_access:  write_only
        .address_space:  global
        .offset:         16
        .size:           8
        .value_kind:     global_buffer
      - .actual_access:  read_only
        .address_space:  global
        .offset:         24
        .size:           8
        .value_kind:     global_buffer
      - .offset:         32
        .size:           8
        .value_kind:     by_value
      - .offset:         40
        .size:           4
        .value_kind:     hidden_block_count_x
      - .offset:         44
        .size:           4
        .value_kind:     hidden_block_count_y
      - .offset:         48
        .size:           4
        .value_kind:     hidden_block_count_z
      - .offset:         52
        .size:           2
        .value_kind:     hidden_group_size_x
      - .offset:         54
        .size:           2
        .value_kind:     hidden_group_size_y
      - .offset:         56
        .size:           2
        .value_kind:     hidden_group_size_z
      - .offset:         58
        .size:           2
        .value_kind:     hidden_remainder_x
      - .offset:         60
        .size:           2
        .value_kind:     hidden_remainder_y
      - .offset:         62
        .size:           2
        .value_kind:     hidden_remainder_z
      - .offset:         80
        .size:           8
        .value_kind:     hidden_global_offset_x
      - .offset:         88
        .size:           8
        .value_kind:     hidden_global_offset_y
      - .offset:         96
        .size:           8
        .value_kind:     hidden_global_offset_z
      - .offset:         104
        .size:           2
        .value_kind:     hidden_grid_dims
    .group_segment_fixed_size: 0
    .kernarg_segment_align: 8
    .kernarg_segment_size: 296
    .language:       OpenCL C
    .language_version:
      - 2
      - 0
    .max_flat_workgroup_size: 1024
    .name:           _Z12ratt6_kernelIdEvPKT_S2_PS0_S2_S0_
    .private_segment_fixed_size: 0
    .sgpr_count:     18
    .sgpr_spill_count: 0
    .symbol:         _Z12ratt6_kernelIdEvPKT_S2_PS0_S2_S0_.kd
    .uniform_work_group_size: 1
    .uses_dynamic_stack: false
    .vgpr_count:     48
    .vgpr_spill_count: 0
    .wavefront_size: 32
    .workgroup_processor_mode: 1
  - .args:
      - .actual_access:  read_only
        .address_space:  global
        .offset:         0
        .size:           8
        .value_kind:     global_buffer
      - .actual_access:  read_only
        .address_space:  global
        .offset:         8
        .size:           8
        .value_kind:     global_buffer
      - .actual_access:  write_only
        .address_space:  global
        .offset:         16
        .size:           8
        .value_kind:     global_buffer
      - .actual_access:  read_only
        .address_space:  global
        .offset:         24
        .size:           8
        .value_kind:     global_buffer
      - .offset:         32
        .size:           8
        .value_kind:     by_value
      - .offset:         40
        .size:           4
        .value_kind:     hidden_block_count_x
      - .offset:         44
        .size:           4
        .value_kind:     hidden_block_count_y
      - .offset:         48
        .size:           4
        .value_kind:     hidden_block_count_z
      - .offset:         52
        .size:           2
        .value_kind:     hidden_group_size_x
      - .offset:         54
        .size:           2
        .value_kind:     hidden_group_size_y
      - .offset:         56
        .size:           2
        .value_kind:     hidden_group_size_z
      - .offset:         58
        .size:           2
        .value_kind:     hidden_remainder_x
      - .offset:         60
        .size:           2
        .value_kind:     hidden_remainder_y
      - .offset:         62
        .size:           2
        .value_kind:     hidden_remainder_z
      - .offset:         80
        .size:           8
        .value_kind:     hidden_global_offset_x
      - .offset:         88
        .size:           8
        .value_kind:     hidden_global_offset_y
      - .offset:         96
        .size:           8
        .value_kind:     hidden_global_offset_z
      - .offset:         104
        .size:           2
        .value_kind:     hidden_grid_dims
    .group_segment_fixed_size: 0
    .kernarg_segment_align: 8
    .kernarg_segment_size: 296
    .language:       OpenCL C
    .language_version:
      - 2
      - 0
    .max_flat_workgroup_size: 1024
    .name:           _Z12ratt7_kernelIdEvPKT_S2_PS0_S2_S0_
    .private_segment_fixed_size: 0
    .sgpr_count:     18
    .sgpr_spill_count: 0
    .symbol:         _Z12ratt7_kernelIdEvPKT_S2_PS0_S2_S0_.kd
    .uniform_work_group_size: 1
    .uses_dynamic_stack: false
    .vgpr_count:     52
    .vgpr_spill_count: 0
    .wavefront_size: 32
    .workgroup_processor_mode: 1
  - .args:
      - .actual_access:  read_only
        .address_space:  global
        .offset:         0
        .size:           8
        .value_kind:     global_buffer
      - .actual_access:  read_only
        .address_space:  global
        .offset:         8
        .size:           8
        .value_kind:     global_buffer
      - .actual_access:  write_only
        .address_space:  global
        .offset:         16
        .size:           8
        .value_kind:     global_buffer
      - .actual_access:  read_only
        .address_space:  global
        .offset:         24
        .size:           8
        .value_kind:     global_buffer
      - .offset:         32
        .size:           8
        .value_kind:     by_value
      - .offset:         40
        .size:           4
        .value_kind:     hidden_block_count_x
      - .offset:         44
        .size:           4
        .value_kind:     hidden_block_count_y
      - .offset:         48
        .size:           4
        .value_kind:     hidden_block_count_z
      - .offset:         52
        .size:           2
        .value_kind:     hidden_group_size_x
      - .offset:         54
        .size:           2
        .value_kind:     hidden_group_size_y
      - .offset:         56
        .size:           2
        .value_kind:     hidden_group_size_z
      - .offset:         58
        .size:           2
        .value_kind:     hidden_remainder_x
      - .offset:         60
        .size:           2
        .value_kind:     hidden_remainder_y
      - .offset:         62
        .size:           2
        .value_kind:     hidden_remainder_z
      - .offset:         80
        .size:           8
        .value_kind:     hidden_global_offset_x
      - .offset:         88
        .size:           8
        .value_kind:     hidden_global_offset_y
      - .offset:         96
        .size:           8
        .value_kind:     hidden_global_offset_z
      - .offset:         104
        .size:           2
        .value_kind:     hidden_grid_dims
    .group_segment_fixed_size: 0
    .kernarg_segment_align: 8
    .kernarg_segment_size: 296
    .language:       OpenCL C
    .language_version:
      - 2
      - 0
    .max_flat_workgroup_size: 1024
    .name:           _Z12ratt8_kernelIdEvPKT_S2_PS0_S2_S0_
    .private_segment_fixed_size: 0
    .sgpr_count:     18
    .sgpr_spill_count: 0
    .symbol:         _Z12ratt8_kernelIdEvPKT_S2_PS0_S2_S0_.kd
    .uniform_work_group_size: 1
    .uses_dynamic_stack: false
    .vgpr_count:     61
    .vgpr_spill_count: 0
    .wavefront_size: 32
    .workgroup_processor_mode: 1
  - .args:
      - .actual_access:  read_only
        .address_space:  global
        .offset:         0
        .size:           8
        .value_kind:     global_buffer
      - .actual_access:  read_only
        .address_space:  global
        .offset:         8
        .size:           8
        .value_kind:     global_buffer
      - .actual_access:  write_only
        .address_space:  global
        .offset:         16
        .size:           8
        .value_kind:     global_buffer
      - .actual_access:  read_only
        .address_space:  global
        .offset:         24
        .size:           8
        .value_kind:     global_buffer
      - .offset:         32
        .size:           8
        .value_kind:     by_value
      - .offset:         40
        .size:           4
        .value_kind:     hidden_block_count_x
      - .offset:         44
        .size:           4
        .value_kind:     hidden_block_count_y
      - .offset:         48
        .size:           4
        .value_kind:     hidden_block_count_z
      - .offset:         52
        .size:           2
        .value_kind:     hidden_group_size_x
      - .offset:         54
        .size:           2
        .value_kind:     hidden_group_size_y
      - .offset:         56
        .size:           2
        .value_kind:     hidden_group_size_z
      - .offset:         58
        .size:           2
        .value_kind:     hidden_remainder_x
      - .offset:         60
        .size:           2
        .value_kind:     hidden_remainder_y
      - .offset:         62
        .size:           2
        .value_kind:     hidden_remainder_z
      - .offset:         80
        .size:           8
        .value_kind:     hidden_global_offset_x
      - .offset:         88
        .size:           8
        .value_kind:     hidden_global_offset_y
      - .offset:         96
        .size:           8
        .value_kind:     hidden_global_offset_z
      - .offset:         104
        .size:           2
        .value_kind:     hidden_grid_dims
    .group_segment_fixed_size: 0
    .kernarg_segment_align: 8
    .kernarg_segment_size: 296
    .language:       OpenCL C
    .language_version:
      - 2
      - 0
    .max_flat_workgroup_size: 1024
    .name:           _Z12ratt9_kernelIdEvPKT_S2_PS0_S2_S0_
    .private_segment_fixed_size: 0
    .sgpr_count:     18
    .sgpr_spill_count: 0
    .symbol:         _Z12ratt9_kernelIdEvPKT_S2_PS0_S2_S0_.kd
    .uniform_work_group_size: 1
    .uses_dynamic_stack: false
    .vgpr_count:     66
    .vgpr_spill_count: 0
    .wavefront_size: 32
    .workgroup_processor_mode: 1
  - .args:
      - .actual_access:  read_only
        .address_space:  global
        .offset:         0
        .size:           8
        .value_kind:     global_buffer
      - .actual_access:  write_only
        .address_space:  global
        .offset:         8
        .size:           8
        .value_kind:     global_buffer
      - .offset:         16
        .size:           8
        .value_kind:     by_value
      - .offset:         24
        .size:           4
        .value_kind:     hidden_block_count_x
      - .offset:         28
        .size:           4
        .value_kind:     hidden_block_count_y
      - .offset:         32
        .size:           4
        .value_kind:     hidden_block_count_z
      - .offset:         36
        .size:           2
        .value_kind:     hidden_group_size_x
      - .offset:         38
        .size:           2
        .value_kind:     hidden_group_size_y
      - .offset:         40
        .size:           2
        .value_kind:     hidden_group_size_z
      - .offset:         42
        .size:           2
        .value_kind:     hidden_remainder_x
      - .offset:         44
        .size:           2
        .value_kind:     hidden_remainder_y
      - .offset:         46
        .size:           2
        .value_kind:     hidden_remainder_z
      - .offset:         64
        .size:           8
        .value_kind:     hidden_global_offset_x
      - .offset:         72
        .size:           8
        .value_kind:     hidden_global_offset_y
      - .offset:         80
        .size:           8
        .value_kind:     hidden_global_offset_z
      - .offset:         88
        .size:           2
        .value_kind:     hidden_grid_dims
    .group_segment_fixed_size: 0
    .kernarg_segment_align: 8
    .kernarg_segment_size: 280
    .language:       OpenCL C
    .language_version:
      - 2
      - 0
    .max_flat_workgroup_size: 1024
    .name:           _Z13ratt10_kernelIdEvPKT_PS0_S0_
    .private_segment_fixed_size: 0
    .sgpr_count:     44
    .sgpr_spill_count: 0
    .symbol:         _Z13ratt10_kernelIdEvPKT_PS0_S0_.kd
    .uniform_work_group_size: 1
    .uses_dynamic_stack: false
    .vgpr_count:     21
    .vgpr_spill_count: 0
    .wavefront_size: 32
    .workgroup_processor_mode: 1
  - .args:
      - .actual_access:  read_only
        .address_space:  global
        .offset:         0
        .size:           8
        .value_kind:     global_buffer
      - .actual_access:  read_only
        .address_space:  global
        .offset:         8
        .size:           8
        .value_kind:     global_buffer
      - .address_space:  global
        .offset:         16
        .size:           8
        .value_kind:     global_buffer
      - .address_space:  global
        .offset:         24
        .size:           8
        .value_kind:     global_buffer
      - .actual_access:  read_only
        .address_space:  global
        .offset:         32
        .size:           8
        .value_kind:     global_buffer
      - .offset:         40
        .size:           8
        .value_kind:     by_value
      - .offset:         48
        .size:           4
        .value_kind:     hidden_block_count_x
      - .offset:         52
        .size:           4
        .value_kind:     hidden_block_count_y
      - .offset:         56
        .size:           4
        .value_kind:     hidden_block_count_z
      - .offset:         60
        .size:           2
        .value_kind:     hidden_group_size_x
      - .offset:         62
        .size:           2
        .value_kind:     hidden_group_size_y
      - .offset:         64
        .size:           2
        .value_kind:     hidden_group_size_z
      - .offset:         66
        .size:           2
        .value_kind:     hidden_remainder_x
      - .offset:         68
        .size:           2
        .value_kind:     hidden_remainder_y
      - .offset:         70
        .size:           2
        .value_kind:     hidden_remainder_z
      - .offset:         88
        .size:           8
        .value_kind:     hidden_global_offset_x
      - .offset:         96
        .size:           8
        .value_kind:     hidden_global_offset_y
      - .offset:         104
        .size:           8
        .value_kind:     hidden_global_offset_z
      - .offset:         112
        .size:           2
        .value_kind:     hidden_grid_dims
    .group_segment_fixed_size: 0
    .kernarg_segment_align: 8
    .kernarg_segment_size: 304
    .language:       OpenCL C
    .language_version:
      - 2
      - 0
    .max_flat_workgroup_size: 1024
    .name:           _Z11ratx_kernelIdEvPKT_S2_PS0_S3_S2_S0_
    .private_segment_fixed_size: 0
    .sgpr_count:     80
    .sgpr_spill_count: 0
    .symbol:         _Z11ratx_kernelIdEvPKT_S2_PS0_S3_S2_S0_.kd
    .uniform_work_group_size: 1
    .uses_dynamic_stack: false
    .vgpr_count:     55
    .vgpr_spill_count: 0
    .wavefront_size: 32
    .workgroup_processor_mode: 1
  - .args:
      - .actual_access:  read_only
        .address_space:  global
        .offset:         0
        .size:           8
        .value_kind:     global_buffer
      - .actual_access:  read_only
        .address_space:  global
        .offset:         8
        .size:           8
        .value_kind:     global_buffer
      - .address_space:  global
        .offset:         16
        .size:           8
        .value_kind:     global_buffer
      - .address_space:  global
        .offset:         24
        .size:           8
        .value_kind:     global_buffer
      - .actual_access:  read_only
        .address_space:  global
        .offset:         32
        .size:           8
        .value_kind:     global_buffer
      - .offset:         40
        .size:           8
        .value_kind:     by_value
      - .offset:         48
        .size:           4
        .value_kind:     hidden_block_count_x
      - .offset:         52
        .size:           4
        .value_kind:     hidden_block_count_y
      - .offset:         56
        .size:           4
        .value_kind:     hidden_block_count_z
      - .offset:         60
        .size:           2
        .value_kind:     hidden_group_size_x
      - .offset:         62
        .size:           2
        .value_kind:     hidden_group_size_y
      - .offset:         64
        .size:           2
        .value_kind:     hidden_group_size_z
      - .offset:         66
        .size:           2
        .value_kind:     hidden_remainder_x
      - .offset:         68
        .size:           2
        .value_kind:     hidden_remainder_y
      - .offset:         70
        .size:           2
        .value_kind:     hidden_remainder_z
      - .offset:         88
        .size:           8
        .value_kind:     hidden_global_offset_x
      - .offset:         96
        .size:           8
        .value_kind:     hidden_global_offset_y
      - .offset:         104
        .size:           8
        .value_kind:     hidden_global_offset_z
      - .offset:         112
        .size:           2
        .value_kind:     hidden_grid_dims
    .group_segment_fixed_size: 0
    .kernarg_segment_align: 8
    .kernarg_segment_size: 304
    .language:       OpenCL C
    .language_version:
      - 2
      - 0
    .max_flat_workgroup_size: 1024
    .name:           _Z12ratxb_kernelIdEvPKT_S2_PS0_S3_S2_S0_
    .private_segment_fixed_size: 0
    .sgpr_count:     87
    .sgpr_spill_count: 0
    .symbol:         _Z12ratxb_kernelIdEvPKT_S2_PS0_S3_S2_S0_.kd
    .uniform_work_group_size: 1
    .uses_dynamic_stack: false
    .vgpr_count:     72
    .vgpr_spill_count: 0
    .wavefront_size: 32
    .workgroup_processor_mode: 1
  - .args:
      - .actual_access:  read_only
        .address_space:  global
        .offset:         0
        .size:           8
        .value_kind:     global_buffer
      - .address_space:  global
        .offset:         8
        .size:           8
        .value_kind:     global_buffer
      - .actual_access:  read_only
        .address_space:  global
        .offset:         16
        .size:           8
        .value_kind:     global_buffer
      - .offset:         24
        .size:           4
        .value_kind:     hidden_block_count_x
      - .offset:         28
        .size:           4
        .value_kind:     hidden_block_count_y
      - .offset:         32
        .size:           4
        .value_kind:     hidden_block_count_z
      - .offset:         36
        .size:           2
        .value_kind:     hidden_group_size_x
      - .offset:         38
        .size:           2
        .value_kind:     hidden_group_size_y
      - .offset:         40
        .size:           2
        .value_kind:     hidden_group_size_z
      - .offset:         42
        .size:           2
        .value_kind:     hidden_remainder_x
      - .offset:         44
        .size:           2
        .value_kind:     hidden_remainder_y
      - .offset:         46
        .size:           2
        .value_kind:     hidden_remainder_z
      - .offset:         64
        .size:           8
        .value_kind:     hidden_global_offset_x
      - .offset:         72
        .size:           8
        .value_kind:     hidden_global_offset_y
      - .offset:         80
        .size:           8
        .value_kind:     hidden_global_offset_z
      - .offset:         88
        .size:           2
        .value_kind:     hidden_grid_dims
    .group_segment_fixed_size: 0
    .kernarg_segment_align: 8
    .kernarg_segment_size: 280
    .language:       OpenCL C
    .language_version:
      - 2
      - 0
    .max_flat_workgroup_size: 1024
    .name:           _Z12ratx2_kernelIdEvPKT_PS0_S3_
    .private_segment_fixed_size: 0
    .sgpr_count:     11
    .sgpr_spill_count: 0
    .symbol:         _Z12ratx2_kernelIdEvPKT_PS0_S3_.kd
    .uniform_work_group_size: 1
    .uses_dynamic_stack: false
    .vgpr_count:     87
    .vgpr_spill_count: 0
    .wavefront_size: 32
    .workgroup_processor_mode: 1
  - .args:
      - .actual_access:  read_only
        .address_space:  global
        .offset:         0
        .size:           8
        .value_kind:     global_buffer
      - .actual_access:  read_only
        .address_space:  global
        .offset:         8
        .size:           8
        .value_kind:     global_buffer
      - .address_space:  global
        .offset:         16
        .size:           8
        .value_kind:     global_buffer
      - .offset:         24
        .size:           4
        .value_kind:     hidden_block_count_x
      - .offset:         28
        .size:           4
        .value_kind:     hidden_block_count_y
      - .offset:         32
        .size:           4
        .value_kind:     hidden_block_count_z
      - .offset:         36
        .size:           2
        .value_kind:     hidden_group_size_x
      - .offset:         38
        .size:           2
        .value_kind:     hidden_group_size_y
      - .offset:         40
        .size:           2
        .value_kind:     hidden_group_size_z
      - .offset:         42
        .size:           2
        .value_kind:     hidden_remainder_x
      - .offset:         44
        .size:           2
        .value_kind:     hidden_remainder_y
      - .offset:         46
        .size:           2
        .value_kind:     hidden_remainder_z
      - .offset:         64
        .size:           8
        .value_kind:     hidden_global_offset_x
      - .offset:         72
        .size:           8
        .value_kind:     hidden_global_offset_y
      - .offset:         80
        .size:           8
        .value_kind:     hidden_global_offset_z
      - .offset:         88
        .size:           2
        .value_kind:     hidden_grid_dims
    .group_segment_fixed_size: 0
    .kernarg_segment_align: 8
    .kernarg_segment_size: 280
    .language:       OpenCL C
    .language_version:
      - 2
      - 0
    .max_flat_workgroup_size: 1024
    .name:           _Z12ratx4_kernelIdEvPKT_PS0_S3_
    .private_segment_fixed_size: 0
    .sgpr_count:     11
    .sgpr_spill_count: 0
    .symbol:         _Z12ratx4_kernelIdEvPKT_PS0_S3_.kd
    .uniform_work_group_size: 1
    .uses_dynamic_stack: false
    .vgpr_count:     125
    .vgpr_spill_count: 0
    .wavefront_size: 32
    .workgroup_processor_mode: 1
  - .args:
      - .address_space:  global
        .offset:         0
        .size:           8
        .value_kind:     global_buffer
      - .address_space:  global
        .offset:         8
        .size:           8
        .value_kind:     global_buffer
      - .actual_access:  write_only
        .address_space:  global
        .offset:         16
        .size:           8
        .value_kind:     global_buffer
      - .offset:         24
        .size:           4
        .value_kind:     hidden_block_count_x
      - .offset:         28
        .size:           4
        .value_kind:     hidden_block_count_y
      - .offset:         32
        .size:           4
        .value_kind:     hidden_block_count_z
      - .offset:         36
        .size:           2
        .value_kind:     hidden_group_size_x
      - .offset:         38
        .size:           2
        .value_kind:     hidden_group_size_y
      - .offset:         40
        .size:           2
        .value_kind:     hidden_group_size_z
      - .offset:         42
        .size:           2
        .value_kind:     hidden_remainder_x
      - .offset:         44
        .size:           2
        .value_kind:     hidden_remainder_y
      - .offset:         46
        .size:           2
        .value_kind:     hidden_remainder_z
      - .offset:         64
        .size:           8
        .value_kind:     hidden_global_offset_x
      - .offset:         72
        .size:           8
        .value_kind:     hidden_global_offset_y
      - .offset:         80
        .size:           8
        .value_kind:     hidden_global_offset_z
      - .offset:         88
        .size:           2
        .value_kind:     hidden_grid_dims
    .group_segment_fixed_size: 0
    .kernarg_segment_align: 8
    .kernarg_segment_size: 280
    .language:       OpenCL C
    .language_version:
      - 2
      - 0
    .max_flat_workgroup_size: 1024
    .name:           _Z11qssa_kernelIdEvPT_S1_S1_
    .private_segment_fixed_size: 36
    .sgpr_count:     26
    .sgpr_spill_count: 0
    .symbol:         _Z11qssa_kernelIdEvPT_S1_S1_.kd
    .uniform_work_group_size: 1
    .uses_dynamic_stack: false
    .vgpr_count:     128
    .vgpr_spill_count: 8
    .wavefront_size: 32
    .workgroup_processor_mode: 1
  - .args:
      - .actual_access:  read_only
        .address_space:  global
        .offset:         0
        .size:           8
        .value_kind:     global_buffer
      - .actual_access:  read_only
        .address_space:  global
        .offset:         8
        .size:           8
        .value_kind:     global_buffer
      - .address_space:  global
        .offset:         16
        .size:           8
        .value_kind:     global_buffer
      - .offset:         24
        .size:           4
        .value_kind:     hidden_block_count_x
      - .offset:         28
        .size:           4
        .value_kind:     hidden_block_count_y
      - .offset:         32
        .size:           4
        .value_kind:     hidden_block_count_z
      - .offset:         36
        .size:           2
        .value_kind:     hidden_group_size_x
      - .offset:         38
        .size:           2
        .value_kind:     hidden_group_size_y
      - .offset:         40
        .size:           2
        .value_kind:     hidden_group_size_z
      - .offset:         42
        .size:           2
        .value_kind:     hidden_remainder_x
      - .offset:         44
        .size:           2
        .value_kind:     hidden_remainder_y
      - .offset:         46
        .size:           2
        .value_kind:     hidden_remainder_z
      - .offset:         64
        .size:           8
        .value_kind:     hidden_global_offset_x
      - .offset:         72
        .size:           8
        .value_kind:     hidden_global_offset_y
      - .offset:         80
        .size:           8
        .value_kind:     hidden_global_offset_z
      - .offset:         88
        .size:           2
        .value_kind:     hidden_grid_dims
    .group_segment_fixed_size: 0
    .kernarg_segment_align: 8
    .kernarg_segment_size: 280
    .language:       OpenCL C
    .language_version:
      - 2
      - 0
    .max_flat_workgroup_size: 1024
    .name:           _Z12qssab_kernelIdEvPT_S1_S1_
    .private_segment_fixed_size: 0
    .sgpr_count:     12
    .sgpr_spill_count: 0
    .symbol:         _Z12qssab_kernelIdEvPT_S1_S1_.kd
    .uniform_work_group_size: 1
    .uses_dynamic_stack: false
    .vgpr_count:     63
    .vgpr_spill_count: 0
    .wavefront_size: 32
    .workgroup_processor_mode: 1
  - .args:
      - .address_space:  global
        .offset:         0
        .size:           8
        .value_kind:     global_buffer
      - .address_space:  global
        .offset:         8
        .size:           8
        .value_kind:     global_buffer
      - .actual_access:  read_only
        .address_space:  global
        .offset:         16
        .size:           8
        .value_kind:     global_buffer
      - .offset:         24
        .size:           4
        .value_kind:     hidden_block_count_x
      - .offset:         28
        .size:           4
        .value_kind:     hidden_block_count_y
      - .offset:         32
        .size:           4
        .value_kind:     hidden_block_count_z
      - .offset:         36
        .size:           2
        .value_kind:     hidden_group_size_x
      - .offset:         38
        .size:           2
        .value_kind:     hidden_group_size_y
      - .offset:         40
        .size:           2
        .value_kind:     hidden_group_size_z
      - .offset:         42
        .size:           2
        .value_kind:     hidden_remainder_x
      - .offset:         44
        .size:           2
        .value_kind:     hidden_remainder_y
      - .offset:         46
        .size:           2
        .value_kind:     hidden_remainder_z
      - .offset:         64
        .size:           8
        .value_kind:     hidden_global_offset_x
      - .offset:         72
        .size:           8
        .value_kind:     hidden_global_offset_y
      - .offset:         80
        .size:           8
        .value_kind:     hidden_global_offset_z
      - .offset:         88
        .size:           2
        .value_kind:     hidden_grid_dims
    .group_segment_fixed_size: 0
    .kernarg_segment_align: 8
    .kernarg_segment_size: 280
    .language:       OpenCL C
    .language_version:
      - 2
      - 0
    .max_flat_workgroup_size: 1024
    .name:           _Z12qssa2_kernelIdEvPT_S1_PKS0_
    .private_segment_fixed_size: 0
    .sgpr_count:     13
    .sgpr_spill_count: 0
    .symbol:         _Z12qssa2_kernelIdEvPT_S1_PKS0_.kd
    .uniform_work_group_size: 1
    .uses_dynamic_stack: false
    .vgpr_count:     69
    .vgpr_spill_count: 0
    .wavefront_size: 32
    .workgroup_processor_mode: 1
  - .args:
      - .actual_access:  read_only
        .address_space:  global
        .offset:         0
        .size:           8
        .value_kind:     global_buffer
      - .actual_access:  read_only
        .address_space:  global
        .offset:         8
        .size:           8
        .value_kind:     global_buffer
      - .actual_access:  write_only
        .address_space:  global
        .offset:         16
        .size:           8
        .value_kind:     global_buffer
      - .offset:         24
        .size:           8
        .value_kind:     by_value
      - .actual_access:  read_only
        .address_space:  global
        .offset:         32
        .size:           8
        .value_kind:     global_buffer
      - .offset:         40
        .size:           4
        .value_kind:     hidden_block_count_x
      - .offset:         44
        .size:           4
        .value_kind:     hidden_block_count_y
      - .offset:         48
        .size:           4
        .value_kind:     hidden_block_count_z
      - .offset:         52
        .size:           2
        .value_kind:     hidden_group_size_x
      - .offset:         54
        .size:           2
        .value_kind:     hidden_group_size_y
      - .offset:         56
        .size:           2
        .value_kind:     hidden_group_size_z
      - .offset:         58
        .size:           2
        .value_kind:     hidden_remainder_x
      - .offset:         60
        .size:           2
        .value_kind:     hidden_remainder_y
      - .offset:         62
        .size:           2
        .value_kind:     hidden_remainder_z
      - .offset:         80
        .size:           8
        .value_kind:     hidden_global_offset_x
      - .offset:         88
        .size:           8
        .value_kind:     hidden_global_offset_y
      - .offset:         96
        .size:           8
        .value_kind:     hidden_global_offset_z
      - .offset:         104
        .size:           2
        .value_kind:     hidden_grid_dims
    .group_segment_fixed_size: 0
    .kernarg_segment_align: 8
    .kernarg_segment_size: 296
    .language:       OpenCL C
    .language_version:
      - 2
      - 0
    .max_flat_workgroup_size: 1024
    .name:           _Z13rdwdot_kernelIdEvPKT_S2_PS0_S0_S2_
    .private_segment_fixed_size: 0
    .sgpr_count:     20
    .sgpr_spill_count: 0
    .symbol:         _Z13rdwdot_kernelIdEvPKT_S2_PS0_S0_S2_.kd
    .uniform_work_group_size: 1
    .uses_dynamic_stack: false
    .vgpr_count:     14
    .vgpr_spill_count: 0
    .wavefront_size: 32
    .workgroup_processor_mode: 1
  - .args:
      - .actual_access:  read_only
        .address_space:  global
        .offset:         0
        .size:           8
        .value_kind:     global_buffer
      - .actual_access:  read_only
        .address_space:  global
        .offset:         8
        .size:           8
        .value_kind:     global_buffer
      - .actual_access:  write_only
        .address_space:  global
        .offset:         16
        .size:           8
        .value_kind:     global_buffer
      - .offset:         24
        .size:           8
        .value_kind:     by_value
      - .actual_access:  read_only
        .address_space:  global
        .offset:         32
        .size:           8
        .value_kind:     global_buffer
      - .offset:         40
        .size:           4
        .value_kind:     hidden_block_count_x
      - .offset:         44
        .size:           4
        .value_kind:     hidden_block_count_y
      - .offset:         48
        .size:           4
        .value_kind:     hidden_block_count_z
      - .offset:         52
        .size:           2
        .value_kind:     hidden_group_size_x
      - .offset:         54
        .size:           2
        .value_kind:     hidden_group_size_y
      - .offset:         56
        .size:           2
        .value_kind:     hidden_group_size_z
      - .offset:         58
        .size:           2
        .value_kind:     hidden_remainder_x
      - .offset:         60
        .size:           2
        .value_kind:     hidden_remainder_y
      - .offset:         62
        .size:           2
        .value_kind:     hidden_remainder_z
      - .offset:         80
        .size:           8
        .value_kind:     hidden_global_offset_x
      - .offset:         88
        .size:           8
        .value_kind:     hidden_global_offset_y
      - .offset:         96
        .size:           8
        .value_kind:     hidden_global_offset_z
      - .offset:         104
        .size:           2
        .value_kind:     hidden_grid_dims
    .group_segment_fixed_size: 0
    .kernarg_segment_align: 8
    .kernarg_segment_size: 296
    .language:       OpenCL C
    .language_version:
      - 2
      - 0
    .max_flat_workgroup_size: 1024
    .name:           _Z14rdwdot2_kernelIdEvPKT_S2_PS0_S0_S2_
    .private_segment_fixed_size: 0
    .sgpr_count:     18
    .sgpr_spill_count: 0
    .symbol:         _Z14rdwdot2_kernelIdEvPKT_S2_PS0_S0_S2_.kd
    .uniform_work_group_size: 1
    .uses_dynamic_stack: false
    .vgpr_count:     24
    .vgpr_spill_count: 0
    .wavefront_size: 32
    .workgroup_processor_mode: 1
  - .args:
      - .actual_access:  read_only
        .address_space:  global
        .offset:         0
        .size:           8
        .value_kind:     global_buffer
      - .actual_access:  read_only
        .address_space:  global
        .offset:         8
        .size:           8
        .value_kind:     global_buffer
      - .actual_access:  write_only
        .address_space:  global
        .offset:         16
        .size:           8
        .value_kind:     global_buffer
      - .offset:         24
        .size:           8
        .value_kind:     by_value
      - .actual_access:  read_only
        .address_space:  global
        .offset:         32
        .size:           8
        .value_kind:     global_buffer
      - .offset:         40
        .size:           4
        .value_kind:     hidden_block_count_x
      - .offset:         44
        .size:           4
        .value_kind:     hidden_block_count_y
      - .offset:         48
        .size:           4
        .value_kind:     hidden_block_count_z
      - .offset:         52
        .size:           2
        .value_kind:     hidden_group_size_x
      - .offset:         54
        .size:           2
        .value_kind:     hidden_group_size_y
      - .offset:         56
        .size:           2
        .value_kind:     hidden_group_size_z
      - .offset:         58
        .size:           2
        .value_kind:     hidden_remainder_x
      - .offset:         60
        .size:           2
        .value_kind:     hidden_remainder_y
      - .offset:         62
        .size:           2
        .value_kind:     hidden_remainder_z
      - .offset:         80
        .size:           8
        .value_kind:     hidden_global_offset_x
      - .offset:         88
        .size:           8
        .value_kind:     hidden_global_offset_y
      - .offset:         96
        .size:           8
        .value_kind:     hidden_global_offset_z
      - .offset:         104
        .size:           2
        .value_kind:     hidden_grid_dims
    .group_segment_fixed_size: 0
    .kernarg_segment_align: 8
    .kernarg_segment_size: 296
    .language:       OpenCL C
    .language_version:
      - 2
      - 0
    .max_flat_workgroup_size: 1024
    .name:           _Z14rdwdot3_kernelIdEvPKT_S2_PS0_S0_S2_
    .private_segment_fixed_size: 0
    .sgpr_count:     32
    .sgpr_spill_count: 0
    .symbol:         _Z14rdwdot3_kernelIdEvPKT_S2_PS0_S0_S2_.kd
    .uniform_work_group_size: 1
    .uses_dynamic_stack: false
    .vgpr_count:     37
    .vgpr_spill_count: 0
    .wavefront_size: 32
    .workgroup_processor_mode: 1
  - .args:
      - .actual_access:  read_only
        .address_space:  global
        .offset:         0
        .size:           8
        .value_kind:     global_buffer
      - .actual_access:  read_only
        .address_space:  global
        .offset:         8
        .size:           8
        .value_kind:     global_buffer
      - .actual_access:  write_only
        .address_space:  global
        .offset:         16
        .size:           8
        .value_kind:     global_buffer
      - .offset:         24
        .size:           8
        .value_kind:     by_value
      - .actual_access:  read_only
        .address_space:  global
        .offset:         32
        .size:           8
        .value_kind:     global_buffer
      - .offset:         40
        .size:           4
        .value_kind:     hidden_block_count_x
      - .offset:         44
        .size:           4
        .value_kind:     hidden_block_count_y
      - .offset:         48
        .size:           4
        .value_kind:     hidden_block_count_z
      - .offset:         52
        .size:           2
        .value_kind:     hidden_group_size_x
      - .offset:         54
        .size:           2
        .value_kind:     hidden_group_size_y
      - .offset:         56
        .size:           2
        .value_kind:     hidden_group_size_z
      - .offset:         58
        .size:           2
        .value_kind:     hidden_remainder_x
      - .offset:         60
        .size:           2
        .value_kind:     hidden_remainder_y
      - .offset:         62
        .size:           2
        .value_kind:     hidden_remainder_z
      - .offset:         80
        .size:           8
        .value_kind:     hidden_global_offset_x
      - .offset:         88
        .size:           8
        .value_kind:     hidden_global_offset_y
      - .offset:         96
        .size:           8
        .value_kind:     hidden_global_offset_z
      - .offset:         104
        .size:           2
        .value_kind:     hidden_grid_dims
    .group_segment_fixed_size: 0
    .kernarg_segment_align: 8
    .kernarg_segment_size: 296
    .language:       OpenCL C
    .language_version:
      - 2
      - 0
    .max_flat_workgroup_size: 1024
    .name:           _Z14rdwdot6_kernelIdEvPKT_S2_PS0_S0_S2_
    .private_segment_fixed_size: 0
    .sgpr_count:     18
    .sgpr_spill_count: 0
    .symbol:         _Z14rdwdot6_kernelIdEvPKT_S2_PS0_S0_S2_.kd
    .uniform_work_group_size: 1
    .uses_dynamic_stack: false
    .vgpr_count:     21
    .vgpr_spill_count: 0
    .wavefront_size: 32
    .workgroup_processor_mode: 1
  - .args:
      - .actual_access:  read_only
        .address_space:  global
        .offset:         0
        .size:           8
        .value_kind:     global_buffer
      - .actual_access:  read_only
        .address_space:  global
        .offset:         8
        .size:           8
        .value_kind:     global_buffer
      - .actual_access:  write_only
        .address_space:  global
        .offset:         16
        .size:           8
        .value_kind:     global_buffer
      - .offset:         24
        .size:           8
        .value_kind:     by_value
      - .actual_access:  read_only
        .address_space:  global
        .offset:         32
        .size:           8
        .value_kind:     global_buffer
      - .offset:         40
        .size:           4
        .value_kind:     hidden_block_count_x
      - .offset:         44
        .size:           4
        .value_kind:     hidden_block_count_y
      - .offset:         48
        .size:           4
        .value_kind:     hidden_block_count_z
      - .offset:         52
        .size:           2
        .value_kind:     hidden_group_size_x
      - .offset:         54
        .size:           2
        .value_kind:     hidden_group_size_y
      - .offset:         56
        .size:           2
        .value_kind:     hidden_group_size_z
      - .offset:         58
        .size:           2
        .value_kind:     hidden_remainder_x
      - .offset:         60
        .size:           2
        .value_kind:     hidden_remainder_y
      - .offset:         62
        .size:           2
        .value_kind:     hidden_remainder_z
      - .offset:         80
        .size:           8
        .value_kind:     hidden_global_offset_x
      - .offset:         88
        .size:           8
        .value_kind:     hidden_global_offset_y
      - .offset:         96
        .size:           8
        .value_kind:     hidden_global_offset_z
      - .offset:         104
        .size:           2
        .value_kind:     hidden_grid_dims
    .group_segment_fixed_size: 0
    .kernarg_segment_align: 8
    .kernarg_segment_size: 296
    .language:       OpenCL C
    .language_version:
      - 2
      - 0
    .max_flat_workgroup_size: 1024
    .name:           _Z14rdwdot7_kernelIdEvPKT_S2_PS0_S0_S2_
    .private_segment_fixed_size: 0
    .sgpr_count:     18
    .sgpr_spill_count: 0
    .symbol:         _Z14rdwdot7_kernelIdEvPKT_S2_PS0_S0_S2_.kd
    .uniform_work_group_size: 1
    .uses_dynamic_stack: false
    .vgpr_count:     38
    .vgpr_spill_count: 0
    .wavefront_size: 32
    .workgroup_processor_mode: 1
  - .args:
      - .actual_access:  read_only
        .address_space:  global
        .offset:         0
        .size:           8
        .value_kind:     global_buffer
      - .actual_access:  read_only
        .address_space:  global
        .offset:         8
        .size:           8
        .value_kind:     global_buffer
      - .actual_access:  write_only
        .address_space:  global
        .offset:         16
        .size:           8
        .value_kind:     global_buffer
      - .offset:         24
        .size:           8
        .value_kind:     by_value
      - .actual_access:  read_only
        .address_space:  global
        .offset:         32
        .size:           8
        .value_kind:     global_buffer
      - .offset:         40
        .size:           4
        .value_kind:     hidden_block_count_x
      - .offset:         44
        .size:           4
        .value_kind:     hidden_block_count_y
      - .offset:         48
        .size:           4
        .value_kind:     hidden_block_count_z
      - .offset:         52
        .size:           2
        .value_kind:     hidden_group_size_x
      - .offset:         54
        .size:           2
        .value_kind:     hidden_group_size_y
      - .offset:         56
        .size:           2
        .value_kind:     hidden_group_size_z
      - .offset:         58
        .size:           2
        .value_kind:     hidden_remainder_x
      - .offset:         60
        .size:           2
        .value_kind:     hidden_remainder_y
      - .offset:         62
        .size:           2
        .value_kind:     hidden_remainder_z
      - .offset:         80
        .size:           8
        .value_kind:     hidden_global_offset_x
      - .offset:         88
        .size:           8
        .value_kind:     hidden_global_offset_y
      - .offset:         96
        .size:           8
        .value_kind:     hidden_global_offset_z
      - .offset:         104
        .size:           2
        .value_kind:     hidden_grid_dims
    .group_segment_fixed_size: 0
    .kernarg_segment_align: 8
    .kernarg_segment_size: 296
    .language:       OpenCL C
    .language_version:
      - 2
      - 0
    .max_flat_workgroup_size: 1024
    .name:           _Z14rdwdot8_kernelIdEvPKT_S2_PS0_S0_S2_
    .private_segment_fixed_size: 0
    .sgpr_count:     18
    .sgpr_spill_count: 0
    .symbol:         _Z14rdwdot8_kernelIdEvPKT_S2_PS0_S0_S2_.kd
    .uniform_work_group_size: 1
    .uses_dynamic_stack: false
    .vgpr_count:     29
    .vgpr_spill_count: 0
    .wavefront_size: 32
    .workgroup_processor_mode: 1
  - .args:
      - .actual_access:  read_only
        .address_space:  global
        .offset:         0
        .size:           8
        .value_kind:     global_buffer
      - .actual_access:  read_only
        .address_space:  global
        .offset:         8
        .size:           8
        .value_kind:     global_buffer
      - .actual_access:  write_only
        .address_space:  global
        .offset:         16
        .size:           8
        .value_kind:     global_buffer
      - .offset:         24
        .size:           8
        .value_kind:     by_value
      - .actual_access:  read_only
        .address_space:  global
        .offset:         32
        .size:           8
        .value_kind:     global_buffer
      - .offset:         40
        .size:           4
        .value_kind:     hidden_block_count_x
      - .offset:         44
        .size:           4
        .value_kind:     hidden_block_count_y
      - .offset:         48
        .size:           4
        .value_kind:     hidden_block_count_z
      - .offset:         52
        .size:           2
        .value_kind:     hidden_group_size_x
      - .offset:         54
        .size:           2
        .value_kind:     hidden_group_size_y
      - .offset:         56
        .size:           2
        .value_kind:     hidden_group_size_z
      - .offset:         58
        .size:           2
        .value_kind:     hidden_remainder_x
      - .offset:         60
        .size:           2
        .value_kind:     hidden_remainder_y
      - .offset:         62
        .size:           2
        .value_kind:     hidden_remainder_z
      - .offset:         80
        .size:           8
        .value_kind:     hidden_global_offset_x
      - .offset:         88
        .size:           8
        .value_kind:     hidden_global_offset_y
      - .offset:         96
        .size:           8
        .value_kind:     hidden_global_offset_z
      - .offset:         104
        .size:           2
        .value_kind:     hidden_grid_dims
    .group_segment_fixed_size: 0
    .kernarg_segment_align: 8
    .kernarg_segment_size: 296
    .language:       OpenCL C
    .language_version:
      - 2
      - 0
    .max_flat_workgroup_size: 1024
    .name:           _Z14rdwdot9_kernelIdEvPKT_S2_PS0_S0_S2_
    .private_segment_fixed_size: 0
    .sgpr_count:     19
    .sgpr_spill_count: 0
    .symbol:         _Z14rdwdot9_kernelIdEvPKT_S2_PS0_S0_S2_.kd
    .uniform_work_group_size: 1
    .uses_dynamic_stack: false
    .vgpr_count:     11
    .vgpr_spill_count: 0
    .wavefront_size: 32
    .workgroup_processor_mode: 1
  - .args:
      - .actual_access:  read_only
        .address_space:  global
        .offset:         0
        .size:           8
        .value_kind:     global_buffer
      - .actual_access:  read_only
        .address_space:  global
        .offset:         8
        .size:           8
        .value_kind:     global_buffer
      - .actual_access:  write_only
        .address_space:  global
        .offset:         16
        .size:           8
        .value_kind:     global_buffer
      - .offset:         24
        .size:           8
        .value_kind:     by_value
      - .actual_access:  read_only
        .address_space:  global
        .offset:         32
        .size:           8
        .value_kind:     global_buffer
      - .offset:         40
        .size:           4
        .value_kind:     hidden_block_count_x
      - .offset:         44
        .size:           4
        .value_kind:     hidden_block_count_y
      - .offset:         48
        .size:           4
        .value_kind:     hidden_block_count_z
      - .offset:         52
        .size:           2
        .value_kind:     hidden_group_size_x
      - .offset:         54
        .size:           2
        .value_kind:     hidden_group_size_y
      - .offset:         56
        .size:           2
        .value_kind:     hidden_group_size_z
      - .offset:         58
        .size:           2
        .value_kind:     hidden_remainder_x
      - .offset:         60
        .size:           2
        .value_kind:     hidden_remainder_y
      - .offset:         62
        .size:           2
        .value_kind:     hidden_remainder_z
      - .offset:         80
        .size:           8
        .value_kind:     hidden_global_offset_x
      - .offset:         88
        .size:           8
        .value_kind:     hidden_global_offset_y
      - .offset:         96
        .size:           8
        .value_kind:     hidden_global_offset_z
      - .offset:         104
        .size:           2
        .value_kind:     hidden_grid_dims
    .group_segment_fixed_size: 0
    .kernarg_segment_align: 8
    .kernarg_segment_size: 296
    .language:       OpenCL C
    .language_version:
      - 2
      - 0
    .max_flat_workgroup_size: 1024
    .name:           _Z15rdwdot10_kernelIdEvPKT_S2_PS0_S0_S2_
    .private_segment_fixed_size: 0
    .sgpr_count:     30
    .sgpr_spill_count: 0
    .symbol:         _Z15rdwdot10_kernelIdEvPKT_S2_PS0_S0_S2_.kd
    .uniform_work_group_size: 1
    .uses_dynamic_stack: false
    .vgpr_count:     56
    .vgpr_spill_count: 0
    .wavefront_size: 32
    .workgroup_processor_mode: 1
amdhsa.target:   amdgcn-amd-amdhsa--gfx1030
amdhsa.version:
  - 1
  - 2
...

	.end_amdgpu_metadata
